;; amdgpu-corpus repo=pytorch/pytorch kind=compiled arch=gfx950 opt=O3
	.amdgcn_target "amdgcn-amd-amdhsa--gfx950"
	.amdhsa_code_object_version 6
	.section	.text._ZN2at6native12_GLOBAL__N_130CatArrayBatchedCopy_vectorizedINS1_10OpaqueTypeILj1EEEjLi1ELi128ELi1ELi16ELi16EEEvPcNS1_25CatArrInputTensorMetadataIT_T0_XT2_EXT3_EEENS1_16TensorSizeStrideIS8_Lj4EEEiS8_,"axG",@progbits,_ZN2at6native12_GLOBAL__N_130CatArrayBatchedCopy_vectorizedINS1_10OpaqueTypeILj1EEEjLi1ELi128ELi1ELi16ELi16EEEvPcNS1_25CatArrInputTensorMetadataIT_T0_XT2_EXT3_EEENS1_16TensorSizeStrideIS8_Lj4EEEiS8_,comdat
	.globl	_ZN2at6native12_GLOBAL__N_130CatArrayBatchedCopy_vectorizedINS1_10OpaqueTypeILj1EEEjLi1ELi128ELi1ELi16ELi16EEEvPcNS1_25CatArrInputTensorMetadataIT_T0_XT2_EXT3_EEENS1_16TensorSizeStrideIS8_Lj4EEEiS8_ ; -- Begin function _ZN2at6native12_GLOBAL__N_130CatArrayBatchedCopy_vectorizedINS1_10OpaqueTypeILj1EEEjLi1ELi128ELi1ELi16ELi16EEEvPcNS1_25CatArrInputTensorMetadataIT_T0_XT2_EXT3_EEENS1_16TensorSizeStrideIS8_Lj4EEEiS8_
	.p2align	8
	.type	_ZN2at6native12_GLOBAL__N_130CatArrayBatchedCopy_vectorizedINS1_10OpaqueTypeILj1EEEjLi1ELi128ELi1ELi16ELi16EEEvPcNS1_25CatArrInputTensorMetadataIT_T0_XT2_EXT3_EEENS1_16TensorSizeStrideIS8_Lj4EEEiS8_,@function
_ZN2at6native12_GLOBAL__N_130CatArrayBatchedCopy_vectorizedINS1_10OpaqueTypeILj1EEEjLi1ELi128ELi1ELi16ELi16EEEvPcNS1_25CatArrInputTensorMetadataIT_T0_XT2_EXT3_EEENS1_16TensorSizeStrideIS8_Lj4EEEiS8_: ; @_ZN2at6native12_GLOBAL__N_130CatArrayBatchedCopy_vectorizedINS1_10OpaqueTypeILj1EEEjLi1ELi128ELi1ELi16ELi16EEEvPcNS1_25CatArrInputTensorMetadataIT_T0_XT2_EXT3_EEENS1_16TensorSizeStrideIS8_Lj4EEEiS8_
; %bb.0:
	s_mov_b32 s6, s3
	s_load_dword s3, s[0:1], 0xadc
	s_add_u32 s4, s0, 0xad0
	s_mov_b32 s7, 0
	s_addc_u32 s5, s1, 0
	s_lshl_b64 s[6:7], s[6:7], 2
	s_waitcnt lgkmcnt(0)
	s_and_b32 s9, s3, 0xffff
	s_add_u32 s10, s0, s6
	s_addc_u32 s11, s1, s7
	s_load_dword s8, s[10:11], 0x808
	s_mul_i32 s2, s2, s9
	v_add_u32_e32 v0, s2, v0
	s_add_u32 s2, s10, 8
	s_addc_u32 s3, s11, 0
	s_waitcnt lgkmcnt(0)
	s_lshr_b32 s8, s8, 4
	v_cmp_gt_u32_e32 vcc, s8, v0
	s_and_saveexec_b64 s[10:11], vcc
	s_cbranch_execz .LBB0_3
; %bb.1:
	s_load_dword s12, s[4:5], 0x0
	s_add_u32 s4, s2, s6
	s_addc_u32 s5, s3, s7
	s_sub_u32 s2, 0, s6
	s_subb_u32 s3, 0, s7
	s_add_u32 s6, s4, s2
	s_addc_u32 s7, s5, s3
	s_load_dword s13, s[6:7], 0x400
	s_load_dword s14, s[0:1], 0xacc
	s_load_dwordx2 s[10:11], s[0:1], 0x0
	s_load_dwordx2 s[2:3], s[4:5], 0x0
	s_load_dword s15, s[0:1], 0xab8
	s_waitcnt lgkmcnt(0)
	s_mul_i32 s6, s12, s9
	s_mul_i32 s13, s13, s14
	s_and_b32 s4, s13, -16
	s_add_u32 s4, s10, s4
	s_mov_b64 s[0:1], 0
	s_addc_u32 s5, s11, 0
	v_mul_lo_u32 v2, s15, v0
	s_mul_i32 s7, s6, s15
	v_mov_b32_e32 v3, 0
.LBB0_2:                                ; =>This Inner Loop Header: Depth=1
	v_mov_b32_e32 v1, v3
	v_lshl_add_u64 v[4:5], v[0:1], 4, s[2:3]
	global_load_dwordx4 v[4:7], v[4:5], off
	v_add_u32_e32 v0, s6, v0
	v_cmp_le_u32_e32 vcc, s8, v0
	v_lshl_add_u64 v[8:9], v[2:3], 4, s[4:5]
	v_add_u32_e32 v2, s7, v2
	s_or_b64 s[0:1], vcc, s[0:1]
	s_waitcnt vmcnt(0)
	global_store_dwordx4 v[8:9], v[4:7], off
	s_andn2_b64 exec, exec, s[0:1]
	s_cbranch_execnz .LBB0_2
.LBB0_3:
	s_endpgm
	.section	.rodata,"a",@progbits
	.p2align	6, 0x0
	.amdhsa_kernel _ZN2at6native12_GLOBAL__N_130CatArrayBatchedCopy_vectorizedINS1_10OpaqueTypeILj1EEEjLi1ELi128ELi1ELi16ELi16EEEvPcNS1_25CatArrInputTensorMetadataIT_T0_XT2_EXT3_EEENS1_16TensorSizeStrideIS8_Lj4EEEiS8_
		.amdhsa_group_segment_fixed_size 0
		.amdhsa_private_segment_fixed_size 0
		.amdhsa_kernarg_size 3024
		.amdhsa_user_sgpr_count 2
		.amdhsa_user_sgpr_dispatch_ptr 0
		.amdhsa_user_sgpr_queue_ptr 0
		.amdhsa_user_sgpr_kernarg_segment_ptr 1
		.amdhsa_user_sgpr_dispatch_id 0
		.amdhsa_user_sgpr_kernarg_preload_length 0
		.amdhsa_user_sgpr_kernarg_preload_offset 0
		.amdhsa_user_sgpr_private_segment_size 0
		.amdhsa_uses_dynamic_stack 0
		.amdhsa_enable_private_segment 0
		.amdhsa_system_sgpr_workgroup_id_x 1
		.amdhsa_system_sgpr_workgroup_id_y 1
		.amdhsa_system_sgpr_workgroup_id_z 0
		.amdhsa_system_sgpr_workgroup_info 0
		.amdhsa_system_vgpr_workitem_id 0
		.amdhsa_next_free_vgpr 10
		.amdhsa_next_free_sgpr 16
		.amdhsa_accum_offset 12
		.amdhsa_reserve_vcc 1
		.amdhsa_float_round_mode_32 0
		.amdhsa_float_round_mode_16_64 0
		.amdhsa_float_denorm_mode_32 3
		.amdhsa_float_denorm_mode_16_64 3
		.amdhsa_dx10_clamp 1
		.amdhsa_ieee_mode 1
		.amdhsa_fp16_overflow 0
		.amdhsa_tg_split 0
		.amdhsa_exception_fp_ieee_invalid_op 0
		.amdhsa_exception_fp_denorm_src 0
		.amdhsa_exception_fp_ieee_div_zero 0
		.amdhsa_exception_fp_ieee_overflow 0
		.amdhsa_exception_fp_ieee_underflow 0
		.amdhsa_exception_fp_ieee_inexact 0
		.amdhsa_exception_int_div_zero 0
	.end_amdhsa_kernel
	.section	.text._ZN2at6native12_GLOBAL__N_130CatArrayBatchedCopy_vectorizedINS1_10OpaqueTypeILj1EEEjLi1ELi128ELi1ELi16ELi16EEEvPcNS1_25CatArrInputTensorMetadataIT_T0_XT2_EXT3_EEENS1_16TensorSizeStrideIS8_Lj4EEEiS8_,"axG",@progbits,_ZN2at6native12_GLOBAL__N_130CatArrayBatchedCopy_vectorizedINS1_10OpaqueTypeILj1EEEjLi1ELi128ELi1ELi16ELi16EEEvPcNS1_25CatArrInputTensorMetadataIT_T0_XT2_EXT3_EEENS1_16TensorSizeStrideIS8_Lj4EEEiS8_,comdat
.Lfunc_end0:
	.size	_ZN2at6native12_GLOBAL__N_130CatArrayBatchedCopy_vectorizedINS1_10OpaqueTypeILj1EEEjLi1ELi128ELi1ELi16ELi16EEEvPcNS1_25CatArrInputTensorMetadataIT_T0_XT2_EXT3_EEENS1_16TensorSizeStrideIS8_Lj4EEEiS8_, .Lfunc_end0-_ZN2at6native12_GLOBAL__N_130CatArrayBatchedCopy_vectorizedINS1_10OpaqueTypeILj1EEEjLi1ELi128ELi1ELi16ELi16EEEvPcNS1_25CatArrInputTensorMetadataIT_T0_XT2_EXT3_EEENS1_16TensorSizeStrideIS8_Lj4EEEiS8_
                                        ; -- End function
	.set _ZN2at6native12_GLOBAL__N_130CatArrayBatchedCopy_vectorizedINS1_10OpaqueTypeILj1EEEjLi1ELi128ELi1ELi16ELi16EEEvPcNS1_25CatArrInputTensorMetadataIT_T0_XT2_EXT3_EEENS1_16TensorSizeStrideIS8_Lj4EEEiS8_.num_vgpr, 10
	.set _ZN2at6native12_GLOBAL__N_130CatArrayBatchedCopy_vectorizedINS1_10OpaqueTypeILj1EEEjLi1ELi128ELi1ELi16ELi16EEEvPcNS1_25CatArrInputTensorMetadataIT_T0_XT2_EXT3_EEENS1_16TensorSizeStrideIS8_Lj4EEEiS8_.num_agpr, 0
	.set _ZN2at6native12_GLOBAL__N_130CatArrayBatchedCopy_vectorizedINS1_10OpaqueTypeILj1EEEjLi1ELi128ELi1ELi16ELi16EEEvPcNS1_25CatArrInputTensorMetadataIT_T0_XT2_EXT3_EEENS1_16TensorSizeStrideIS8_Lj4EEEiS8_.numbered_sgpr, 16
	.set _ZN2at6native12_GLOBAL__N_130CatArrayBatchedCopy_vectorizedINS1_10OpaqueTypeILj1EEEjLi1ELi128ELi1ELi16ELi16EEEvPcNS1_25CatArrInputTensorMetadataIT_T0_XT2_EXT3_EEENS1_16TensorSizeStrideIS8_Lj4EEEiS8_.num_named_barrier, 0
	.set _ZN2at6native12_GLOBAL__N_130CatArrayBatchedCopy_vectorizedINS1_10OpaqueTypeILj1EEEjLi1ELi128ELi1ELi16ELi16EEEvPcNS1_25CatArrInputTensorMetadataIT_T0_XT2_EXT3_EEENS1_16TensorSizeStrideIS8_Lj4EEEiS8_.private_seg_size, 0
	.set _ZN2at6native12_GLOBAL__N_130CatArrayBatchedCopy_vectorizedINS1_10OpaqueTypeILj1EEEjLi1ELi128ELi1ELi16ELi16EEEvPcNS1_25CatArrInputTensorMetadataIT_T0_XT2_EXT3_EEENS1_16TensorSizeStrideIS8_Lj4EEEiS8_.uses_vcc, 1
	.set _ZN2at6native12_GLOBAL__N_130CatArrayBatchedCopy_vectorizedINS1_10OpaqueTypeILj1EEEjLi1ELi128ELi1ELi16ELi16EEEvPcNS1_25CatArrInputTensorMetadataIT_T0_XT2_EXT3_EEENS1_16TensorSizeStrideIS8_Lj4EEEiS8_.uses_flat_scratch, 0
	.set _ZN2at6native12_GLOBAL__N_130CatArrayBatchedCopy_vectorizedINS1_10OpaqueTypeILj1EEEjLi1ELi128ELi1ELi16ELi16EEEvPcNS1_25CatArrInputTensorMetadataIT_T0_XT2_EXT3_EEENS1_16TensorSizeStrideIS8_Lj4EEEiS8_.has_dyn_sized_stack, 0
	.set _ZN2at6native12_GLOBAL__N_130CatArrayBatchedCopy_vectorizedINS1_10OpaqueTypeILj1EEEjLi1ELi128ELi1ELi16ELi16EEEvPcNS1_25CatArrInputTensorMetadataIT_T0_XT2_EXT3_EEENS1_16TensorSizeStrideIS8_Lj4EEEiS8_.has_recursion, 0
	.set _ZN2at6native12_GLOBAL__N_130CatArrayBatchedCopy_vectorizedINS1_10OpaqueTypeILj1EEEjLi1ELi128ELi1ELi16ELi16EEEvPcNS1_25CatArrInputTensorMetadataIT_T0_XT2_EXT3_EEENS1_16TensorSizeStrideIS8_Lj4EEEiS8_.has_indirect_call, 0
	.section	.AMDGPU.csdata,"",@progbits
; Kernel info:
; codeLenInByte = 280
; TotalNumSgprs: 22
; NumVgprs: 10
; NumAgprs: 0
; TotalNumVgprs: 10
; ScratchSize: 0
; MemoryBound: 0
; FloatMode: 240
; IeeeMode: 1
; LDSByteSize: 0 bytes/workgroup (compile time only)
; SGPRBlocks: 2
; VGPRBlocks: 1
; NumSGPRsForWavesPerEU: 22
; NumVGPRsForWavesPerEU: 10
; AccumOffset: 12
; Occupancy: 8
; WaveLimiterHint : 1
; COMPUTE_PGM_RSRC2:SCRATCH_EN: 0
; COMPUTE_PGM_RSRC2:USER_SGPR: 2
; COMPUTE_PGM_RSRC2:TRAP_HANDLER: 0
; COMPUTE_PGM_RSRC2:TGID_X_EN: 1
; COMPUTE_PGM_RSRC2:TGID_Y_EN: 1
; COMPUTE_PGM_RSRC2:TGID_Z_EN: 0
; COMPUTE_PGM_RSRC2:TIDIG_COMP_CNT: 0
; COMPUTE_PGM_RSRC3_GFX90A:ACCUM_OFFSET: 2
; COMPUTE_PGM_RSRC3_GFX90A:TG_SPLIT: 0
	.section	.text._ZN2at6native12_GLOBAL__N_135CatArrayBatchedCopy_alignedK_contigINS1_10OpaqueTypeILj1EEEjLi1ELi128ELi1ELi16EEEvPT_NS1_25CatArrInputTensorMetadataIS5_T0_XT2_EXT3_EEENS1_16TensorSizeStrideIS8_Lj4EEEiS8_,"axG",@progbits,_ZN2at6native12_GLOBAL__N_135CatArrayBatchedCopy_alignedK_contigINS1_10OpaqueTypeILj1EEEjLi1ELi128ELi1ELi16EEEvPT_NS1_25CatArrInputTensorMetadataIS5_T0_XT2_EXT3_EEENS1_16TensorSizeStrideIS8_Lj4EEEiS8_,comdat
	.globl	_ZN2at6native12_GLOBAL__N_135CatArrayBatchedCopy_alignedK_contigINS1_10OpaqueTypeILj1EEEjLi1ELi128ELi1ELi16EEEvPT_NS1_25CatArrInputTensorMetadataIS5_T0_XT2_EXT3_EEENS1_16TensorSizeStrideIS8_Lj4EEEiS8_ ; -- Begin function _ZN2at6native12_GLOBAL__N_135CatArrayBatchedCopy_alignedK_contigINS1_10OpaqueTypeILj1EEEjLi1ELi128ELi1ELi16EEEvPT_NS1_25CatArrInputTensorMetadataIS5_T0_XT2_EXT3_EEENS1_16TensorSizeStrideIS8_Lj4EEEiS8_
	.p2align	8
	.type	_ZN2at6native12_GLOBAL__N_135CatArrayBatchedCopy_alignedK_contigINS1_10OpaqueTypeILj1EEEjLi1ELi128ELi1ELi16EEEvPT_NS1_25CatArrInputTensorMetadataIS5_T0_XT2_EXT3_EEENS1_16TensorSizeStrideIS8_Lj4EEEiS8_,@function
_ZN2at6native12_GLOBAL__N_135CatArrayBatchedCopy_alignedK_contigINS1_10OpaqueTypeILj1EEEjLi1ELi128ELi1ELi16EEEvPT_NS1_25CatArrInputTensorMetadataIS5_T0_XT2_EXT3_EEENS1_16TensorSizeStrideIS8_Lj4EEEiS8_: ; @_ZN2at6native12_GLOBAL__N_135CatArrayBatchedCopy_alignedK_contigINS1_10OpaqueTypeILj1EEEjLi1ELi128ELi1ELi16EEEvPT_NS1_25CatArrInputTensorMetadataIS5_T0_XT2_EXT3_EEENS1_16TensorSizeStrideIS8_Lj4EEEiS8_
; %bb.0:
	s_mov_b32 s4, s3
	s_load_dword s3, s[0:1], 0xadc
	s_add_u32 s8, s0, 0xad0
	s_addc_u32 s9, s1, 0
	s_mov_b32 s5, 0
	s_waitcnt lgkmcnt(0)
	s_and_b32 s13, s3, 0xffff
	s_mul_i32 s6, s2, s13
	s_lshl_b64 s[2:3], s[4:5], 2
	s_add_u32 s4, s0, s2
	s_addc_u32 s5, s1, s3
	s_load_dword s10, s[4:5], 0x808
	v_add_u32_e32 v16, s6, v0
	v_lshlrev_b32_e32 v0, 4, v16
	s_add_u32 s4, s4, 8
	s_addc_u32 s5, s5, 0
	s_waitcnt lgkmcnt(0)
	v_cmp_gt_u32_e32 vcc, s10, v0
	s_and_saveexec_b64 s[6:7], vcc
	s_cbranch_execz .LBB1_8
; %bb.1:
	s_add_u32 s6, s4, s2
	s_addc_u32 s7, s5, s3
	s_sub_u32 s2, 0, s2
	s_subb_u32 s3, 0, s3
	s_add_u32 s14, s6, s2
	s_addc_u32 s15, s7, s3
	s_load_dword s12, s[14:15], 0x400
	s_load_dword s16, s[0:1], 0xacc
	s_load_dwordx2 s[2:3], s[0:1], 0x0
	s_load_dwordx2 s[4:5], s[6:7], 0x0
	s_load_dword s11, s[0:1], 0xab8
	v_add_u32_e32 v1, 16, v0
	s_mov_b64 s[0:1], 0
	s_waitcnt lgkmcnt(0)
	s_mul_i32 s12, s12, s16
	v_cmp_ge_u32_e32 vcc, s10, v1
	s_and_saveexec_b64 s[6:7], vcc
	s_cbranch_execz .LBB1_5
; %bb.2:
	s_load_dword s8, s[8:9], 0x0
	v_mul_lo_u32 v1, s11, v0
	v_add_u32_e32 v2, 2, v0
	v_add_u32_e32 v3, 3, v0
	;; [unrolled: 1-line block ×3, first 2 shown]
	s_waitcnt lgkmcnt(0)
	s_mul_i32 s9, s8, s13
	s_lshl_b32 s8, s9, 4
	s_mul_i32 s9, s9, s11
	v_add_u32_e32 v5, 5, v0
	v_add_u32_e32 v6, 6, v0
	;; [unrolled: 1-line block ×11, first 2 shown]
	v_mul_lo_u32 v16, s11, v16
	v_add_u32_e32 v1, s11, v1
	s_lshl_b32 s9, s9, 4
	v_mul_lo_u32 v2, s11, v2
	v_mul_lo_u32 v3, s11, v3
	;; [unrolled: 1-line block ×14, first 2 shown]
	v_lshlrev_b32_e32 v16, 4, v16
	s_mov_b32 s13, s12
.LBB1_3:                                ; =>This Inner Loop Header: Depth=1
	global_load_dwordx4 v[18:21], v0, s[4:5]
	v_add_u32_e32 v0, s8, v0
	v_add_u32_e32 v37, 16, v0
	v_add_u32_e32 v17, s13, v16
	v_add_u32_e32 v22, s13, v1
	v_add_u32_e32 v23, s13, v2
	v_add_u32_e32 v24, s13, v3
	v_add_u32_e32 v25, s13, v4
	v_add_u32_e32 v26, s13, v5
	v_add_u32_e32 v27, s13, v6
	v_add_u32_e32 v28, s13, v7
	v_add_u32_e32 v29, s13, v8
	v_add_u32_e32 v30, s13, v9
	v_add_u32_e32 v31, s13, v10
	v_add_u32_e32 v32, s13, v11
	v_add_u32_e32 v33, s13, v12
	v_add_u32_e32 v34, s13, v13
	v_add_u32_e32 v35, s13, v14
	v_add_u32_e32 v36, s13, v15
	s_add_i32 s13, s13, s9
	v_cmp_lt_u32_e32 vcc, s10, v37
	s_or_b64 s[0:1], vcc, s[0:1]
	s_waitcnt vmcnt(0)
	v_lshrrev_b32_e32 v37, 8, v18
	v_lshrrev_b32_e32 v38, 24, v18
	;; [unrolled: 1-line block ×8, first 2 shown]
	global_store_byte v17, v18, s[2:3]
	global_store_byte v22, v37, s[2:3]
	global_store_byte_d16_hi v23, v18, s[2:3]
	global_store_byte v24, v38, s[2:3]
	global_store_byte v25, v19, s[2:3]
	global_store_byte v26, v39, s[2:3]
	global_store_byte_d16_hi v27, v19, s[2:3]
	global_store_byte v28, v40, s[2:3]
	;; [unrolled: 4-line block ×4, first 2 shown]
	s_andn2_b64 exec, exec, s[0:1]
	s_cbranch_execnz .LBB1_3
; %bb.4:
	s_or_b64 exec, exec, s[0:1]
.LBB1_5:
	s_or_b64 exec, exec, s[6:7]
	v_cmp_gt_u32_e32 vcc, s10, v0
	s_and_b64 exec, exec, vcc
	s_cbranch_execz .LBB1_8
; %bb.6:
	v_mul_lo_u32 v2, v0, s11
	v_mov_b32_e32 v1, 0
	v_add_u32_e32 v2, s12, v2
	s_mov_b64 s[0:1], 0
.LBB1_7:                                ; =>This Inner Loop Header: Depth=1
	v_lshl_add_u64 v[4:5], s[4:5], 0, v[0:1]
	global_load_ubyte v3, v[4:5], off
	v_lshl_add_u64 v[0:1], v[0:1], 0, 1
	v_cmp_le_u32_e32 vcc, s10, v0
	s_or_b64 s[0:1], vcc, s[0:1]
	s_waitcnt vmcnt(0)
	global_store_byte v2, v3, s[2:3]
	v_add_u32_e32 v2, s11, v2
	s_andn2_b64 exec, exec, s[0:1]
	s_cbranch_execnz .LBB1_7
.LBB1_8:
	s_endpgm
	.section	.rodata,"a",@progbits
	.p2align	6, 0x0
	.amdhsa_kernel _ZN2at6native12_GLOBAL__N_135CatArrayBatchedCopy_alignedK_contigINS1_10OpaqueTypeILj1EEEjLi1ELi128ELi1ELi16EEEvPT_NS1_25CatArrInputTensorMetadataIS5_T0_XT2_EXT3_EEENS1_16TensorSizeStrideIS8_Lj4EEEiS8_
		.amdhsa_group_segment_fixed_size 0
		.amdhsa_private_segment_fixed_size 0
		.amdhsa_kernarg_size 3024
		.amdhsa_user_sgpr_count 2
		.amdhsa_user_sgpr_dispatch_ptr 0
		.amdhsa_user_sgpr_queue_ptr 0
		.amdhsa_user_sgpr_kernarg_segment_ptr 1
		.amdhsa_user_sgpr_dispatch_id 0
		.amdhsa_user_sgpr_kernarg_preload_length 0
		.amdhsa_user_sgpr_kernarg_preload_offset 0
		.amdhsa_user_sgpr_private_segment_size 0
		.amdhsa_uses_dynamic_stack 0
		.amdhsa_enable_private_segment 0
		.amdhsa_system_sgpr_workgroup_id_x 1
		.amdhsa_system_sgpr_workgroup_id_y 1
		.amdhsa_system_sgpr_workgroup_id_z 0
		.amdhsa_system_sgpr_workgroup_info 0
		.amdhsa_system_vgpr_workitem_id 0
		.amdhsa_next_free_vgpr 45
		.amdhsa_next_free_sgpr 17
		.amdhsa_accum_offset 48
		.amdhsa_reserve_vcc 1
		.amdhsa_float_round_mode_32 0
		.amdhsa_float_round_mode_16_64 0
		.amdhsa_float_denorm_mode_32 3
		.amdhsa_float_denorm_mode_16_64 3
		.amdhsa_dx10_clamp 1
		.amdhsa_ieee_mode 1
		.amdhsa_fp16_overflow 0
		.amdhsa_tg_split 0
		.amdhsa_exception_fp_ieee_invalid_op 0
		.amdhsa_exception_fp_denorm_src 0
		.amdhsa_exception_fp_ieee_div_zero 0
		.amdhsa_exception_fp_ieee_overflow 0
		.amdhsa_exception_fp_ieee_underflow 0
		.amdhsa_exception_fp_ieee_inexact 0
		.amdhsa_exception_int_div_zero 0
	.end_amdhsa_kernel
	.section	.text._ZN2at6native12_GLOBAL__N_135CatArrayBatchedCopy_alignedK_contigINS1_10OpaqueTypeILj1EEEjLi1ELi128ELi1ELi16EEEvPT_NS1_25CatArrInputTensorMetadataIS5_T0_XT2_EXT3_EEENS1_16TensorSizeStrideIS8_Lj4EEEiS8_,"axG",@progbits,_ZN2at6native12_GLOBAL__N_135CatArrayBatchedCopy_alignedK_contigINS1_10OpaqueTypeILj1EEEjLi1ELi128ELi1ELi16EEEvPT_NS1_25CatArrInputTensorMetadataIS5_T0_XT2_EXT3_EEENS1_16TensorSizeStrideIS8_Lj4EEEiS8_,comdat
.Lfunc_end1:
	.size	_ZN2at6native12_GLOBAL__N_135CatArrayBatchedCopy_alignedK_contigINS1_10OpaqueTypeILj1EEEjLi1ELi128ELi1ELi16EEEvPT_NS1_25CatArrInputTensorMetadataIS5_T0_XT2_EXT3_EEENS1_16TensorSizeStrideIS8_Lj4EEEiS8_, .Lfunc_end1-_ZN2at6native12_GLOBAL__N_135CatArrayBatchedCopy_alignedK_contigINS1_10OpaqueTypeILj1EEEjLi1ELi128ELi1ELi16EEEvPT_NS1_25CatArrInputTensorMetadataIS5_T0_XT2_EXT3_EEENS1_16TensorSizeStrideIS8_Lj4EEEiS8_
                                        ; -- End function
	.set _ZN2at6native12_GLOBAL__N_135CatArrayBatchedCopy_alignedK_contigINS1_10OpaqueTypeILj1EEEjLi1ELi128ELi1ELi16EEEvPT_NS1_25CatArrInputTensorMetadataIS5_T0_XT2_EXT3_EEENS1_16TensorSizeStrideIS8_Lj4EEEiS8_.num_vgpr, 45
	.set _ZN2at6native12_GLOBAL__N_135CatArrayBatchedCopy_alignedK_contigINS1_10OpaqueTypeILj1EEEjLi1ELi128ELi1ELi16EEEvPT_NS1_25CatArrInputTensorMetadataIS5_T0_XT2_EXT3_EEENS1_16TensorSizeStrideIS8_Lj4EEEiS8_.num_agpr, 0
	.set _ZN2at6native12_GLOBAL__N_135CatArrayBatchedCopy_alignedK_contigINS1_10OpaqueTypeILj1EEEjLi1ELi128ELi1ELi16EEEvPT_NS1_25CatArrInputTensorMetadataIS5_T0_XT2_EXT3_EEENS1_16TensorSizeStrideIS8_Lj4EEEiS8_.numbered_sgpr, 17
	.set _ZN2at6native12_GLOBAL__N_135CatArrayBatchedCopy_alignedK_contigINS1_10OpaqueTypeILj1EEEjLi1ELi128ELi1ELi16EEEvPT_NS1_25CatArrInputTensorMetadataIS5_T0_XT2_EXT3_EEENS1_16TensorSizeStrideIS8_Lj4EEEiS8_.num_named_barrier, 0
	.set _ZN2at6native12_GLOBAL__N_135CatArrayBatchedCopy_alignedK_contigINS1_10OpaqueTypeILj1EEEjLi1ELi128ELi1ELi16EEEvPT_NS1_25CatArrInputTensorMetadataIS5_T0_XT2_EXT3_EEENS1_16TensorSizeStrideIS8_Lj4EEEiS8_.private_seg_size, 0
	.set _ZN2at6native12_GLOBAL__N_135CatArrayBatchedCopy_alignedK_contigINS1_10OpaqueTypeILj1EEEjLi1ELi128ELi1ELi16EEEvPT_NS1_25CatArrInputTensorMetadataIS5_T0_XT2_EXT3_EEENS1_16TensorSizeStrideIS8_Lj4EEEiS8_.uses_vcc, 1
	.set _ZN2at6native12_GLOBAL__N_135CatArrayBatchedCopy_alignedK_contigINS1_10OpaqueTypeILj1EEEjLi1ELi128ELi1ELi16EEEvPT_NS1_25CatArrInputTensorMetadataIS5_T0_XT2_EXT3_EEENS1_16TensorSizeStrideIS8_Lj4EEEiS8_.uses_flat_scratch, 0
	.set _ZN2at6native12_GLOBAL__N_135CatArrayBatchedCopy_alignedK_contigINS1_10OpaqueTypeILj1EEEjLi1ELi128ELi1ELi16EEEvPT_NS1_25CatArrInputTensorMetadataIS5_T0_XT2_EXT3_EEENS1_16TensorSizeStrideIS8_Lj4EEEiS8_.has_dyn_sized_stack, 0
	.set _ZN2at6native12_GLOBAL__N_135CatArrayBatchedCopy_alignedK_contigINS1_10OpaqueTypeILj1EEEjLi1ELi128ELi1ELi16EEEvPT_NS1_25CatArrInputTensorMetadataIS5_T0_XT2_EXT3_EEENS1_16TensorSizeStrideIS8_Lj4EEEiS8_.has_recursion, 0
	.set _ZN2at6native12_GLOBAL__N_135CatArrayBatchedCopy_alignedK_contigINS1_10OpaqueTypeILj1EEEjLi1ELi128ELi1ELi16EEEvPT_NS1_25CatArrInputTensorMetadataIS5_T0_XT2_EXT3_EEENS1_16TensorSizeStrideIS8_Lj4EEEiS8_.has_indirect_call, 0
	.section	.AMDGPU.csdata,"",@progbits
; Kernel info:
; codeLenInByte = 776
; TotalNumSgprs: 23
; NumVgprs: 45
; NumAgprs: 0
; TotalNumVgprs: 45
; ScratchSize: 0
; MemoryBound: 0
; FloatMode: 240
; IeeeMode: 1
; LDSByteSize: 0 bytes/workgroup (compile time only)
; SGPRBlocks: 2
; VGPRBlocks: 5
; NumSGPRsForWavesPerEU: 23
; NumVGPRsForWavesPerEU: 45
; AccumOffset: 48
; Occupancy: 8
; WaveLimiterHint : 1
; COMPUTE_PGM_RSRC2:SCRATCH_EN: 0
; COMPUTE_PGM_RSRC2:USER_SGPR: 2
; COMPUTE_PGM_RSRC2:TRAP_HANDLER: 0
; COMPUTE_PGM_RSRC2:TGID_X_EN: 1
; COMPUTE_PGM_RSRC2:TGID_Y_EN: 1
; COMPUTE_PGM_RSRC2:TGID_Z_EN: 0
; COMPUTE_PGM_RSRC2:TIDIG_COMP_CNT: 0
; COMPUTE_PGM_RSRC3_GFX90A:ACCUM_OFFSET: 11
; COMPUTE_PGM_RSRC3_GFX90A:TG_SPLIT: 0
	.section	.text._ZN2at6native12_GLOBAL__N_135CatArrayBatchedCopy_alignedK_contigINS1_10OpaqueTypeILj1EEEjLi1ELi128ELi1ELi8EEEvPT_NS1_25CatArrInputTensorMetadataIS5_T0_XT2_EXT3_EEENS1_16TensorSizeStrideIS8_Lj4EEEiS8_,"axG",@progbits,_ZN2at6native12_GLOBAL__N_135CatArrayBatchedCopy_alignedK_contigINS1_10OpaqueTypeILj1EEEjLi1ELi128ELi1ELi8EEEvPT_NS1_25CatArrInputTensorMetadataIS5_T0_XT2_EXT3_EEENS1_16TensorSizeStrideIS8_Lj4EEEiS8_,comdat
	.globl	_ZN2at6native12_GLOBAL__N_135CatArrayBatchedCopy_alignedK_contigINS1_10OpaqueTypeILj1EEEjLi1ELi128ELi1ELi8EEEvPT_NS1_25CatArrInputTensorMetadataIS5_T0_XT2_EXT3_EEENS1_16TensorSizeStrideIS8_Lj4EEEiS8_ ; -- Begin function _ZN2at6native12_GLOBAL__N_135CatArrayBatchedCopy_alignedK_contigINS1_10OpaqueTypeILj1EEEjLi1ELi128ELi1ELi8EEEvPT_NS1_25CatArrInputTensorMetadataIS5_T0_XT2_EXT3_EEENS1_16TensorSizeStrideIS8_Lj4EEEiS8_
	.p2align	8
	.type	_ZN2at6native12_GLOBAL__N_135CatArrayBatchedCopy_alignedK_contigINS1_10OpaqueTypeILj1EEEjLi1ELi128ELi1ELi8EEEvPT_NS1_25CatArrInputTensorMetadataIS5_T0_XT2_EXT3_EEENS1_16TensorSizeStrideIS8_Lj4EEEiS8_,@function
_ZN2at6native12_GLOBAL__N_135CatArrayBatchedCopy_alignedK_contigINS1_10OpaqueTypeILj1EEEjLi1ELi128ELi1ELi8EEEvPT_NS1_25CatArrInputTensorMetadataIS5_T0_XT2_EXT3_EEENS1_16TensorSizeStrideIS8_Lj4EEEiS8_: ; @_ZN2at6native12_GLOBAL__N_135CatArrayBatchedCopy_alignedK_contigINS1_10OpaqueTypeILj1EEEjLi1ELi128ELi1ELi8EEEvPT_NS1_25CatArrInputTensorMetadataIS5_T0_XT2_EXT3_EEENS1_16TensorSizeStrideIS8_Lj4EEEiS8_
; %bb.0:
	s_mov_b32 s4, s3
	s_load_dword s3, s[0:1], 0xadc
	s_add_u32 s8, s0, 0xad0
	s_addc_u32 s9, s1, 0
	s_mov_b32 s5, 0
	s_waitcnt lgkmcnt(0)
	s_and_b32 s13, s3, 0xffff
	s_mul_i32 s6, s2, s13
	s_lshl_b64 s[2:3], s[4:5], 2
	s_add_u32 s4, s0, s2
	s_addc_u32 s5, s1, s3
	s_load_dword s10, s[4:5], 0x808
	v_add_u32_e32 v1, s6, v0
	v_lshlrev_b32_e32 v0, 3, v1
	s_add_u32 s4, s4, 8
	s_addc_u32 s5, s5, 0
	s_waitcnt lgkmcnt(0)
	v_cmp_gt_u32_e32 vcc, s10, v0
	s_and_saveexec_b64 s[6:7], vcc
	s_cbranch_execz .LBB2_8
; %bb.1:
	s_add_u32 s6, s4, s2
	s_addc_u32 s7, s5, s3
	s_sub_u32 s2, 0, s2
	s_subb_u32 s3, 0, s3
	s_add_u32 s14, s6, s2
	s_addc_u32 s15, s7, s3
	s_load_dword s12, s[14:15], 0x400
	s_load_dword s16, s[0:1], 0xacc
	s_load_dwordx2 s[2:3], s[0:1], 0x0
	s_load_dwordx2 s[4:5], s[6:7], 0x0
	s_load_dword s11, s[0:1], 0xab8
	v_add_u32_e32 v2, 8, v0
	s_mov_b64 s[0:1], 0
	s_waitcnt lgkmcnt(0)
	s_mul_i32 s12, s12, s16
	v_cmp_ge_u32_e32 vcc, s10, v2
	s_and_saveexec_b64 s[6:7], vcc
	s_cbranch_execz .LBB2_5
; %bb.2:
	s_load_dword s8, s[8:9], 0x0
	v_mul_lo_u32 v2, s11, v0
	v_add_u32_e32 v3, 2, v0
	v_add_u32_e32 v4, 3, v0
	;; [unrolled: 1-line block ×3, first 2 shown]
	s_waitcnt lgkmcnt(0)
	s_mul_i32 s9, s8, s13
	s_lshl_b32 s8, s9, 3
	s_mul_i32 s9, s9, s11
	v_add_u32_e32 v6, 5, v0
	v_add_u32_e32 v7, 6, v0
	;; [unrolled: 1-line block ×3, first 2 shown]
	v_mul_lo_u32 v1, s11, v1
	v_add_u32_e32 v2, s11, v2
	s_lshl_b32 s9, s9, 3
	v_mul_lo_u32 v3, s11, v3
	v_mul_lo_u32 v4, s11, v4
	;; [unrolled: 1-line block ×6, first 2 shown]
	v_lshlrev_b32_e32 v1, 3, v1
	s_mov_b32 s13, s12
.LBB2_3:                                ; =>This Inner Loop Header: Depth=1
	global_load_dwordx2 v[10:11], v0, s[4:5]
	v_add_u32_e32 v0, s8, v0
	v_add_u32_e32 v19, 8, v0
	;; [unrolled: 1-line block ×10, first 2 shown]
	s_add_i32 s13, s13, s9
	v_cmp_lt_u32_e32 vcc, s10, v19
	s_or_b64 s[0:1], vcc, s[0:1]
	s_waitcnt vmcnt(0)
	v_lshrrev_b32_e32 v19, 8, v10
	v_lshrrev_b32_e32 v20, 24, v10
	v_lshrrev_b32_e32 v21, 8, v11
	v_lshrrev_b32_e32 v22, 24, v11
	global_store_byte v9, v10, s[2:3]
	global_store_byte v12, v19, s[2:3]
	global_store_byte_d16_hi v13, v10, s[2:3]
	global_store_byte v14, v20, s[2:3]
	global_store_byte v15, v11, s[2:3]
	;; [unrolled: 1-line block ×3, first 2 shown]
	global_store_byte_d16_hi v17, v11, s[2:3]
	global_store_byte v18, v22, s[2:3]
	s_andn2_b64 exec, exec, s[0:1]
	s_cbranch_execnz .LBB2_3
; %bb.4:
	s_or_b64 exec, exec, s[0:1]
.LBB2_5:
	s_or_b64 exec, exec, s[6:7]
	v_cmp_gt_u32_e32 vcc, s10, v0
	s_and_b64 exec, exec, vcc
	s_cbranch_execz .LBB2_8
; %bb.6:
	v_mul_lo_u32 v2, v0, s11
	v_mov_b32_e32 v1, 0
	v_add_u32_e32 v2, s12, v2
	s_mov_b64 s[0:1], 0
.LBB2_7:                                ; =>This Inner Loop Header: Depth=1
	v_lshl_add_u64 v[4:5], s[4:5], 0, v[0:1]
	global_load_ubyte v3, v[4:5], off
	v_lshl_add_u64 v[0:1], v[0:1], 0, 1
	v_cmp_le_u32_e32 vcc, s10, v0
	s_or_b64 s[0:1], vcc, s[0:1]
	s_waitcnt vmcnt(0)
	global_store_byte v2, v3, s[2:3]
	v_add_u32_e32 v2, s11, v2
	s_andn2_b64 exec, exec, s[0:1]
	s_cbranch_execnz .LBB2_7
.LBB2_8:
	s_endpgm
	.section	.rodata,"a",@progbits
	.p2align	6, 0x0
	.amdhsa_kernel _ZN2at6native12_GLOBAL__N_135CatArrayBatchedCopy_alignedK_contigINS1_10OpaqueTypeILj1EEEjLi1ELi128ELi1ELi8EEEvPT_NS1_25CatArrInputTensorMetadataIS5_T0_XT2_EXT3_EEENS1_16TensorSizeStrideIS8_Lj4EEEiS8_
		.amdhsa_group_segment_fixed_size 0
		.amdhsa_private_segment_fixed_size 0
		.amdhsa_kernarg_size 3024
		.amdhsa_user_sgpr_count 2
		.amdhsa_user_sgpr_dispatch_ptr 0
		.amdhsa_user_sgpr_queue_ptr 0
		.amdhsa_user_sgpr_kernarg_segment_ptr 1
		.amdhsa_user_sgpr_dispatch_id 0
		.amdhsa_user_sgpr_kernarg_preload_length 0
		.amdhsa_user_sgpr_kernarg_preload_offset 0
		.amdhsa_user_sgpr_private_segment_size 0
		.amdhsa_uses_dynamic_stack 0
		.amdhsa_enable_private_segment 0
		.amdhsa_system_sgpr_workgroup_id_x 1
		.amdhsa_system_sgpr_workgroup_id_y 1
		.amdhsa_system_sgpr_workgroup_id_z 0
		.amdhsa_system_sgpr_workgroup_info 0
		.amdhsa_system_vgpr_workitem_id 0
		.amdhsa_next_free_vgpr 23
		.amdhsa_next_free_sgpr 17
		.amdhsa_accum_offset 24
		.amdhsa_reserve_vcc 1
		.amdhsa_float_round_mode_32 0
		.amdhsa_float_round_mode_16_64 0
		.amdhsa_float_denorm_mode_32 3
		.amdhsa_float_denorm_mode_16_64 3
		.amdhsa_dx10_clamp 1
		.amdhsa_ieee_mode 1
		.amdhsa_fp16_overflow 0
		.amdhsa_tg_split 0
		.amdhsa_exception_fp_ieee_invalid_op 0
		.amdhsa_exception_fp_denorm_src 0
		.amdhsa_exception_fp_ieee_div_zero 0
		.amdhsa_exception_fp_ieee_overflow 0
		.amdhsa_exception_fp_ieee_underflow 0
		.amdhsa_exception_fp_ieee_inexact 0
		.amdhsa_exception_int_div_zero 0
	.end_amdhsa_kernel
	.section	.text._ZN2at6native12_GLOBAL__N_135CatArrayBatchedCopy_alignedK_contigINS1_10OpaqueTypeILj1EEEjLi1ELi128ELi1ELi8EEEvPT_NS1_25CatArrInputTensorMetadataIS5_T0_XT2_EXT3_EEENS1_16TensorSizeStrideIS8_Lj4EEEiS8_,"axG",@progbits,_ZN2at6native12_GLOBAL__N_135CatArrayBatchedCopy_alignedK_contigINS1_10OpaqueTypeILj1EEEjLi1ELi128ELi1ELi8EEEvPT_NS1_25CatArrInputTensorMetadataIS5_T0_XT2_EXT3_EEENS1_16TensorSizeStrideIS8_Lj4EEEiS8_,comdat
.Lfunc_end2:
	.size	_ZN2at6native12_GLOBAL__N_135CatArrayBatchedCopy_alignedK_contigINS1_10OpaqueTypeILj1EEEjLi1ELi128ELi1ELi8EEEvPT_NS1_25CatArrInputTensorMetadataIS5_T0_XT2_EXT3_EEENS1_16TensorSizeStrideIS8_Lj4EEEiS8_, .Lfunc_end2-_ZN2at6native12_GLOBAL__N_135CatArrayBatchedCopy_alignedK_contigINS1_10OpaqueTypeILj1EEEjLi1ELi128ELi1ELi8EEEvPT_NS1_25CatArrInputTensorMetadataIS5_T0_XT2_EXT3_EEENS1_16TensorSizeStrideIS8_Lj4EEEiS8_
                                        ; -- End function
	.set _ZN2at6native12_GLOBAL__N_135CatArrayBatchedCopy_alignedK_contigINS1_10OpaqueTypeILj1EEEjLi1ELi128ELi1ELi8EEEvPT_NS1_25CatArrInputTensorMetadataIS5_T0_XT2_EXT3_EEENS1_16TensorSizeStrideIS8_Lj4EEEiS8_.num_vgpr, 23
	.set _ZN2at6native12_GLOBAL__N_135CatArrayBatchedCopy_alignedK_contigINS1_10OpaqueTypeILj1EEEjLi1ELi128ELi1ELi8EEEvPT_NS1_25CatArrInputTensorMetadataIS5_T0_XT2_EXT3_EEENS1_16TensorSizeStrideIS8_Lj4EEEiS8_.num_agpr, 0
	.set _ZN2at6native12_GLOBAL__N_135CatArrayBatchedCopy_alignedK_contigINS1_10OpaqueTypeILj1EEEjLi1ELi128ELi1ELi8EEEvPT_NS1_25CatArrInputTensorMetadataIS5_T0_XT2_EXT3_EEENS1_16TensorSizeStrideIS8_Lj4EEEiS8_.numbered_sgpr, 17
	.set _ZN2at6native12_GLOBAL__N_135CatArrayBatchedCopy_alignedK_contigINS1_10OpaqueTypeILj1EEEjLi1ELi128ELi1ELi8EEEvPT_NS1_25CatArrInputTensorMetadataIS5_T0_XT2_EXT3_EEENS1_16TensorSizeStrideIS8_Lj4EEEiS8_.num_named_barrier, 0
	.set _ZN2at6native12_GLOBAL__N_135CatArrayBatchedCopy_alignedK_contigINS1_10OpaqueTypeILj1EEEjLi1ELi128ELi1ELi8EEEvPT_NS1_25CatArrInputTensorMetadataIS5_T0_XT2_EXT3_EEENS1_16TensorSizeStrideIS8_Lj4EEEiS8_.private_seg_size, 0
	.set _ZN2at6native12_GLOBAL__N_135CatArrayBatchedCopy_alignedK_contigINS1_10OpaqueTypeILj1EEEjLi1ELi128ELi1ELi8EEEvPT_NS1_25CatArrInputTensorMetadataIS5_T0_XT2_EXT3_EEENS1_16TensorSizeStrideIS8_Lj4EEEiS8_.uses_vcc, 1
	.set _ZN2at6native12_GLOBAL__N_135CatArrayBatchedCopy_alignedK_contigINS1_10OpaqueTypeILj1EEEjLi1ELi128ELi1ELi8EEEvPT_NS1_25CatArrInputTensorMetadataIS5_T0_XT2_EXT3_EEENS1_16TensorSizeStrideIS8_Lj4EEEiS8_.uses_flat_scratch, 0
	.set _ZN2at6native12_GLOBAL__N_135CatArrayBatchedCopy_alignedK_contigINS1_10OpaqueTypeILj1EEEjLi1ELi128ELi1ELi8EEEvPT_NS1_25CatArrInputTensorMetadataIS5_T0_XT2_EXT3_EEENS1_16TensorSizeStrideIS8_Lj4EEEiS8_.has_dyn_sized_stack, 0
	.set _ZN2at6native12_GLOBAL__N_135CatArrayBatchedCopy_alignedK_contigINS1_10OpaqueTypeILj1EEEjLi1ELi128ELi1ELi8EEEvPT_NS1_25CatArrInputTensorMetadataIS5_T0_XT2_EXT3_EEENS1_16TensorSizeStrideIS8_Lj4EEEiS8_.has_recursion, 0
	.set _ZN2at6native12_GLOBAL__N_135CatArrayBatchedCopy_alignedK_contigINS1_10OpaqueTypeILj1EEEjLi1ELi128ELi1ELi8EEEvPT_NS1_25CatArrInputTensorMetadataIS5_T0_XT2_EXT3_EEENS1_16TensorSizeStrideIS8_Lj4EEEiS8_.has_indirect_call, 0
	.section	.AMDGPU.csdata,"",@progbits
; Kernel info:
; codeLenInByte = 568
; TotalNumSgprs: 23
; NumVgprs: 23
; NumAgprs: 0
; TotalNumVgprs: 23
; ScratchSize: 0
; MemoryBound: 0
; FloatMode: 240
; IeeeMode: 1
; LDSByteSize: 0 bytes/workgroup (compile time only)
; SGPRBlocks: 2
; VGPRBlocks: 2
; NumSGPRsForWavesPerEU: 23
; NumVGPRsForWavesPerEU: 23
; AccumOffset: 24
; Occupancy: 8
; WaveLimiterHint : 1
; COMPUTE_PGM_RSRC2:SCRATCH_EN: 0
; COMPUTE_PGM_RSRC2:USER_SGPR: 2
; COMPUTE_PGM_RSRC2:TRAP_HANDLER: 0
; COMPUTE_PGM_RSRC2:TGID_X_EN: 1
; COMPUTE_PGM_RSRC2:TGID_Y_EN: 1
; COMPUTE_PGM_RSRC2:TGID_Z_EN: 0
; COMPUTE_PGM_RSRC2:TIDIG_COMP_CNT: 0
; COMPUTE_PGM_RSRC3_GFX90A:ACCUM_OFFSET: 5
; COMPUTE_PGM_RSRC3_GFX90A:TG_SPLIT: 0
	.section	.text._ZN2at6native12_GLOBAL__N_126CatArrayBatchedCopy_contigINS1_10OpaqueTypeILj1EEEjLi1ELi128ELi1EEEvPT_NS1_25CatArrInputTensorMetadataIS5_T0_XT2_EXT3_EEENS1_16TensorSizeStrideIS8_Lj4EEEiS8_,"axG",@progbits,_ZN2at6native12_GLOBAL__N_126CatArrayBatchedCopy_contigINS1_10OpaqueTypeILj1EEEjLi1ELi128ELi1EEEvPT_NS1_25CatArrInputTensorMetadataIS5_T0_XT2_EXT3_EEENS1_16TensorSizeStrideIS8_Lj4EEEiS8_,comdat
	.globl	_ZN2at6native12_GLOBAL__N_126CatArrayBatchedCopy_contigINS1_10OpaqueTypeILj1EEEjLi1ELi128ELi1EEEvPT_NS1_25CatArrInputTensorMetadataIS5_T0_XT2_EXT3_EEENS1_16TensorSizeStrideIS8_Lj4EEEiS8_ ; -- Begin function _ZN2at6native12_GLOBAL__N_126CatArrayBatchedCopy_contigINS1_10OpaqueTypeILj1EEEjLi1ELi128ELi1EEEvPT_NS1_25CatArrInputTensorMetadataIS5_T0_XT2_EXT3_EEENS1_16TensorSizeStrideIS8_Lj4EEEiS8_
	.p2align	8
	.type	_ZN2at6native12_GLOBAL__N_126CatArrayBatchedCopy_contigINS1_10OpaqueTypeILj1EEEjLi1ELi128ELi1EEEvPT_NS1_25CatArrInputTensorMetadataIS5_T0_XT2_EXT3_EEENS1_16TensorSizeStrideIS8_Lj4EEEiS8_,@function
_ZN2at6native12_GLOBAL__N_126CatArrayBatchedCopy_contigINS1_10OpaqueTypeILj1EEEjLi1ELi128ELi1EEEvPT_NS1_25CatArrInputTensorMetadataIS5_T0_XT2_EXT3_EEENS1_16TensorSizeStrideIS8_Lj4EEEiS8_: ; @_ZN2at6native12_GLOBAL__N_126CatArrayBatchedCopy_contigINS1_10OpaqueTypeILj1EEEjLi1ELi128ELi1EEEvPT_NS1_25CatArrInputTensorMetadataIS5_T0_XT2_EXT3_EEENS1_16TensorSizeStrideIS8_Lj4EEEiS8_
; %bb.0:
	s_mov_b32 s6, s3
	s_load_dword s3, s[0:1], 0xadc
	s_add_u32 s4, s0, 0xad0
	s_mov_b32 s7, 0
	s_addc_u32 s5, s1, 0
	s_lshl_b64 s[6:7], s[6:7], 2
	s_waitcnt lgkmcnt(0)
	s_and_b32 s9, s3, 0xffff
	s_add_u32 s10, s0, s6
	s_addc_u32 s11, s1, s7
	s_load_dword s8, s[10:11], 0x808
	s_mul_i32 s2, s2, s9
	v_add_u32_e32 v0, s2, v0
	s_add_u32 s2, s10, 8
	s_addc_u32 s3, s11, 0
	s_waitcnt lgkmcnt(0)
	v_cmp_gt_u32_e32 vcc, s8, v0
	s_and_saveexec_b64 s[10:11], vcc
	s_cbranch_execz .LBB3_3
; %bb.1:
	s_add_u32 s10, s2, s6
	s_addc_u32 s11, s3, s7
	s_sub_u32 s2, 0, s6
	s_subb_u32 s3, 0, s7
	s_add_u32 s6, s10, s2
	s_load_dword s12, s[4:5], 0x0
	s_addc_u32 s7, s11, s3
	s_load_dword s13, s[6:7], 0x400
	s_load_dword s14, s[0:1], 0xacc
	s_load_dwordx2 s[2:3], s[10:11], 0x0
	s_load_dword s15, s[0:1], 0xab8
	s_load_dwordx2 s[4:5], s[0:1], 0x0
	s_mov_b64 s[0:1], 0
	s_waitcnt lgkmcnt(0)
	s_mul_i32 s13, s13, s14
	s_mul_i32 s6, s12, s9
	v_mul_lo_u32 v1, s15, v0
	v_add_u32_e32 v1, s13, v1
	s_mul_i32 s7, s6, s15
.LBB3_2:                                ; =>This Inner Loop Header: Depth=1
	global_load_ubyte v2, v0, s[2:3]
	v_add_u32_e32 v0, s6, v0
	v_cmp_le_u32_e32 vcc, s8, v0
	s_or_b64 s[0:1], vcc, s[0:1]
	s_waitcnt vmcnt(0)
	global_store_byte v1, v2, s[4:5]
	v_add_u32_e32 v1, s7, v1
	s_andn2_b64 exec, exec, s[0:1]
	s_cbranch_execnz .LBB3_2
.LBB3_3:
	s_endpgm
	.section	.rodata,"a",@progbits
	.p2align	6, 0x0
	.amdhsa_kernel _ZN2at6native12_GLOBAL__N_126CatArrayBatchedCopy_contigINS1_10OpaqueTypeILj1EEEjLi1ELi128ELi1EEEvPT_NS1_25CatArrInputTensorMetadataIS5_T0_XT2_EXT3_EEENS1_16TensorSizeStrideIS8_Lj4EEEiS8_
		.amdhsa_group_segment_fixed_size 0
		.amdhsa_private_segment_fixed_size 0
		.amdhsa_kernarg_size 3024
		.amdhsa_user_sgpr_count 2
		.amdhsa_user_sgpr_dispatch_ptr 0
		.amdhsa_user_sgpr_queue_ptr 0
		.amdhsa_user_sgpr_kernarg_segment_ptr 1
		.amdhsa_user_sgpr_dispatch_id 0
		.amdhsa_user_sgpr_kernarg_preload_length 0
		.amdhsa_user_sgpr_kernarg_preload_offset 0
		.amdhsa_user_sgpr_private_segment_size 0
		.amdhsa_uses_dynamic_stack 0
		.amdhsa_enable_private_segment 0
		.amdhsa_system_sgpr_workgroup_id_x 1
		.amdhsa_system_sgpr_workgroup_id_y 1
		.amdhsa_system_sgpr_workgroup_id_z 0
		.amdhsa_system_sgpr_workgroup_info 0
		.amdhsa_system_vgpr_workitem_id 0
		.amdhsa_next_free_vgpr 3
		.amdhsa_next_free_sgpr 16
		.amdhsa_accum_offset 4
		.amdhsa_reserve_vcc 1
		.amdhsa_float_round_mode_32 0
		.amdhsa_float_round_mode_16_64 0
		.amdhsa_float_denorm_mode_32 3
		.amdhsa_float_denorm_mode_16_64 3
		.amdhsa_dx10_clamp 1
		.amdhsa_ieee_mode 1
		.amdhsa_fp16_overflow 0
		.amdhsa_tg_split 0
		.amdhsa_exception_fp_ieee_invalid_op 0
		.amdhsa_exception_fp_denorm_src 0
		.amdhsa_exception_fp_ieee_div_zero 0
		.amdhsa_exception_fp_ieee_overflow 0
		.amdhsa_exception_fp_ieee_underflow 0
		.amdhsa_exception_fp_ieee_inexact 0
		.amdhsa_exception_int_div_zero 0
	.end_amdhsa_kernel
	.section	.text._ZN2at6native12_GLOBAL__N_126CatArrayBatchedCopy_contigINS1_10OpaqueTypeILj1EEEjLi1ELi128ELi1EEEvPT_NS1_25CatArrInputTensorMetadataIS5_T0_XT2_EXT3_EEENS1_16TensorSizeStrideIS8_Lj4EEEiS8_,"axG",@progbits,_ZN2at6native12_GLOBAL__N_126CatArrayBatchedCopy_contigINS1_10OpaqueTypeILj1EEEjLi1ELi128ELi1EEEvPT_NS1_25CatArrInputTensorMetadataIS5_T0_XT2_EXT3_EEENS1_16TensorSizeStrideIS8_Lj4EEEiS8_,comdat
.Lfunc_end3:
	.size	_ZN2at6native12_GLOBAL__N_126CatArrayBatchedCopy_contigINS1_10OpaqueTypeILj1EEEjLi1ELi128ELi1EEEvPT_NS1_25CatArrInputTensorMetadataIS5_T0_XT2_EXT3_EEENS1_16TensorSizeStrideIS8_Lj4EEEiS8_, .Lfunc_end3-_ZN2at6native12_GLOBAL__N_126CatArrayBatchedCopy_contigINS1_10OpaqueTypeILj1EEEjLi1ELi128ELi1EEEvPT_NS1_25CatArrInputTensorMetadataIS5_T0_XT2_EXT3_EEENS1_16TensorSizeStrideIS8_Lj4EEEiS8_
                                        ; -- End function
	.set _ZN2at6native12_GLOBAL__N_126CatArrayBatchedCopy_contigINS1_10OpaqueTypeILj1EEEjLi1ELi128ELi1EEEvPT_NS1_25CatArrInputTensorMetadataIS5_T0_XT2_EXT3_EEENS1_16TensorSizeStrideIS8_Lj4EEEiS8_.num_vgpr, 3
	.set _ZN2at6native12_GLOBAL__N_126CatArrayBatchedCopy_contigINS1_10OpaqueTypeILj1EEEjLi1ELi128ELi1EEEvPT_NS1_25CatArrInputTensorMetadataIS5_T0_XT2_EXT3_EEENS1_16TensorSizeStrideIS8_Lj4EEEiS8_.num_agpr, 0
	.set _ZN2at6native12_GLOBAL__N_126CatArrayBatchedCopy_contigINS1_10OpaqueTypeILj1EEEjLi1ELi128ELi1EEEvPT_NS1_25CatArrInputTensorMetadataIS5_T0_XT2_EXT3_EEENS1_16TensorSizeStrideIS8_Lj4EEEiS8_.numbered_sgpr, 16
	.set _ZN2at6native12_GLOBAL__N_126CatArrayBatchedCopy_contigINS1_10OpaqueTypeILj1EEEjLi1ELi128ELi1EEEvPT_NS1_25CatArrInputTensorMetadataIS5_T0_XT2_EXT3_EEENS1_16TensorSizeStrideIS8_Lj4EEEiS8_.num_named_barrier, 0
	.set _ZN2at6native12_GLOBAL__N_126CatArrayBatchedCopy_contigINS1_10OpaqueTypeILj1EEEjLi1ELi128ELi1EEEvPT_NS1_25CatArrInputTensorMetadataIS5_T0_XT2_EXT3_EEENS1_16TensorSizeStrideIS8_Lj4EEEiS8_.private_seg_size, 0
	.set _ZN2at6native12_GLOBAL__N_126CatArrayBatchedCopy_contigINS1_10OpaqueTypeILj1EEEjLi1ELi128ELi1EEEvPT_NS1_25CatArrInputTensorMetadataIS5_T0_XT2_EXT3_EEENS1_16TensorSizeStrideIS8_Lj4EEEiS8_.uses_vcc, 1
	.set _ZN2at6native12_GLOBAL__N_126CatArrayBatchedCopy_contigINS1_10OpaqueTypeILj1EEEjLi1ELi128ELi1EEEvPT_NS1_25CatArrInputTensorMetadataIS5_T0_XT2_EXT3_EEENS1_16TensorSizeStrideIS8_Lj4EEEiS8_.uses_flat_scratch, 0
	.set _ZN2at6native12_GLOBAL__N_126CatArrayBatchedCopy_contigINS1_10OpaqueTypeILj1EEEjLi1ELi128ELi1EEEvPT_NS1_25CatArrInputTensorMetadataIS5_T0_XT2_EXT3_EEENS1_16TensorSizeStrideIS8_Lj4EEEiS8_.has_dyn_sized_stack, 0
	.set _ZN2at6native12_GLOBAL__N_126CatArrayBatchedCopy_contigINS1_10OpaqueTypeILj1EEEjLi1ELi128ELi1EEEvPT_NS1_25CatArrInputTensorMetadataIS5_T0_XT2_EXT3_EEENS1_16TensorSizeStrideIS8_Lj4EEEiS8_.has_recursion, 0
	.set _ZN2at6native12_GLOBAL__N_126CatArrayBatchedCopy_contigINS1_10OpaqueTypeILj1EEEjLi1ELi128ELi1EEEvPT_NS1_25CatArrInputTensorMetadataIS5_T0_XT2_EXT3_EEENS1_16TensorSizeStrideIS8_Lj4EEEiS8_.has_indirect_call, 0
	.section	.AMDGPU.csdata,"",@progbits
; Kernel info:
; codeLenInByte = 244
; TotalNumSgprs: 22
; NumVgprs: 3
; NumAgprs: 0
; TotalNumVgprs: 3
; ScratchSize: 0
; MemoryBound: 0
; FloatMode: 240
; IeeeMode: 1
; LDSByteSize: 0 bytes/workgroup (compile time only)
; SGPRBlocks: 2
; VGPRBlocks: 0
; NumSGPRsForWavesPerEU: 22
; NumVGPRsForWavesPerEU: 3
; AccumOffset: 4
; Occupancy: 8
; WaveLimiterHint : 1
; COMPUTE_PGM_RSRC2:SCRATCH_EN: 0
; COMPUTE_PGM_RSRC2:USER_SGPR: 2
; COMPUTE_PGM_RSRC2:TRAP_HANDLER: 0
; COMPUTE_PGM_RSRC2:TGID_X_EN: 1
; COMPUTE_PGM_RSRC2:TGID_Y_EN: 1
; COMPUTE_PGM_RSRC2:TGID_Z_EN: 0
; COMPUTE_PGM_RSRC2:TIDIG_COMP_CNT: 0
; COMPUTE_PGM_RSRC3_GFX90A:ACCUM_OFFSET: 0
; COMPUTE_PGM_RSRC3_GFX90A:TG_SPLIT: 0
	.section	.text._ZN2at6native12_GLOBAL__N_119CatArrayBatchedCopyINS1_10OpaqueTypeILj1EEEjLi1ELi128ELi1EEEvPT_NS1_25CatArrInputTensorMetadataIS5_T0_XT2_EXT3_EEENS1_16TensorSizeStrideIS8_Lj4EEEiS8_,"axG",@progbits,_ZN2at6native12_GLOBAL__N_119CatArrayBatchedCopyINS1_10OpaqueTypeILj1EEEjLi1ELi128ELi1EEEvPT_NS1_25CatArrInputTensorMetadataIS5_T0_XT2_EXT3_EEENS1_16TensorSizeStrideIS8_Lj4EEEiS8_,comdat
	.globl	_ZN2at6native12_GLOBAL__N_119CatArrayBatchedCopyINS1_10OpaqueTypeILj1EEEjLi1ELi128ELi1EEEvPT_NS1_25CatArrInputTensorMetadataIS5_T0_XT2_EXT3_EEENS1_16TensorSizeStrideIS8_Lj4EEEiS8_ ; -- Begin function _ZN2at6native12_GLOBAL__N_119CatArrayBatchedCopyINS1_10OpaqueTypeILj1EEEjLi1ELi128ELi1EEEvPT_NS1_25CatArrInputTensorMetadataIS5_T0_XT2_EXT3_EEENS1_16TensorSizeStrideIS8_Lj4EEEiS8_
	.p2align	8
	.type	_ZN2at6native12_GLOBAL__N_119CatArrayBatchedCopyINS1_10OpaqueTypeILj1EEEjLi1ELi128ELi1EEEvPT_NS1_25CatArrInputTensorMetadataIS5_T0_XT2_EXT3_EEENS1_16TensorSizeStrideIS8_Lj4EEEiS8_,@function
_ZN2at6native12_GLOBAL__N_119CatArrayBatchedCopyINS1_10OpaqueTypeILj1EEEjLi1ELi128ELi1EEEvPT_NS1_25CatArrInputTensorMetadataIS5_T0_XT2_EXT3_EEENS1_16TensorSizeStrideIS8_Lj4EEEiS8_: ; @_ZN2at6native12_GLOBAL__N_119CatArrayBatchedCopyINS1_10OpaqueTypeILj1EEEjLi1ELi128ELi1EEEvPT_NS1_25CatArrInputTensorMetadataIS5_T0_XT2_EXT3_EEENS1_16TensorSizeStrideIS8_Lj4EEEiS8_
; %bb.0:
	s_mov_b32 s4, s3
	s_load_dword s3, s[0:1], 0xadc
	s_or_b32 s10, s0, 8
	s_add_u32 s8, s0, 0xad0
	s_mov_b32 s5, 0
	s_addc_u32 s9, s1, 0
	s_waitcnt lgkmcnt(0)
	s_and_b32 s13, s3, 0xffff
	s_lshl_b64 s[6:7], s[4:5], 2
	s_add_u32 s14, s10, s6
	s_addc_u32 s15, s1, s7
	s_load_dword s12, s[14:15], 0x800
	s_mul_i32 s2, s2, s13
	v_add_u32_e32 v0, s2, v0
	s_waitcnt lgkmcnt(0)
	v_cmp_gt_u32_e32 vcc, s12, v0
	s_and_saveexec_b64 s[2:3], vcc
	s_cbranch_execz .LBB4_3
; %bb.1:
	s_add_u32 s14, s10, s4
	s_addc_u32 s15, s1, 0
	v_mov_b32_e32 v1, 0
	global_load_ubyte v1, v1, s[14:15] offset:2560
	s_mov_b32 s11, s1
	s_load_dword s5, s[8:9], 0x0
	s_load_dword s16, s[0:1], 0xacc
	;; [unrolled: 1-line block ×3, first 2 shown]
	s_load_dwordx2 s[2:3], s[0:1], 0x0
	s_load_dword s18, s[0:1], 0xab8
	s_waitcnt lgkmcnt(0)
	s_mul_i32 s8, s5, s13
	s_mul_hi_u32 s9, s4, 7
	s_mul_i32 s4, s4, 7
	s_mov_b64 s[0:1], 0
	v_mul_lo_u32 v2, s18, v0
	s_waitcnt vmcnt(0)
	v_readfirstlane_b32 s5, v1
	s_and_b32 s13, 1, s5
	s_add_u32 s10, s14, s4
	s_addc_u32 s11, s15, s9
	s_sub_u32 s4, 0, s6
	s_subb_u32 s5, 0, s7
	s_add_u32 s6, s10, s4
	s_addc_u32 s7, s11, s5
	s_load_dwordx2 s[4:5], s[10:11], 0x0
	s_load_dword s9, s[6:7], 0x400
	s_cmp_eq_u32 s13, 1
	s_cselect_b32 s6, 1, s17
	v_mul_lo_u32 v1, s6, v0
	s_mul_i32 s6, s8, s6
	s_waitcnt lgkmcnt(0)
	s_mul_i32 s9, s9, s16
	v_add_u32_e32 v2, s9, v2
	s_mul_i32 s7, s8, s18
.LBB4_2:                                ; =>This Inner Loop Header: Depth=1
	global_load_ubyte v3, v1, s[4:5]
	v_add_u32_e32 v0, s8, v0
	v_cmp_le_u32_e32 vcc, s12, v0
	v_add_u32_e32 v1, s6, v1
	s_or_b64 s[0:1], vcc, s[0:1]
	s_waitcnt vmcnt(0)
	global_store_byte v2, v3, s[2:3]
	v_add_u32_e32 v2, s7, v2
	s_andn2_b64 exec, exec, s[0:1]
	s_cbranch_execnz .LBB4_2
.LBB4_3:
	s_endpgm
	.section	.rodata,"a",@progbits
	.p2align	6, 0x0
	.amdhsa_kernel _ZN2at6native12_GLOBAL__N_119CatArrayBatchedCopyINS1_10OpaqueTypeILj1EEEjLi1ELi128ELi1EEEvPT_NS1_25CatArrInputTensorMetadataIS5_T0_XT2_EXT3_EEENS1_16TensorSizeStrideIS8_Lj4EEEiS8_
		.amdhsa_group_segment_fixed_size 0
		.amdhsa_private_segment_fixed_size 0
		.amdhsa_kernarg_size 3024
		.amdhsa_user_sgpr_count 2
		.amdhsa_user_sgpr_dispatch_ptr 0
		.amdhsa_user_sgpr_queue_ptr 0
		.amdhsa_user_sgpr_kernarg_segment_ptr 1
		.amdhsa_user_sgpr_dispatch_id 0
		.amdhsa_user_sgpr_kernarg_preload_length 0
		.amdhsa_user_sgpr_kernarg_preload_offset 0
		.amdhsa_user_sgpr_private_segment_size 0
		.amdhsa_uses_dynamic_stack 0
		.amdhsa_enable_private_segment 0
		.amdhsa_system_sgpr_workgroup_id_x 1
		.amdhsa_system_sgpr_workgroup_id_y 1
		.amdhsa_system_sgpr_workgroup_id_z 0
		.amdhsa_system_sgpr_workgroup_info 0
		.amdhsa_system_vgpr_workitem_id 0
		.amdhsa_next_free_vgpr 4
		.amdhsa_next_free_sgpr 19
		.amdhsa_accum_offset 4
		.amdhsa_reserve_vcc 1
		.amdhsa_float_round_mode_32 0
		.amdhsa_float_round_mode_16_64 0
		.amdhsa_float_denorm_mode_32 3
		.amdhsa_float_denorm_mode_16_64 3
		.amdhsa_dx10_clamp 1
		.amdhsa_ieee_mode 1
		.amdhsa_fp16_overflow 0
		.amdhsa_tg_split 0
		.amdhsa_exception_fp_ieee_invalid_op 0
		.amdhsa_exception_fp_denorm_src 0
		.amdhsa_exception_fp_ieee_div_zero 0
		.amdhsa_exception_fp_ieee_overflow 0
		.amdhsa_exception_fp_ieee_underflow 0
		.amdhsa_exception_fp_ieee_inexact 0
		.amdhsa_exception_int_div_zero 0
	.end_amdhsa_kernel
	.section	.text._ZN2at6native12_GLOBAL__N_119CatArrayBatchedCopyINS1_10OpaqueTypeILj1EEEjLi1ELi128ELi1EEEvPT_NS1_25CatArrInputTensorMetadataIS5_T0_XT2_EXT3_EEENS1_16TensorSizeStrideIS8_Lj4EEEiS8_,"axG",@progbits,_ZN2at6native12_GLOBAL__N_119CatArrayBatchedCopyINS1_10OpaqueTypeILj1EEEjLi1ELi128ELi1EEEvPT_NS1_25CatArrInputTensorMetadataIS5_T0_XT2_EXT3_EEENS1_16TensorSizeStrideIS8_Lj4EEEiS8_,comdat
.Lfunc_end4:
	.size	_ZN2at6native12_GLOBAL__N_119CatArrayBatchedCopyINS1_10OpaqueTypeILj1EEEjLi1ELi128ELi1EEEvPT_NS1_25CatArrInputTensorMetadataIS5_T0_XT2_EXT3_EEENS1_16TensorSizeStrideIS8_Lj4EEEiS8_, .Lfunc_end4-_ZN2at6native12_GLOBAL__N_119CatArrayBatchedCopyINS1_10OpaqueTypeILj1EEEjLi1ELi128ELi1EEEvPT_NS1_25CatArrInputTensorMetadataIS5_T0_XT2_EXT3_EEENS1_16TensorSizeStrideIS8_Lj4EEEiS8_
                                        ; -- End function
	.set _ZN2at6native12_GLOBAL__N_119CatArrayBatchedCopyINS1_10OpaqueTypeILj1EEEjLi1ELi128ELi1EEEvPT_NS1_25CatArrInputTensorMetadataIS5_T0_XT2_EXT3_EEENS1_16TensorSizeStrideIS8_Lj4EEEiS8_.num_vgpr, 4
	.set _ZN2at6native12_GLOBAL__N_119CatArrayBatchedCopyINS1_10OpaqueTypeILj1EEEjLi1ELi128ELi1EEEvPT_NS1_25CatArrInputTensorMetadataIS5_T0_XT2_EXT3_EEENS1_16TensorSizeStrideIS8_Lj4EEEiS8_.num_agpr, 0
	.set _ZN2at6native12_GLOBAL__N_119CatArrayBatchedCopyINS1_10OpaqueTypeILj1EEEjLi1ELi128ELi1EEEvPT_NS1_25CatArrInputTensorMetadataIS5_T0_XT2_EXT3_EEENS1_16TensorSizeStrideIS8_Lj4EEEiS8_.numbered_sgpr, 19
	.set _ZN2at6native12_GLOBAL__N_119CatArrayBatchedCopyINS1_10OpaqueTypeILj1EEEjLi1ELi128ELi1EEEvPT_NS1_25CatArrInputTensorMetadataIS5_T0_XT2_EXT3_EEENS1_16TensorSizeStrideIS8_Lj4EEEiS8_.num_named_barrier, 0
	.set _ZN2at6native12_GLOBAL__N_119CatArrayBatchedCopyINS1_10OpaqueTypeILj1EEEjLi1ELi128ELi1EEEvPT_NS1_25CatArrInputTensorMetadataIS5_T0_XT2_EXT3_EEENS1_16TensorSizeStrideIS8_Lj4EEEiS8_.private_seg_size, 0
	.set _ZN2at6native12_GLOBAL__N_119CatArrayBatchedCopyINS1_10OpaqueTypeILj1EEEjLi1ELi128ELi1EEEvPT_NS1_25CatArrInputTensorMetadataIS5_T0_XT2_EXT3_EEENS1_16TensorSizeStrideIS8_Lj4EEEiS8_.uses_vcc, 1
	.set _ZN2at6native12_GLOBAL__N_119CatArrayBatchedCopyINS1_10OpaqueTypeILj1EEEjLi1ELi128ELi1EEEvPT_NS1_25CatArrInputTensorMetadataIS5_T0_XT2_EXT3_EEENS1_16TensorSizeStrideIS8_Lj4EEEiS8_.uses_flat_scratch, 0
	.set _ZN2at6native12_GLOBAL__N_119CatArrayBatchedCopyINS1_10OpaqueTypeILj1EEEjLi1ELi128ELi1EEEvPT_NS1_25CatArrInputTensorMetadataIS5_T0_XT2_EXT3_EEENS1_16TensorSizeStrideIS8_Lj4EEEiS8_.has_dyn_sized_stack, 0
	.set _ZN2at6native12_GLOBAL__N_119CatArrayBatchedCopyINS1_10OpaqueTypeILj1EEEjLi1ELi128ELi1EEEvPT_NS1_25CatArrInputTensorMetadataIS5_T0_XT2_EXT3_EEENS1_16TensorSizeStrideIS8_Lj4EEEiS8_.has_recursion, 0
	.set _ZN2at6native12_GLOBAL__N_119CatArrayBatchedCopyINS1_10OpaqueTypeILj1EEEjLi1ELi128ELi1EEEvPT_NS1_25CatArrInputTensorMetadataIS5_T0_XT2_EXT3_EEENS1_16TensorSizeStrideIS8_Lj4EEEiS8_.has_indirect_call, 0
	.section	.AMDGPU.csdata,"",@progbits
; Kernel info:
; codeLenInByte = 320
; TotalNumSgprs: 25
; NumVgprs: 4
; NumAgprs: 0
; TotalNumVgprs: 4
; ScratchSize: 0
; MemoryBound: 0
; FloatMode: 240
; IeeeMode: 1
; LDSByteSize: 0 bytes/workgroup (compile time only)
; SGPRBlocks: 3
; VGPRBlocks: 0
; NumSGPRsForWavesPerEU: 25
; NumVGPRsForWavesPerEU: 4
; AccumOffset: 4
; Occupancy: 8
; WaveLimiterHint : 1
; COMPUTE_PGM_RSRC2:SCRATCH_EN: 0
; COMPUTE_PGM_RSRC2:USER_SGPR: 2
; COMPUTE_PGM_RSRC2:TRAP_HANDLER: 0
; COMPUTE_PGM_RSRC2:TGID_X_EN: 1
; COMPUTE_PGM_RSRC2:TGID_Y_EN: 1
; COMPUTE_PGM_RSRC2:TGID_Z_EN: 0
; COMPUTE_PGM_RSRC2:TIDIG_COMP_CNT: 0
; COMPUTE_PGM_RSRC3_GFX90A:ACCUM_OFFSET: 0
; COMPUTE_PGM_RSRC3_GFX90A:TG_SPLIT: 0
	.section	.text._ZN2at6native12_GLOBAL__N_130CatArrayBatchedCopy_vectorizedINS1_10OpaqueTypeILj1EEEjLi2ELi128ELi1ELi16ELi16EEEvPcNS1_25CatArrInputTensorMetadataIT_T0_XT2_EXT3_EEENS1_16TensorSizeStrideIS8_Lj4EEEiS8_,"axG",@progbits,_ZN2at6native12_GLOBAL__N_130CatArrayBatchedCopy_vectorizedINS1_10OpaqueTypeILj1EEEjLi2ELi128ELi1ELi16ELi16EEEvPcNS1_25CatArrInputTensorMetadataIT_T0_XT2_EXT3_EEENS1_16TensorSizeStrideIS8_Lj4EEEiS8_,comdat
	.globl	_ZN2at6native12_GLOBAL__N_130CatArrayBatchedCopy_vectorizedINS1_10OpaqueTypeILj1EEEjLi2ELi128ELi1ELi16ELi16EEEvPcNS1_25CatArrInputTensorMetadataIT_T0_XT2_EXT3_EEENS1_16TensorSizeStrideIS8_Lj4EEEiS8_ ; -- Begin function _ZN2at6native12_GLOBAL__N_130CatArrayBatchedCopy_vectorizedINS1_10OpaqueTypeILj1EEEjLi2ELi128ELi1ELi16ELi16EEEvPcNS1_25CatArrInputTensorMetadataIT_T0_XT2_EXT3_EEENS1_16TensorSizeStrideIS8_Lj4EEEiS8_
	.p2align	8
	.type	_ZN2at6native12_GLOBAL__N_130CatArrayBatchedCopy_vectorizedINS1_10OpaqueTypeILj1EEEjLi2ELi128ELi1ELi16ELi16EEEvPcNS1_25CatArrInputTensorMetadataIT_T0_XT2_EXT3_EEENS1_16TensorSizeStrideIS8_Lj4EEEiS8_,@function
_ZN2at6native12_GLOBAL__N_130CatArrayBatchedCopy_vectorizedINS1_10OpaqueTypeILj1EEEjLi2ELi128ELi1ELi16ELi16EEEvPcNS1_25CatArrInputTensorMetadataIT_T0_XT2_EXT3_EEENS1_16TensorSizeStrideIS8_Lj4EEEiS8_: ; @_ZN2at6native12_GLOBAL__N_130CatArrayBatchedCopy_vectorizedINS1_10OpaqueTypeILj1EEEjLi2ELi128ELi1ELi16ELi16EEEvPcNS1_25CatArrInputTensorMetadataIT_T0_XT2_EXT3_EEENS1_16TensorSizeStrideIS8_Lj4EEEiS8_
; %bb.0:
	s_mov_b32 s6, s3
	s_load_dword s3, s[0:1], 0xadc
	s_add_u32 s4, s0, 0xad0
	s_mov_b32 s7, 0
	s_addc_u32 s5, s1, 0
	s_lshl_b64 s[6:7], s[6:7], 2
	s_waitcnt lgkmcnt(0)
	s_and_b32 s10, s3, 0xffff
	s_add_u32 s8, s0, s6
	s_addc_u32 s9, s1, s7
	s_load_dword s11, s[8:9], 0x808
	s_mul_i32 s2, s2, s10
	v_add_u32_e32 v0, s2, v0
	s_add_u32 s2, s8, 8
	s_addc_u32 s3, s9, 0
	s_waitcnt lgkmcnt(0)
	s_lshr_b32 s8, s11, 4
	v_cmp_gt_u32_e32 vcc, s8, v0
	s_and_saveexec_b64 s[12:13], vcc
	s_cbranch_execz .LBB5_3
; %bb.1:
	s_add_u32 s14, s2, s6
	s_addc_u32 s15, s3, s7
	s_sub_u32 s2, 0, s6
	s_subb_u32 s3, 0, s7
	s_load_dwordx2 s[12:13], s[0:1], 0xac8
	s_add_u32 s6, s14, s2
	s_addc_u32 s7, s15, s3
	s_load_dword s9, s[6:7], 0x400
	s_load_dword s11, s[6:7], 0x600
	s_load_dwordx2 s[2:3], s[0:1], 0xab8
	s_load_dword s16, s[0:1], 0xaac
	s_waitcnt lgkmcnt(0)
	s_mul_i32 s9, s9, s13
	s_mul_i32 s11, s11, s13
	s_and_b32 s17, s9, -16
	s_lshr_b32 s6, s11, 4
	s_cmp_eq_u32 s12, 1
	s_cselect_b32 s9, s6, s16
	v_cvt_f32_u32_e32 v1, s9
	s_load_dword s11, s[4:5], 0x0
	s_load_dwordx2 s[6:7], s[0:1], 0x0
	s_mov_b64 s[4:5], 0
	s_load_dwordx2 s[0:1], s[14:15], 0x0
	v_rcp_iflag_f32_e32 v1, v1
	s_waitcnt lgkmcnt(0)
	s_mul_i32 s10, s11, s10
	s_add_u32 s6, s6, s17
	s_addc_u32 s7, s7, 0
	v_mul_f32_e32 v1, 0x4f7ffffe, v1
	v_cvt_u32_f32_e32 v1, v1
	s_sub_i32 s11, 0, s9
	v_mul_lo_u32 v2, s11, v1
	v_mul_hi_u32 v2, v1, v2
	v_add_u32_e32 v2, v1, v2
	v_mov_b32_e32 v1, 0
.LBB5_2:                                ; =>This Inner Loop Header: Depth=1
	v_lshl_add_u64 v[4:5], v[0:1], 4, s[0:1]
	global_load_dwordx4 v[4:7], v[4:5], off
	v_mul_hi_u32 v3, v2, v0
	v_mul_lo_u32 v8, s9, v3
	v_not_b32_e32 v9, v3
	v_sub_u32_e32 v11, v0, v8
	v_add_u32_e32 v10, 1, v3
	v_mad_u64_u32 v[8:9], s[12:13], s9, v9, v[0:1]
	v_cmp_le_u32_e32 vcc, s9, v11
	s_nop 1
	v_cndmask_b32_e32 v3, v3, v10, vcc
	v_cndmask_b32_e32 v8, v11, v8, vcc
	v_add_u32_e32 v9, 1, v3
	v_cmp_le_u32_e32 vcc, s9, v8
	s_nop 1
	v_cndmask_b32_e32 v3, v3, v9, vcc
	v_mad_u64_u32 v[8:9], s[12:13], s11, v3, v[0:1]
	v_mul_lo_u32 v10, v3, s2
	v_add_u32_e32 v0, s10, v0
	v_mad_u64_u32 v[8:9], s[12:13], v8, s3, v[10:11]
	v_cmp_le_u32_e32 vcc, s8, v0
	v_mov_b32_e32 v9, v1
	s_or_b64 s[4:5], vcc, s[4:5]
	v_lshl_add_u64 v[8:9], v[8:9], 4, s[6:7]
	s_waitcnt vmcnt(0)
	global_store_dwordx4 v[8:9], v[4:7], off
	s_andn2_b64 exec, exec, s[4:5]
	s_cbranch_execnz .LBB5_2
.LBB5_3:
	s_endpgm
	.section	.rodata,"a",@progbits
	.p2align	6, 0x0
	.amdhsa_kernel _ZN2at6native12_GLOBAL__N_130CatArrayBatchedCopy_vectorizedINS1_10OpaqueTypeILj1EEEjLi2ELi128ELi1ELi16ELi16EEEvPcNS1_25CatArrInputTensorMetadataIT_T0_XT2_EXT3_EEENS1_16TensorSizeStrideIS8_Lj4EEEiS8_
		.amdhsa_group_segment_fixed_size 0
		.amdhsa_private_segment_fixed_size 0
		.amdhsa_kernarg_size 3024
		.amdhsa_user_sgpr_count 2
		.amdhsa_user_sgpr_dispatch_ptr 0
		.amdhsa_user_sgpr_queue_ptr 0
		.amdhsa_user_sgpr_kernarg_segment_ptr 1
		.amdhsa_user_sgpr_dispatch_id 0
		.amdhsa_user_sgpr_kernarg_preload_length 0
		.amdhsa_user_sgpr_kernarg_preload_offset 0
		.amdhsa_user_sgpr_private_segment_size 0
		.amdhsa_uses_dynamic_stack 0
		.amdhsa_enable_private_segment 0
		.amdhsa_system_sgpr_workgroup_id_x 1
		.amdhsa_system_sgpr_workgroup_id_y 1
		.amdhsa_system_sgpr_workgroup_id_z 0
		.amdhsa_system_sgpr_workgroup_info 0
		.amdhsa_system_vgpr_workitem_id 0
		.amdhsa_next_free_vgpr 12
		.amdhsa_next_free_sgpr 18
		.amdhsa_accum_offset 12
		.amdhsa_reserve_vcc 1
		.amdhsa_float_round_mode_32 0
		.amdhsa_float_round_mode_16_64 0
		.amdhsa_float_denorm_mode_32 3
		.amdhsa_float_denorm_mode_16_64 3
		.amdhsa_dx10_clamp 1
		.amdhsa_ieee_mode 1
		.amdhsa_fp16_overflow 0
		.amdhsa_tg_split 0
		.amdhsa_exception_fp_ieee_invalid_op 0
		.amdhsa_exception_fp_denorm_src 0
		.amdhsa_exception_fp_ieee_div_zero 0
		.amdhsa_exception_fp_ieee_overflow 0
		.amdhsa_exception_fp_ieee_underflow 0
		.amdhsa_exception_fp_ieee_inexact 0
		.amdhsa_exception_int_div_zero 0
	.end_amdhsa_kernel
	.section	.text._ZN2at6native12_GLOBAL__N_130CatArrayBatchedCopy_vectorizedINS1_10OpaqueTypeILj1EEEjLi2ELi128ELi1ELi16ELi16EEEvPcNS1_25CatArrInputTensorMetadataIT_T0_XT2_EXT3_EEENS1_16TensorSizeStrideIS8_Lj4EEEiS8_,"axG",@progbits,_ZN2at6native12_GLOBAL__N_130CatArrayBatchedCopy_vectorizedINS1_10OpaqueTypeILj1EEEjLi2ELi128ELi1ELi16ELi16EEEvPcNS1_25CatArrInputTensorMetadataIT_T0_XT2_EXT3_EEENS1_16TensorSizeStrideIS8_Lj4EEEiS8_,comdat
.Lfunc_end5:
	.size	_ZN2at6native12_GLOBAL__N_130CatArrayBatchedCopy_vectorizedINS1_10OpaqueTypeILj1EEEjLi2ELi128ELi1ELi16ELi16EEEvPcNS1_25CatArrInputTensorMetadataIT_T0_XT2_EXT3_EEENS1_16TensorSizeStrideIS8_Lj4EEEiS8_, .Lfunc_end5-_ZN2at6native12_GLOBAL__N_130CatArrayBatchedCopy_vectorizedINS1_10OpaqueTypeILj1EEEjLi2ELi128ELi1ELi16ELi16EEEvPcNS1_25CatArrInputTensorMetadataIT_T0_XT2_EXT3_EEENS1_16TensorSizeStrideIS8_Lj4EEEiS8_
                                        ; -- End function
	.set _ZN2at6native12_GLOBAL__N_130CatArrayBatchedCopy_vectorizedINS1_10OpaqueTypeILj1EEEjLi2ELi128ELi1ELi16ELi16EEEvPcNS1_25CatArrInputTensorMetadataIT_T0_XT2_EXT3_EEENS1_16TensorSizeStrideIS8_Lj4EEEiS8_.num_vgpr, 12
	.set _ZN2at6native12_GLOBAL__N_130CatArrayBatchedCopy_vectorizedINS1_10OpaqueTypeILj1EEEjLi2ELi128ELi1ELi16ELi16EEEvPcNS1_25CatArrInputTensorMetadataIT_T0_XT2_EXT3_EEENS1_16TensorSizeStrideIS8_Lj4EEEiS8_.num_agpr, 0
	.set _ZN2at6native12_GLOBAL__N_130CatArrayBatchedCopy_vectorizedINS1_10OpaqueTypeILj1EEEjLi2ELi128ELi1ELi16ELi16EEEvPcNS1_25CatArrInputTensorMetadataIT_T0_XT2_EXT3_EEENS1_16TensorSizeStrideIS8_Lj4EEEiS8_.numbered_sgpr, 18
	.set _ZN2at6native12_GLOBAL__N_130CatArrayBatchedCopy_vectorizedINS1_10OpaqueTypeILj1EEEjLi2ELi128ELi1ELi16ELi16EEEvPcNS1_25CatArrInputTensorMetadataIT_T0_XT2_EXT3_EEENS1_16TensorSizeStrideIS8_Lj4EEEiS8_.num_named_barrier, 0
	.set _ZN2at6native12_GLOBAL__N_130CatArrayBatchedCopy_vectorizedINS1_10OpaqueTypeILj1EEEjLi2ELi128ELi1ELi16ELi16EEEvPcNS1_25CatArrInputTensorMetadataIT_T0_XT2_EXT3_EEENS1_16TensorSizeStrideIS8_Lj4EEEiS8_.private_seg_size, 0
	.set _ZN2at6native12_GLOBAL__N_130CatArrayBatchedCopy_vectorizedINS1_10OpaqueTypeILj1EEEjLi2ELi128ELi1ELi16ELi16EEEvPcNS1_25CatArrInputTensorMetadataIT_T0_XT2_EXT3_EEENS1_16TensorSizeStrideIS8_Lj4EEEiS8_.uses_vcc, 1
	.set _ZN2at6native12_GLOBAL__N_130CatArrayBatchedCopy_vectorizedINS1_10OpaqueTypeILj1EEEjLi2ELi128ELi1ELi16ELi16EEEvPcNS1_25CatArrInputTensorMetadataIT_T0_XT2_EXT3_EEENS1_16TensorSizeStrideIS8_Lj4EEEiS8_.uses_flat_scratch, 0
	.set _ZN2at6native12_GLOBAL__N_130CatArrayBatchedCopy_vectorizedINS1_10OpaqueTypeILj1EEEjLi2ELi128ELi1ELi16ELi16EEEvPcNS1_25CatArrInputTensorMetadataIT_T0_XT2_EXT3_EEENS1_16TensorSizeStrideIS8_Lj4EEEiS8_.has_dyn_sized_stack, 0
	.set _ZN2at6native12_GLOBAL__N_130CatArrayBatchedCopy_vectorizedINS1_10OpaqueTypeILj1EEEjLi2ELi128ELi1ELi16ELi16EEEvPcNS1_25CatArrInputTensorMetadataIT_T0_XT2_EXT3_EEENS1_16TensorSizeStrideIS8_Lj4EEEiS8_.has_recursion, 0
	.set _ZN2at6native12_GLOBAL__N_130CatArrayBatchedCopy_vectorizedINS1_10OpaqueTypeILj1EEEjLi2ELi128ELi1ELi16ELi16EEEvPcNS1_25CatArrInputTensorMetadataIT_T0_XT2_EXT3_EEENS1_16TensorSizeStrideIS8_Lj4EEEiS8_.has_indirect_call, 0
	.section	.AMDGPU.csdata,"",@progbits
; Kernel info:
; codeLenInByte = 436
; TotalNumSgprs: 24
; NumVgprs: 12
; NumAgprs: 0
; TotalNumVgprs: 12
; ScratchSize: 0
; MemoryBound: 0
; FloatMode: 240
; IeeeMode: 1
; LDSByteSize: 0 bytes/workgroup (compile time only)
; SGPRBlocks: 2
; VGPRBlocks: 1
; NumSGPRsForWavesPerEU: 24
; NumVGPRsForWavesPerEU: 12
; AccumOffset: 12
; Occupancy: 8
; WaveLimiterHint : 1
; COMPUTE_PGM_RSRC2:SCRATCH_EN: 0
; COMPUTE_PGM_RSRC2:USER_SGPR: 2
; COMPUTE_PGM_RSRC2:TRAP_HANDLER: 0
; COMPUTE_PGM_RSRC2:TGID_X_EN: 1
; COMPUTE_PGM_RSRC2:TGID_Y_EN: 1
; COMPUTE_PGM_RSRC2:TGID_Z_EN: 0
; COMPUTE_PGM_RSRC2:TIDIG_COMP_CNT: 0
; COMPUTE_PGM_RSRC3_GFX90A:ACCUM_OFFSET: 2
; COMPUTE_PGM_RSRC3_GFX90A:TG_SPLIT: 0
	.section	.text._ZN2at6native12_GLOBAL__N_135CatArrayBatchedCopy_alignedK_contigINS1_10OpaqueTypeILj1EEEjLi2ELi128ELi1ELi16EEEvPT_NS1_25CatArrInputTensorMetadataIS5_T0_XT2_EXT3_EEENS1_16TensorSizeStrideIS8_Lj4EEEiS8_,"axG",@progbits,_ZN2at6native12_GLOBAL__N_135CatArrayBatchedCopy_alignedK_contigINS1_10OpaqueTypeILj1EEEjLi2ELi128ELi1ELi16EEEvPT_NS1_25CatArrInputTensorMetadataIS5_T0_XT2_EXT3_EEENS1_16TensorSizeStrideIS8_Lj4EEEiS8_,comdat
	.globl	_ZN2at6native12_GLOBAL__N_135CatArrayBatchedCopy_alignedK_contigINS1_10OpaqueTypeILj1EEEjLi2ELi128ELi1ELi16EEEvPT_NS1_25CatArrInputTensorMetadataIS5_T0_XT2_EXT3_EEENS1_16TensorSizeStrideIS8_Lj4EEEiS8_ ; -- Begin function _ZN2at6native12_GLOBAL__N_135CatArrayBatchedCopy_alignedK_contigINS1_10OpaqueTypeILj1EEEjLi2ELi128ELi1ELi16EEEvPT_NS1_25CatArrInputTensorMetadataIS5_T0_XT2_EXT3_EEENS1_16TensorSizeStrideIS8_Lj4EEEiS8_
	.p2align	8
	.type	_ZN2at6native12_GLOBAL__N_135CatArrayBatchedCopy_alignedK_contigINS1_10OpaqueTypeILj1EEEjLi2ELi128ELi1ELi16EEEvPT_NS1_25CatArrInputTensorMetadataIS5_T0_XT2_EXT3_EEENS1_16TensorSizeStrideIS8_Lj4EEEiS8_,@function
_ZN2at6native12_GLOBAL__N_135CatArrayBatchedCopy_alignedK_contigINS1_10OpaqueTypeILj1EEEjLi2ELi128ELi1ELi16EEEvPT_NS1_25CatArrInputTensorMetadataIS5_T0_XT2_EXT3_EEENS1_16TensorSizeStrideIS8_Lj4EEEiS8_: ; @_ZN2at6native12_GLOBAL__N_135CatArrayBatchedCopy_alignedK_contigINS1_10OpaqueTypeILj1EEEjLi2ELi128ELi1ELi16EEEvPT_NS1_25CatArrInputTensorMetadataIS5_T0_XT2_EXT3_EEENS1_16TensorSizeStrideIS8_Lj4EEEiS8_
; %bb.0:
	s_mov_b32 s6, s3
	s_load_dword s3, s[0:1], 0xadc
	s_add_u32 s4, s0, 0xad0
	s_mov_b32 s7, 0
	s_addc_u32 s5, s1, 0
	s_lshl_b64 s[6:7], s[6:7], 2
	s_waitcnt lgkmcnt(0)
	s_and_b32 s3, s3, 0xffff
	s_add_u32 s8, s0, s6
	s_addc_u32 s9, s1, s7
	s_load_dword s33, s[8:9], 0x808
	s_mul_i32 s2, s2, s3
	v_add_lshl_u32 v0, s2, v0, 4
	s_add_u32 s2, s8, 8
	s_addc_u32 s8, s9, 0
	s_waitcnt lgkmcnt(0)
	v_cmp_gt_u32_e32 vcc, s33, v0
	s_and_saveexec_b64 s[10:11], vcc
	s_cbranch_execz .LBB6_8
; %bb.1:
	s_add_u32 s10, s2, s6
	s_addc_u32 s11, s8, s7
	s_sub_u32 s2, 0, s6
	s_subb_u32 s7, 0, s7
	s_add_u32 s6, s10, s2
	s_addc_u32 s7, s11, s7
	s_load_dword s2, s[6:7], 0x400
	s_load_dwordx2 s[30:31], s[0:1], 0x0
	s_load_dwordx2 s[38:39], s[0:1], 0xac8
	s_load_dword s44, s[0:1], 0xaac
	s_load_dwordx2 s[34:35], s[0:1], 0xab8
	s_load_dwordx2 s[36:37], s[10:11], 0x0
	s_load_dword s45, s[6:7], 0x600
	v_add_u32_e32 v1, 16, v0
	s_mov_b64 s[40:41], 0
	s_waitcnt lgkmcnt(0)
	s_mul_i32 s39, s2, s39
	v_cmp_ge_u32_e32 vcc, s33, v1
	s_and_saveexec_b64 s[42:43], vcc
	s_cbranch_execz .LBB6_5
; %bb.2:
	s_load_dword s0, s[4:5], 0x0
	v_add_u32_e32 v1, 15, v0
	v_add_u32_e32 v3, 14, v0
	;; [unrolled: 1-line block ×4, first 2 shown]
	s_waitcnt lgkmcnt(0)
	s_mul_i32 s0, s0, s3
	s_lshl_b32 s46, s0, 4
	s_cmp_eq_u32 s38, 1
	s_cselect_b32 s47, s45, s44
	v_cvt_f32_u32_e32 v2, s47
	s_sub_i32 s48, 0, s47
	v_add_u32_e32 v9, 11, v0
	v_add_u32_e32 v11, 10, v0
	v_rcp_iflag_f32_e32 v2, v2
	v_add_u32_e32 v13, 9, v0
	v_add_u32_e32 v15, 8, v0
	;; [unrolled: 1-line block ×3, first 2 shown]
	v_mul_f32_e32 v2, 0x4f7ffffe, v2
	v_cvt_u32_f32_e32 v2, v2
	v_add_u32_e32 v19, 6, v0
	v_add_u32_e32 v21, 5, v0
	;; [unrolled: 1-line block ×3, first 2 shown]
	v_mul_lo_u32 v4, s48, v2
	v_mul_hi_u32 v4, v2, v4
	v_add_u32_e32 v25, v2, v4
	v_add_u32_e32 v27, 3, v0
	;; [unrolled: 1-line block ×4, first 2 shown]
.LBB6_3:                                ; =>This Inner Loop Header: Depth=1
	v_mul_hi_u32 v32, v25, v0
	v_not_b32_e32 v43, v32
	v_mad_u64_u32 v[44:45], s[0:1], s48, v32, v[0:1]
	v_mul_hi_u32 v42, v25, v31
	v_mad_u64_u32 v[46:47], s[0:1], s47, v43, v[0:1]
	v_cmp_le_u32_e32 vcc, s47, v44
	v_add_u32_e32 v26, 1, v0
	v_mul_hi_u32 v41, v25, v29
	v_cndmask_b32_e32 v46, v44, v46, vcc
	v_not_b32_e32 v44, v42
	v_mad_u64_u32 v[42:43], s[0:1], s48, v42, v[26:27]
	v_mad_u64_u32 v[44:45], s[0:1], s47, v44, v[26:27]
	v_cmp_le_u32_e64 s[0:1], s47, v42
	v_add_u32_e32 v2, 2, v0
	v_mul_hi_u32 v40, v25, v27
	v_cndmask_b32_e64 v47, v42, v44, s[0:1]
	v_not_b32_e32 v44, v41
	v_mad_u64_u32 v[42:43], s[2:3], s48, v41, v[2:3]
	v_mad_u64_u32 v[44:45], s[2:3], s47, v44, v[2:3]
	v_cmp_le_u32_e64 s[2:3], s47, v42
	v_add_u32_e32 v4, 3, v0
	v_mul_hi_u32 v39, v25, v23
	v_cndmask_b32_e64 v44, v42, v44, s[2:3]
	;; [unrolled: 7-line block ×8, first 2 shown]
	v_not_b32_e32 v36, v34
	v_mad_u64_u32 v[34:35], s[16:17], s48, v34, v[16:17]
	v_mad_u64_u32 v[36:37], s[16:17], s47, v36, v[16:17]
	v_add_u32_e32 v18, 10, v0
	v_cmp_le_u32_e64 s[16:17], s47, v34
	v_mul_hi_u32 v48, v25, v9
	v_add_u32_e32 v20, 11, v0
	v_cndmask_b32_e64 v39, v34, v36, s[16:17]
	v_mad_u64_u32 v[34:35], s[18:19], s48, v33, v[18:19]
	v_not_b32_e32 v33, v33
	v_mad_u64_u32 v[36:37], s[18:19], s47, v33, v[18:19]
	v_cmp_le_u32_e64 s[18:19], s47, v34
	v_mul_hi_u32 v49, v25, v7
	v_add_u32_e32 v22, 12, v0
	v_cndmask_b32_e64 v33, v34, v36, s[18:19]
	v_not_b32_e32 v36, v48
	v_mad_u64_u32 v[34:35], s[20:21], s48, v48, v[20:21]
	v_mad_u64_u32 v[36:37], s[20:21], s47, v36, v[20:21]
	v_cmp_le_u32_e64 s[20:21], s47, v34
	v_mul_hi_u32 v50, v25, v5
	v_add_u32_e32 v24, 13, v0
	v_cndmask_b32_e64 v48, v34, v36, s[20:21]
	v_not_b32_e32 v36, v49
	v_mad_u64_u32 v[34:35], s[22:23], s48, v49, v[22:23]
	;; [unrolled: 7-line block ×5, first 2 shown]
	v_mad_u64_u32 v[36:37], s[28:29], s47, v36, v[30:31]
	v_add_u32_e32 v35, 1, v32
	v_cmp_le_u32_e64 s[28:29], s47, v34
	v_cndmask_b32_e32 v32, v32, v35, vcc
	v_add_u32_e32 v35, 1, v26
	v_cndmask_b32_e64 v34, v34, v36, s[28:29]
	v_mul_hi_u32 v36, v2, v25
	v_mul_hi_u32 v37, v4, v25
	v_cndmask_b32_e64 v26, v26, v35, s[0:1]
	v_add_u32_e32 v35, 1, v36
	v_mul_hi_u32 v52, v6, v25
	v_cndmask_b32_e64 v35, v36, v35, s[2:3]
	v_add_u32_e32 v36, 1, v37
	v_cndmask_b32_e64 v36, v37, v36, s[4:5]
	v_add_u32_e32 v37, 1, v52
	v_cndmask_b32_e64 v37, v52, v37, s[6:7]
	v_mul_hi_u32 v52, v8, v25
	v_add_u32_e32 v53, 1, v52
	v_cndmask_b32_e64 v52, v52, v53, s[8:9]
	v_mul_hi_u32 v53, v10, v25
	;; [unrolled: 3-line block ×11, first 2 shown]
	v_add_u32_e32 v63, 1, v62
	v_cndmask_b32_e64 v62, v62, v63, s[28:29]
	v_cmp_le_u32_e64 s[24:25], s47, v34
	v_add_u32_e32 v34, 1, v26
	v_cmp_le_u32_e64 s[26:27], s47, v47
	v_add_u32_e32 v47, 1, v32
	;; [unrolled: 2-line block ×3, first 2 shown]
	v_cmp_le_u32_e32 vcc, s47, v44
	v_add_u32_e32 v44, 1, v36
	v_cmp_le_u32_e64 s[0:1], s47, v45
	v_cmp_le_u32_e64 s[14:15], s47, v33
	v_add_u32_e32 v33, 1, v58
	v_cmp_le_u32_e64 s[16:17], s47, v48
	v_cndmask_b32_e64 v64, v32, v47, s[28:29]
	v_cndmask_b32_e64 v26, v26, v34, s[26:27]
	v_cndmask_b32_e32 v65, v35, v63, vcc
	v_cndmask_b32_e64 v66, v36, v44, s[0:1]
	v_cndmask_b32_e64 v74, v58, v33, s[16:17]
	v_mad_u64_u32 v[32:33], s[0:1], s48, v64, v[0:1]
	v_mad_u64_u32 v[34:35], s[0:1], s48, v26, v[0:1]
	v_mul_lo_u32 v79, v32, s35
	v_mul_lo_u32 v80, s35, v34
	global_load_dwordx4 v[32:35], v0, s[36:37]
	v_cmp_le_u32_e64 s[10:11], s47, v38
	v_add_u32_e32 v38, 1, v56
	v_cmp_le_u32_e64 s[12:13], s47, v39
	v_cmp_le_u32_e64 s[20:21], s47, v50
	v_add_u32_e32 v50, 1, v61
	v_cmp_le_u32_e64 s[22:23], s47, v51
	v_add_u32_e32 v51, 1, v62
	v_cndmask_b32_e64 v72, v56, v38, s[12:13]
	v_add_u32_e32 v45, 1, v37
	v_cmp_le_u32_e64 s[2:3], s47, v42
	v_add_u32_e32 v42, 1, v52
	v_cmp_le_u32_e64 s[4:5], s47, v43
	;; [unrolled: 2-line block ×4, first 2 shown]
	v_add_u32_e32 v41, 1, v55
	v_add_u32_e32 v39, 1, v57
	;; [unrolled: 1-line block ×3, first 2 shown]
	v_cmp_le_u32_e64 s[18:19], s47, v49
	v_add_u32_e32 v49, 1, v60
	v_cndmask_b32_e64 v77, v61, v50, s[22:23]
	v_cndmask_b32_e64 v78, v62, v51, s[24:25]
	v_add_u32_e32 v3, s46, v3
	v_mad_u64_u32 v[50:51], s[0:1], s48, v72, v[16:17]
	v_add_u32_e32 v0, s46, v0
	v_cndmask_b32_e64 v67, v37, v45, s[2:3]
	v_cndmask_b32_e64 v68, v52, v42, s[4:5]
	;; [unrolled: 1-line block ×8, first 2 shown]
	v_add_u32_e32 v5, s46, v5
	v_add_u32_e32 v7, s46, v7
	;; [unrolled: 1-line block ×11, first 2 shown]
	v_mad_u64_u32 v[36:37], s[0:1], s48, v65, v[2:3]
	v_add_u32_e32 v51, 16, v0
	v_mad_u64_u32 v[38:39], s[0:1], s48, v66, v[4:5]
	v_mad_u64_u32 v[40:41], s[0:1], s48, v67, v[6:7]
	;; [unrolled: 1-line block ×9, first 2 shown]
	v_mul_lo_u32 v2, v64, s34
	v_mad_u64_u32 v[58:59], s[0:1], s48, v76, v[24:25]
	v_mad_u64_u32 v[60:61], s[0:1], s48, v77, v[28:29]
	;; [unrolled: 1-line block ×3, first 2 shown]
	v_mul_lo_u32 v6, v65, s34
	v_mul_lo_u32 v36, v36, s35
	v_cmp_lt_u32_e32 vcc, s33, v51
	v_add_u32_e32 v1, s46, v1
	v_add_u32_e32 v27, s46, v27
	v_mul_lo_u32 v4, v26, s34
	v_mul_lo_u32 v8, v66, s34
	;; [unrolled: 1-line block ×27, first 2 shown]
	v_add3_u32 v2, v79, v2, s39
	v_add3_u32 v6, v36, v6, s39
	v_add_u32_e32 v36, s35, v80
	s_or_b64 s[40:41], vcc, s[40:41]
	v_add3_u32 v8, v38, v8, s39
	v_add3_u32 v10, v39, v10, s39
	;; [unrolled: 1-line block ×14, first 2 shown]
	s_waitcnt vmcnt(0)
	v_lshrrev_b32_e32 v36, 8, v32
	v_lshrrev_b32_e32 v38, 24, v32
	;; [unrolled: 1-line block ×8, first 2 shown]
	global_store_byte v2, v32, s[30:31]
	global_store_byte v4, v36, s[30:31]
	global_store_byte_d16_hi v6, v32, s[30:31]
	global_store_byte v8, v38, s[30:31]
	global_store_byte v10, v33, s[30:31]
	global_store_byte v12, v39, s[30:31]
	global_store_byte_d16_hi v14, v33, s[30:31]
	global_store_byte v16, v40, s[30:31]
	;; [unrolled: 4-line block ×4, first 2 shown]
	s_andn2_b64 exec, exec, s[40:41]
	s_cbranch_execnz .LBB6_3
; %bb.4:
	s_or_b64 exec, exec, s[40:41]
.LBB6_5:
	s_or_b64 exec, exec, s[42:43]
	v_cmp_gt_u32_e32 vcc, s33, v0
	s_and_b64 exec, exec, vcc
	s_cbranch_execz .LBB6_8
; %bb.6:
	s_cmp_eq_u32 s38, 1
	s_cselect_b32 s2, s45, s44
	v_cvt_f32_u32_e32 v1, s2
	s_sub_i32 s3, 0, s2
	v_mov_b32_e32 v3, 0
	v_rcp_iflag_f32_e32 v1, v1
	s_nop 0
	v_mul_f32_e32 v1, 0x4f7ffffe, v1
	v_cvt_u32_f32_e32 v2, v1
	v_mov_b32_e32 v1, v3
	v_mul_lo_u32 v4, s3, v2
	v_mul_hi_u32 v4, v2, v4
	v_add_u32_e32 v2, v2, v4
	v_mad_u64_u32 v[4:5], s[0:1], v0, v2, 0
	s_mov_b64 s[0:1], 0
.LBB6_7:                                ; =>This Inner Loop Header: Depth=1
	v_lshl_add_u64 v[6:7], s[36:37], 0, v[0:1]
	global_load_ubyte v8, v[6:7], off
	v_mul_lo_u32 v6, s2, v5
	v_not_b32_e32 v7, v5
	v_sub_u32_e32 v10, v0, v6
	v_add_u32_e32 v9, 1, v5
	v_mad_u64_u32 v[6:7], s[4:5], s2, v7, v[0:1]
	v_cmp_le_u32_e32 vcc, s2, v10
	s_nop 1
	v_cndmask_b32_e32 v7, v5, v9, vcc
	v_cndmask_b32_e32 v6, v10, v6, vcc
	v_add_u32_e32 v9, 1, v7
	v_cmp_le_u32_e32 vcc, s2, v6
	v_lshl_add_u64 v[4:5], v[4:5], 0, v[2:3]
	s_nop 0
	v_cndmask_b32_e32 v9, v7, v9, vcc
	v_mad_u64_u32 v[6:7], s[4:5], s3, v9, v[0:1]
	v_lshl_add_u64 v[0:1], v[0:1], 0, 1
	v_mul_lo_u32 v7, v9, s34
	v_mul_lo_u32 v6, v6, s35
	v_cmp_le_u32_e32 vcc, s33, v0
	v_add3_u32 v6, v6, v7, s39
	s_or_b64 s[0:1], vcc, s[0:1]
	s_waitcnt vmcnt(0)
	global_store_byte v6, v8, s[30:31]
	s_andn2_b64 exec, exec, s[0:1]
	s_cbranch_execnz .LBB6_7
.LBB6_8:
	s_endpgm
	.section	.rodata,"a",@progbits
	.p2align	6, 0x0
	.amdhsa_kernel _ZN2at6native12_GLOBAL__N_135CatArrayBatchedCopy_alignedK_contigINS1_10OpaqueTypeILj1EEEjLi2ELi128ELi1ELi16EEEvPT_NS1_25CatArrInputTensorMetadataIS5_T0_XT2_EXT3_EEENS1_16TensorSizeStrideIS8_Lj4EEEiS8_
		.amdhsa_group_segment_fixed_size 0
		.amdhsa_private_segment_fixed_size 0
		.amdhsa_kernarg_size 3024
		.amdhsa_user_sgpr_count 2
		.amdhsa_user_sgpr_dispatch_ptr 0
		.amdhsa_user_sgpr_queue_ptr 0
		.amdhsa_user_sgpr_kernarg_segment_ptr 1
		.amdhsa_user_sgpr_dispatch_id 0
		.amdhsa_user_sgpr_kernarg_preload_length 0
		.amdhsa_user_sgpr_kernarg_preload_offset 0
		.amdhsa_user_sgpr_private_segment_size 0
		.amdhsa_uses_dynamic_stack 0
		.amdhsa_enable_private_segment 0
		.amdhsa_system_sgpr_workgroup_id_x 1
		.amdhsa_system_sgpr_workgroup_id_y 1
		.amdhsa_system_sgpr_workgroup_id_z 0
		.amdhsa_system_sgpr_workgroup_info 0
		.amdhsa_system_vgpr_workitem_id 0
		.amdhsa_next_free_vgpr 81
		.amdhsa_next_free_sgpr 49
		.amdhsa_accum_offset 84
		.amdhsa_reserve_vcc 1
		.amdhsa_float_round_mode_32 0
		.amdhsa_float_round_mode_16_64 0
		.amdhsa_float_denorm_mode_32 3
		.amdhsa_float_denorm_mode_16_64 3
		.amdhsa_dx10_clamp 1
		.amdhsa_ieee_mode 1
		.amdhsa_fp16_overflow 0
		.amdhsa_tg_split 0
		.amdhsa_exception_fp_ieee_invalid_op 0
		.amdhsa_exception_fp_denorm_src 0
		.amdhsa_exception_fp_ieee_div_zero 0
		.amdhsa_exception_fp_ieee_overflow 0
		.amdhsa_exception_fp_ieee_underflow 0
		.amdhsa_exception_fp_ieee_inexact 0
		.amdhsa_exception_int_div_zero 0
	.end_amdhsa_kernel
	.section	.text._ZN2at6native12_GLOBAL__N_135CatArrayBatchedCopy_alignedK_contigINS1_10OpaqueTypeILj1EEEjLi2ELi128ELi1ELi16EEEvPT_NS1_25CatArrInputTensorMetadataIS5_T0_XT2_EXT3_EEENS1_16TensorSizeStrideIS8_Lj4EEEiS8_,"axG",@progbits,_ZN2at6native12_GLOBAL__N_135CatArrayBatchedCopy_alignedK_contigINS1_10OpaqueTypeILj1EEEjLi2ELi128ELi1ELi16EEEvPT_NS1_25CatArrInputTensorMetadataIS5_T0_XT2_EXT3_EEENS1_16TensorSizeStrideIS8_Lj4EEEiS8_,comdat
.Lfunc_end6:
	.size	_ZN2at6native12_GLOBAL__N_135CatArrayBatchedCopy_alignedK_contigINS1_10OpaqueTypeILj1EEEjLi2ELi128ELi1ELi16EEEvPT_NS1_25CatArrInputTensorMetadataIS5_T0_XT2_EXT3_EEENS1_16TensorSizeStrideIS8_Lj4EEEiS8_, .Lfunc_end6-_ZN2at6native12_GLOBAL__N_135CatArrayBatchedCopy_alignedK_contigINS1_10OpaqueTypeILj1EEEjLi2ELi128ELi1ELi16EEEvPT_NS1_25CatArrInputTensorMetadataIS5_T0_XT2_EXT3_EEENS1_16TensorSizeStrideIS8_Lj4EEEiS8_
                                        ; -- End function
	.set _ZN2at6native12_GLOBAL__N_135CatArrayBatchedCopy_alignedK_contigINS1_10OpaqueTypeILj1EEEjLi2ELi128ELi1ELi16EEEvPT_NS1_25CatArrInputTensorMetadataIS5_T0_XT2_EXT3_EEENS1_16TensorSizeStrideIS8_Lj4EEEiS8_.num_vgpr, 81
	.set _ZN2at6native12_GLOBAL__N_135CatArrayBatchedCopy_alignedK_contigINS1_10OpaqueTypeILj1EEEjLi2ELi128ELi1ELi16EEEvPT_NS1_25CatArrInputTensorMetadataIS5_T0_XT2_EXT3_EEENS1_16TensorSizeStrideIS8_Lj4EEEiS8_.num_agpr, 0
	.set _ZN2at6native12_GLOBAL__N_135CatArrayBatchedCopy_alignedK_contigINS1_10OpaqueTypeILj1EEEjLi2ELi128ELi1ELi16EEEvPT_NS1_25CatArrInputTensorMetadataIS5_T0_XT2_EXT3_EEENS1_16TensorSizeStrideIS8_Lj4EEEiS8_.numbered_sgpr, 49
	.set _ZN2at6native12_GLOBAL__N_135CatArrayBatchedCopy_alignedK_contigINS1_10OpaqueTypeILj1EEEjLi2ELi128ELi1ELi16EEEvPT_NS1_25CatArrInputTensorMetadataIS5_T0_XT2_EXT3_EEENS1_16TensorSizeStrideIS8_Lj4EEEiS8_.num_named_barrier, 0
	.set _ZN2at6native12_GLOBAL__N_135CatArrayBatchedCopy_alignedK_contigINS1_10OpaqueTypeILj1EEEjLi2ELi128ELi1ELi16EEEvPT_NS1_25CatArrInputTensorMetadataIS5_T0_XT2_EXT3_EEENS1_16TensorSizeStrideIS8_Lj4EEEiS8_.private_seg_size, 0
	.set _ZN2at6native12_GLOBAL__N_135CatArrayBatchedCopy_alignedK_contigINS1_10OpaqueTypeILj1EEEjLi2ELi128ELi1ELi16EEEvPT_NS1_25CatArrInputTensorMetadataIS5_T0_XT2_EXT3_EEENS1_16TensorSizeStrideIS8_Lj4EEEiS8_.uses_vcc, 1
	.set _ZN2at6native12_GLOBAL__N_135CatArrayBatchedCopy_alignedK_contigINS1_10OpaqueTypeILj1EEEjLi2ELi128ELi1ELi16EEEvPT_NS1_25CatArrInputTensorMetadataIS5_T0_XT2_EXT3_EEENS1_16TensorSizeStrideIS8_Lj4EEEiS8_.uses_flat_scratch, 0
	.set _ZN2at6native12_GLOBAL__N_135CatArrayBatchedCopy_alignedK_contigINS1_10OpaqueTypeILj1EEEjLi2ELi128ELi1ELi16EEEvPT_NS1_25CatArrInputTensorMetadataIS5_T0_XT2_EXT3_EEENS1_16TensorSizeStrideIS8_Lj4EEEiS8_.has_dyn_sized_stack, 0
	.set _ZN2at6native12_GLOBAL__N_135CatArrayBatchedCopy_alignedK_contigINS1_10OpaqueTypeILj1EEEjLi2ELi128ELi1ELi16EEEvPT_NS1_25CatArrInputTensorMetadataIS5_T0_XT2_EXT3_EEENS1_16TensorSizeStrideIS8_Lj4EEEiS8_.has_recursion, 0
	.set _ZN2at6native12_GLOBAL__N_135CatArrayBatchedCopy_alignedK_contigINS1_10OpaqueTypeILj1EEEjLi2ELi128ELi1ELi16EEEvPT_NS1_25CatArrInputTensorMetadataIS5_T0_XT2_EXT3_EEENS1_16TensorSizeStrideIS8_Lj4EEEiS8_.has_indirect_call, 0
	.section	.AMDGPU.csdata,"",@progbits
; Kernel info:
; codeLenInByte = 2736
; TotalNumSgprs: 55
; NumVgprs: 81
; NumAgprs: 0
; TotalNumVgprs: 81
; ScratchSize: 0
; MemoryBound: 0
; FloatMode: 240
; IeeeMode: 1
; LDSByteSize: 0 bytes/workgroup (compile time only)
; SGPRBlocks: 6
; VGPRBlocks: 10
; NumSGPRsForWavesPerEU: 55
; NumVGPRsForWavesPerEU: 81
; AccumOffset: 84
; Occupancy: 5
; WaveLimiterHint : 1
; COMPUTE_PGM_RSRC2:SCRATCH_EN: 0
; COMPUTE_PGM_RSRC2:USER_SGPR: 2
; COMPUTE_PGM_RSRC2:TRAP_HANDLER: 0
; COMPUTE_PGM_RSRC2:TGID_X_EN: 1
; COMPUTE_PGM_RSRC2:TGID_Y_EN: 1
; COMPUTE_PGM_RSRC2:TGID_Z_EN: 0
; COMPUTE_PGM_RSRC2:TIDIG_COMP_CNT: 0
; COMPUTE_PGM_RSRC3_GFX90A:ACCUM_OFFSET: 20
; COMPUTE_PGM_RSRC3_GFX90A:TG_SPLIT: 0
	.section	.text._ZN2at6native12_GLOBAL__N_135CatArrayBatchedCopy_alignedK_contigINS1_10OpaqueTypeILj1EEEjLi2ELi128ELi1ELi8EEEvPT_NS1_25CatArrInputTensorMetadataIS5_T0_XT2_EXT3_EEENS1_16TensorSizeStrideIS8_Lj4EEEiS8_,"axG",@progbits,_ZN2at6native12_GLOBAL__N_135CatArrayBatchedCopy_alignedK_contigINS1_10OpaqueTypeILj1EEEjLi2ELi128ELi1ELi8EEEvPT_NS1_25CatArrInputTensorMetadataIS5_T0_XT2_EXT3_EEENS1_16TensorSizeStrideIS8_Lj4EEEiS8_,comdat
	.globl	_ZN2at6native12_GLOBAL__N_135CatArrayBatchedCopy_alignedK_contigINS1_10OpaqueTypeILj1EEEjLi2ELi128ELi1ELi8EEEvPT_NS1_25CatArrInputTensorMetadataIS5_T0_XT2_EXT3_EEENS1_16TensorSizeStrideIS8_Lj4EEEiS8_ ; -- Begin function _ZN2at6native12_GLOBAL__N_135CatArrayBatchedCopy_alignedK_contigINS1_10OpaqueTypeILj1EEEjLi2ELi128ELi1ELi8EEEvPT_NS1_25CatArrInputTensorMetadataIS5_T0_XT2_EXT3_EEENS1_16TensorSizeStrideIS8_Lj4EEEiS8_
	.p2align	8
	.type	_ZN2at6native12_GLOBAL__N_135CatArrayBatchedCopy_alignedK_contigINS1_10OpaqueTypeILj1EEEjLi2ELi128ELi1ELi8EEEvPT_NS1_25CatArrInputTensorMetadataIS5_T0_XT2_EXT3_EEENS1_16TensorSizeStrideIS8_Lj4EEEiS8_,@function
_ZN2at6native12_GLOBAL__N_135CatArrayBatchedCopy_alignedK_contigINS1_10OpaqueTypeILj1EEEjLi2ELi128ELi1ELi8EEEvPT_NS1_25CatArrInputTensorMetadataIS5_T0_XT2_EXT3_EEENS1_16TensorSizeStrideIS8_Lj4EEEiS8_: ; @_ZN2at6native12_GLOBAL__N_135CatArrayBatchedCopy_alignedK_contigINS1_10OpaqueTypeILj1EEEjLi2ELi128ELi1ELi8EEEvPT_NS1_25CatArrInputTensorMetadataIS5_T0_XT2_EXT3_EEENS1_16TensorSizeStrideIS8_Lj4EEEiS8_
; %bb.0:
	s_mov_b32 s6, s3
	s_load_dword s3, s[0:1], 0xadc
	s_add_u32 s4, s0, 0xad0
	s_mov_b32 s7, 0
	s_addc_u32 s5, s1, 0
	s_lshl_b64 s[6:7], s[6:7], 2
	s_waitcnt lgkmcnt(0)
	s_and_b32 s3, s3, 0xffff
	s_add_u32 s8, s0, s6
	s_addc_u32 s9, s1, s7
	s_load_dword s24, s[8:9], 0x808
	s_mul_i32 s2, s2, s3
	v_add_lshl_u32 v0, s2, v0, 3
	s_add_u32 s2, s8, 8
	s_addc_u32 s8, s9, 0
	s_waitcnt lgkmcnt(0)
	v_cmp_gt_u32_e32 vcc, s24, v0
	s_and_saveexec_b64 s[10:11], vcc
	s_cbranch_execz .LBB7_8
; %bb.1:
	s_add_u32 s10, s2, s6
	s_addc_u32 s11, s8, s7
	s_sub_u32 s2, 0, s6
	s_subb_u32 s7, 0, s7
	s_add_u32 s6, s10, s2
	s_addc_u32 s7, s11, s7
	s_load_dword s2, s[6:7], 0x400
	s_load_dwordx2 s[12:13], s[0:1], 0x0
	s_load_dwordx2 s[18:19], s[0:1], 0xac8
	s_load_dword s25, s[0:1], 0xaac
	s_load_dwordx2 s[14:15], s[0:1], 0xab8
	s_load_dwordx2 s[16:17], s[10:11], 0x0
	s_load_dword s26, s[6:7], 0x600
	v_add_u32_e32 v1, 8, v0
	s_mov_b64 s[20:21], 0
	s_waitcnt lgkmcnt(0)
	s_mul_i32 s19, s2, s19
	v_cmp_ge_u32_e32 vcc, s24, v1
	s_and_saveexec_b64 s[22:23], vcc
	s_cbranch_execz .LBB7_5
; %bb.2:
	s_load_dword s0, s[4:5], 0x0
	v_add_u32_e32 v1, 7, v0
	v_add_u32_e32 v3, 6, v0
	;; [unrolled: 1-line block ×4, first 2 shown]
	s_waitcnt lgkmcnt(0)
	s_mul_i32 s0, s0, s3
	s_lshl_b32 s27, s0, 3
	s_cmp_eq_u32 s18, 1
	s_cselect_b32 s28, s26, s25
	v_cvt_f32_u32_e32 v2, s28
	s_sub_i32 s29, 0, s28
	v_add_u32_e32 v9, 3, v0
	v_add_u32_e32 v13, 2, v0
	v_rcp_iflag_f32_e32 v2, v2
	v_add_u32_e32 v17, 1, v0
	v_mul_f32_e32 v2, 0x4f7ffffe, v2
	v_cvt_u32_f32_e32 v2, v2
	v_mul_lo_u32 v4, s29, v2
	v_mul_hi_u32 v4, v2, v4
	v_add_u32_e32 v15, v2, v4
.LBB7_3:                                ; =>This Inner Loop Header: Depth=1
	global_load_dwordx2 v[10:11], v0, s[16:17]
	v_mul_hi_u32 v34, v15, v0
	v_mul_hi_u32 v32, v15, v1
	v_add_u32_e32 v1, s27, v1
	v_mul_hi_u32 v20, v15, v17
	v_add_u32_e32 v16, 7, v0
	v_add_u32_e32 v17, s27, v17
	v_mad_u64_u32 v[18:19], s[0:1], s29, v34, v[0:1]
	v_mul_hi_u32 v24, v15, v9
	v_mul_hi_u32 v22, v15, v13
	v_add_u32_e32 v12, 1, v0
	v_add_u32_e32 v13, s27, v13
	v_not_b32_e32 v35, v34
	v_not_b32_e32 v38, v32
	v_add_u32_e32 v19, 1, v34
	v_mad_u64_u32 v[32:33], s[0:1], s29, v32, v[16:17]
	v_cmp_le_u32_e32 vcc, s28, v18
	v_mul_hi_u32 v28, v15, v5
	v_mul_hi_u32 v26, v15, v7
	v_add_u32_e32 v4, 3, v0
	v_add_u32_e32 v5, s27, v5
	v_not_b32_e32 v42, v24
	v_not_b32_e32 v36, v20
	v_mul_hi_u32 v44, v12, v15
	v_mad_u64_u32 v[20:21], s[0:1], s29, v20, v[12:13]
	v_cndmask_b32_e32 v33, v34, v19, vcc
	v_mad_u64_u32 v[34:35], s[0:1], s28, v35, v[0:1]
	v_mul_hi_u32 v30, v15, v3
	v_add_u32_e32 v2, 2, v0
	v_add_u32_e32 v6, 4, v0
	;; [unrolled: 1-line block ×6, first 2 shown]
	v_not_b32_e32 v40, v28
	v_not_b32_e32 v41, v26
	v_add_u32_e32 v21, 1, v44
	v_mad_u64_u32 v[36:37], s[0:1], s28, v36, v[12:13]
	v_cndmask_b32_e32 v47, v18, v34, vcc
	v_mad_u64_u32 v[34:35], s[0:1], s28, v42, v[4:5]
	v_cmp_le_u32_e32 vcc, s28, v20
	v_add_u32_e32 v14, 6, v0
	v_not_b32_e32 v43, v22
	v_mul_hi_u32 v45, v2, v15
	v_mad_u64_u32 v[22:23], s[0:1], s29, v22, v[2:3]
	v_mad_u64_u32 v[26:27], s[0:1], s29, v26, v[6:7]
	v_cndmask_b32_e32 v35, v44, v21, vcc
	v_cndmask_b32_e32 v44, v20, v36, vcc
	v_mad_u64_u32 v[20:21], s[2:3], s28, v41, v[6:7]
	v_mad_u64_u32 v[36:37], s[2:3], s28, v40, v[8:9]
	v_not_b32_e32 v39, v30
	v_mad_u64_u32 v[24:25], s[0:1], s29, v24, v[4:5]
	v_mul_hi_u32 v27, v8, v15
	v_mad_u64_u32 v[28:29], s[0:1], s29, v28, v[8:9]
	v_mad_u64_u32 v[30:31], s[0:1], s29, v30, v[14:15]
	v_add_u32_e32 v12, 1, v45
	v_mad_u64_u32 v[18:19], s[0:1], s28, v43, v[2:3]
	v_cmp_le_u32_e64 s[2:3], s28, v22
	v_mul_hi_u32 v46, v4, v15
	v_mul_hi_u32 v29, v14, v15
	;; [unrolled: 1-line block ×3, first 2 shown]
	v_cmp_le_u32_e64 s[0:1], s28, v26
	v_add_u32_e32 v21, 1, v27
	v_cmp_le_u32_e32 vcc, s28, v28
	v_cndmask_b32_e64 v12, v45, v12, s[2:3]
	v_cndmask_b32_e64 v40, v22, v18, s[2:3]
	v_mad_u64_u32 v[18:19], s[2:3], s28, v39, v[14:15]
	v_mad_u64_u32 v[22:23], s[6:7], s28, v38, v[16:17]
	v_mul_hi_u32 v25, v6, v15
	v_add_u32_e32 v43, 1, v46
	v_add_u32_e32 v37, 1, v29
	v_cmp_le_u32_e64 s[4:5], s28, v30
	v_add_u32_e32 v19, 1, v31
	v_cmp_le_u32_e64 s[2:3], s28, v32
	v_cmp_le_u32_e64 s[6:7], s28, v24
	v_add_u32_e32 v38, 1, v33
	v_cndmask_b32_e64 v20, v26, v20, s[0:1]
	v_cndmask_b32_e32 v21, v27, v21, vcc
	v_cndmask_b32_e32 v26, v28, v36, vcc
	v_cmp_le_u32_e32 vcc, s28, v47
	v_add_u32_e32 v42, 1, v25
	v_cndmask_b32_e64 v23, v46, v43, s[6:7]
	v_cndmask_b32_e64 v24, v24, v34, s[6:7]
	;; [unrolled: 1-line block ×6, first 2 shown]
	v_cndmask_b32_e32 v22, v33, v38, vcc
	v_add_u32_e32 v29, 1, v35
	v_cmp_le_u32_e32 vcc, s28, v44
	v_cndmask_b32_e64 v25, v25, v42, s[0:1]
	v_add_u32_e32 v30, 1, v12
	v_cmp_le_u32_e64 s[0:1], s28, v40
	v_add_u32_e32 v31, 1, v23
	v_cmp_le_u32_e64 s[2:3], s28, v24
	v_cmp_le_u32_e64 s[4:5], s28, v20
	v_add_u32_e32 v20, 1, v21
	v_cmp_le_u32_e64 s[6:7], s28, v26
	v_cmp_le_u32_e64 s[8:9], s28, v18
	;; [unrolled: 1-line block ×3, first 2 shown]
	v_mad_u64_u32 v[18:19], s[30:31], s29, v22, v[0:1]
	v_mul_lo_u32 v33, v22, s14
	v_cndmask_b32_e32 v22, v35, v29, vcc
	v_add_u32_e32 v24, 1, v25
	v_add_u32_e32 v26, 1, v27
	;; [unrolled: 1-line block ×3, first 2 shown]
	v_cndmask_b32_e64 v12, v12, v30, s[0:1]
	v_cndmask_b32_e64 v29, v23, v31, s[2:3]
	;; [unrolled: 1-line block ×3, first 2 shown]
	v_mul_lo_u32 v35, v18, s15
	v_mad_u64_u32 v[18:19], s[0:1], s29, v22, v[0:1]
	v_cndmask_b32_e64 v30, v25, v24, s[4:5]
	v_cndmask_b32_e64 v34, v27, v26, s[8:9]
	v_cndmask_b32_e64 v32, v28, v32, s[10:11]
	v_mul_lo_u32 v19, v22, s14
	v_mad_u64_u32 v[20:21], s[0:1], s29, v12, v[2:3]
	v_mad_u64_u32 v[22:23], s[0:1], s29, v29, v[4:5]
	;; [unrolled: 1-line block ×3, first 2 shown]
	v_add_u32_e32 v0, s27, v0
	v_mad_u64_u32 v[24:25], s[0:1], s29, v30, v[6:7]
	v_mul_lo_u32 v6, v30, s14
	v_mul_lo_u32 v8, v31, s14
	v_mad_u64_u32 v[30:31], s[0:1], s29, v32, v[16:17]
	v_mul_lo_u32 v16, s15, v18
	v_mul_lo_u32 v18, v20, s15
	v_mul_lo_u32 v20, v22, s15
	v_mul_lo_u32 v22, v26, s15
	v_add_u32_e32 v26, 8, v0
	v_mul_lo_u32 v4, v29, s14
	v_mad_u64_u32 v[28:29], s[0:1], s29, v34, v[14:15]
	v_cmp_lt_u32_e32 vcc, s24, v26
	v_mul_lo_u32 v2, v12, s14
	v_mul_lo_u32 v12, v34, s14
	;; [unrolled: 1-line block ×6, first 2 shown]
	v_add3_u32 v25, v35, v33, s19
	v_add_u32_e32 v16, s15, v16
	s_or_b64 s[20:21], vcc, s[20:21]
	v_add3_u32 v2, v18, v2, s19
	v_add3_u32 v4, v20, v4, s19
	;; [unrolled: 1-line block ×7, first 2 shown]
	s_waitcnt vmcnt(0)
	v_lshrrev_b32_e32 v18, 8, v10
	v_lshrrev_b32_e32 v19, 24, v10
	;; [unrolled: 1-line block ×4, first 2 shown]
	global_store_byte v25, v10, s[12:13]
	global_store_byte v16, v18, s[12:13]
	global_store_byte_d16_hi v2, v10, s[12:13]
	global_store_byte v4, v19, s[12:13]
	global_store_byte v6, v11, s[12:13]
	;; [unrolled: 1-line block ×3, first 2 shown]
	global_store_byte_d16_hi v12, v11, s[12:13]
	global_store_byte v14, v21, s[12:13]
	s_andn2_b64 exec, exec, s[20:21]
	s_cbranch_execnz .LBB7_3
; %bb.4:
	s_or_b64 exec, exec, s[20:21]
.LBB7_5:
	s_or_b64 exec, exec, s[22:23]
	v_cmp_gt_u32_e32 vcc, s24, v0
	s_and_b64 exec, exec, vcc
	s_cbranch_execz .LBB7_8
; %bb.6:
	s_cmp_eq_u32 s18, 1
	s_cselect_b32 s2, s26, s25
	v_cvt_f32_u32_e32 v1, s2
	s_sub_i32 s3, 0, s2
	v_mov_b32_e32 v3, 0
	v_rcp_iflag_f32_e32 v1, v1
	s_nop 0
	v_mul_f32_e32 v1, 0x4f7ffffe, v1
	v_cvt_u32_f32_e32 v2, v1
	v_mov_b32_e32 v1, v3
	v_mul_lo_u32 v4, s3, v2
	v_mul_hi_u32 v4, v2, v4
	v_add_u32_e32 v2, v2, v4
	v_mad_u64_u32 v[4:5], s[0:1], v0, v2, 0
	s_mov_b64 s[0:1], 0
.LBB7_7:                                ; =>This Inner Loop Header: Depth=1
	v_lshl_add_u64 v[6:7], s[16:17], 0, v[0:1]
	global_load_ubyte v8, v[6:7], off
	v_mul_lo_u32 v6, s2, v5
	v_not_b32_e32 v7, v5
	v_sub_u32_e32 v10, v0, v6
	v_add_u32_e32 v9, 1, v5
	v_mad_u64_u32 v[6:7], s[4:5], s2, v7, v[0:1]
	v_cmp_le_u32_e32 vcc, s2, v10
	s_nop 1
	v_cndmask_b32_e32 v7, v5, v9, vcc
	v_cndmask_b32_e32 v6, v10, v6, vcc
	v_add_u32_e32 v9, 1, v7
	v_cmp_le_u32_e32 vcc, s2, v6
	v_lshl_add_u64 v[4:5], v[4:5], 0, v[2:3]
	s_nop 0
	v_cndmask_b32_e32 v9, v7, v9, vcc
	v_mad_u64_u32 v[6:7], s[4:5], s3, v9, v[0:1]
	v_lshl_add_u64 v[0:1], v[0:1], 0, 1
	v_mul_lo_u32 v7, v9, s14
	v_mul_lo_u32 v6, v6, s15
	v_cmp_le_u32_e32 vcc, s24, v0
	v_add3_u32 v6, v6, v7, s19
	s_or_b64 s[0:1], vcc, s[0:1]
	s_waitcnt vmcnt(0)
	global_store_byte v6, v8, s[12:13]
	s_andn2_b64 exec, exec, s[0:1]
	s_cbranch_execnz .LBB7_7
.LBB7_8:
	s_endpgm
	.section	.rodata,"a",@progbits
	.p2align	6, 0x0
	.amdhsa_kernel _ZN2at6native12_GLOBAL__N_135CatArrayBatchedCopy_alignedK_contigINS1_10OpaqueTypeILj1EEEjLi2ELi128ELi1ELi8EEEvPT_NS1_25CatArrInputTensorMetadataIS5_T0_XT2_EXT3_EEENS1_16TensorSizeStrideIS8_Lj4EEEiS8_
		.amdhsa_group_segment_fixed_size 0
		.amdhsa_private_segment_fixed_size 0
		.amdhsa_kernarg_size 3024
		.amdhsa_user_sgpr_count 2
		.amdhsa_user_sgpr_dispatch_ptr 0
		.amdhsa_user_sgpr_queue_ptr 0
		.amdhsa_user_sgpr_kernarg_segment_ptr 1
		.amdhsa_user_sgpr_dispatch_id 0
		.amdhsa_user_sgpr_kernarg_preload_length 0
		.amdhsa_user_sgpr_kernarg_preload_offset 0
		.amdhsa_user_sgpr_private_segment_size 0
		.amdhsa_uses_dynamic_stack 0
		.amdhsa_enable_private_segment 0
		.amdhsa_system_sgpr_workgroup_id_x 1
		.amdhsa_system_sgpr_workgroup_id_y 1
		.amdhsa_system_sgpr_workgroup_id_z 0
		.amdhsa_system_sgpr_workgroup_info 0
		.amdhsa_system_vgpr_workitem_id 0
		.amdhsa_next_free_vgpr 48
		.amdhsa_next_free_sgpr 32
		.amdhsa_accum_offset 48
		.amdhsa_reserve_vcc 1
		.amdhsa_float_round_mode_32 0
		.amdhsa_float_round_mode_16_64 0
		.amdhsa_float_denorm_mode_32 3
		.amdhsa_float_denorm_mode_16_64 3
		.amdhsa_dx10_clamp 1
		.amdhsa_ieee_mode 1
		.amdhsa_fp16_overflow 0
		.amdhsa_tg_split 0
		.amdhsa_exception_fp_ieee_invalid_op 0
		.amdhsa_exception_fp_denorm_src 0
		.amdhsa_exception_fp_ieee_div_zero 0
		.amdhsa_exception_fp_ieee_overflow 0
		.amdhsa_exception_fp_ieee_underflow 0
		.amdhsa_exception_fp_ieee_inexact 0
		.amdhsa_exception_int_div_zero 0
	.end_amdhsa_kernel
	.section	.text._ZN2at6native12_GLOBAL__N_135CatArrayBatchedCopy_alignedK_contigINS1_10OpaqueTypeILj1EEEjLi2ELi128ELi1ELi8EEEvPT_NS1_25CatArrInputTensorMetadataIS5_T0_XT2_EXT3_EEENS1_16TensorSizeStrideIS8_Lj4EEEiS8_,"axG",@progbits,_ZN2at6native12_GLOBAL__N_135CatArrayBatchedCopy_alignedK_contigINS1_10OpaqueTypeILj1EEEjLi2ELi128ELi1ELi8EEEvPT_NS1_25CatArrInputTensorMetadataIS5_T0_XT2_EXT3_EEENS1_16TensorSizeStrideIS8_Lj4EEEiS8_,comdat
.Lfunc_end7:
	.size	_ZN2at6native12_GLOBAL__N_135CatArrayBatchedCopy_alignedK_contigINS1_10OpaqueTypeILj1EEEjLi2ELi128ELi1ELi8EEEvPT_NS1_25CatArrInputTensorMetadataIS5_T0_XT2_EXT3_EEENS1_16TensorSizeStrideIS8_Lj4EEEiS8_, .Lfunc_end7-_ZN2at6native12_GLOBAL__N_135CatArrayBatchedCopy_alignedK_contigINS1_10OpaqueTypeILj1EEEjLi2ELi128ELi1ELi8EEEvPT_NS1_25CatArrInputTensorMetadataIS5_T0_XT2_EXT3_EEENS1_16TensorSizeStrideIS8_Lj4EEEiS8_
                                        ; -- End function
	.set _ZN2at6native12_GLOBAL__N_135CatArrayBatchedCopy_alignedK_contigINS1_10OpaqueTypeILj1EEEjLi2ELi128ELi1ELi8EEEvPT_NS1_25CatArrInputTensorMetadataIS5_T0_XT2_EXT3_EEENS1_16TensorSizeStrideIS8_Lj4EEEiS8_.num_vgpr, 48
	.set _ZN2at6native12_GLOBAL__N_135CatArrayBatchedCopy_alignedK_contigINS1_10OpaqueTypeILj1EEEjLi2ELi128ELi1ELi8EEEvPT_NS1_25CatArrInputTensorMetadataIS5_T0_XT2_EXT3_EEENS1_16TensorSizeStrideIS8_Lj4EEEiS8_.num_agpr, 0
	.set _ZN2at6native12_GLOBAL__N_135CatArrayBatchedCopy_alignedK_contigINS1_10OpaqueTypeILj1EEEjLi2ELi128ELi1ELi8EEEvPT_NS1_25CatArrInputTensorMetadataIS5_T0_XT2_EXT3_EEENS1_16TensorSizeStrideIS8_Lj4EEEiS8_.numbered_sgpr, 32
	.set _ZN2at6native12_GLOBAL__N_135CatArrayBatchedCopy_alignedK_contigINS1_10OpaqueTypeILj1EEEjLi2ELi128ELi1ELi8EEEvPT_NS1_25CatArrInputTensorMetadataIS5_T0_XT2_EXT3_EEENS1_16TensorSizeStrideIS8_Lj4EEEiS8_.num_named_barrier, 0
	.set _ZN2at6native12_GLOBAL__N_135CatArrayBatchedCopy_alignedK_contigINS1_10OpaqueTypeILj1EEEjLi2ELi128ELi1ELi8EEEvPT_NS1_25CatArrInputTensorMetadataIS5_T0_XT2_EXT3_EEENS1_16TensorSizeStrideIS8_Lj4EEEiS8_.private_seg_size, 0
	.set _ZN2at6native12_GLOBAL__N_135CatArrayBatchedCopy_alignedK_contigINS1_10OpaqueTypeILj1EEEjLi2ELi128ELi1ELi8EEEvPT_NS1_25CatArrInputTensorMetadataIS5_T0_XT2_EXT3_EEENS1_16TensorSizeStrideIS8_Lj4EEEiS8_.uses_vcc, 1
	.set _ZN2at6native12_GLOBAL__N_135CatArrayBatchedCopy_alignedK_contigINS1_10OpaqueTypeILj1EEEjLi2ELi128ELi1ELi8EEEvPT_NS1_25CatArrInputTensorMetadataIS5_T0_XT2_EXT3_EEENS1_16TensorSizeStrideIS8_Lj4EEEiS8_.uses_flat_scratch, 0
	.set _ZN2at6native12_GLOBAL__N_135CatArrayBatchedCopy_alignedK_contigINS1_10OpaqueTypeILj1EEEjLi2ELi128ELi1ELi8EEEvPT_NS1_25CatArrInputTensorMetadataIS5_T0_XT2_EXT3_EEENS1_16TensorSizeStrideIS8_Lj4EEEiS8_.has_dyn_sized_stack, 0
	.set _ZN2at6native12_GLOBAL__N_135CatArrayBatchedCopy_alignedK_contigINS1_10OpaqueTypeILj1EEEjLi2ELi128ELi1ELi8EEEvPT_NS1_25CatArrInputTensorMetadataIS5_T0_XT2_EXT3_EEENS1_16TensorSizeStrideIS8_Lj4EEEiS8_.has_recursion, 0
	.set _ZN2at6native12_GLOBAL__N_135CatArrayBatchedCopy_alignedK_contigINS1_10OpaqueTypeILj1EEEjLi2ELi128ELi1ELi8EEEvPT_NS1_25CatArrInputTensorMetadataIS5_T0_XT2_EXT3_EEENS1_16TensorSizeStrideIS8_Lj4EEEiS8_.has_indirect_call, 0
	.section	.AMDGPU.csdata,"",@progbits
; Kernel info:
; codeLenInByte = 1600
; TotalNumSgprs: 38
; NumVgprs: 48
; NumAgprs: 0
; TotalNumVgprs: 48
; ScratchSize: 0
; MemoryBound: 0
; FloatMode: 240
; IeeeMode: 1
; LDSByteSize: 0 bytes/workgroup (compile time only)
; SGPRBlocks: 4
; VGPRBlocks: 5
; NumSGPRsForWavesPerEU: 38
; NumVGPRsForWavesPerEU: 48
; AccumOffset: 48
; Occupancy: 8
; WaveLimiterHint : 1
; COMPUTE_PGM_RSRC2:SCRATCH_EN: 0
; COMPUTE_PGM_RSRC2:USER_SGPR: 2
; COMPUTE_PGM_RSRC2:TRAP_HANDLER: 0
; COMPUTE_PGM_RSRC2:TGID_X_EN: 1
; COMPUTE_PGM_RSRC2:TGID_Y_EN: 1
; COMPUTE_PGM_RSRC2:TGID_Z_EN: 0
; COMPUTE_PGM_RSRC2:TIDIG_COMP_CNT: 0
; COMPUTE_PGM_RSRC3_GFX90A:ACCUM_OFFSET: 11
; COMPUTE_PGM_RSRC3_GFX90A:TG_SPLIT: 0
	.section	.text._ZN2at6native12_GLOBAL__N_126CatArrayBatchedCopy_contigINS1_10OpaqueTypeILj1EEEjLi2ELi128ELi1EEEvPT_NS1_25CatArrInputTensorMetadataIS5_T0_XT2_EXT3_EEENS1_16TensorSizeStrideIS8_Lj4EEEiS8_,"axG",@progbits,_ZN2at6native12_GLOBAL__N_126CatArrayBatchedCopy_contigINS1_10OpaqueTypeILj1EEEjLi2ELi128ELi1EEEvPT_NS1_25CatArrInputTensorMetadataIS5_T0_XT2_EXT3_EEENS1_16TensorSizeStrideIS8_Lj4EEEiS8_,comdat
	.globl	_ZN2at6native12_GLOBAL__N_126CatArrayBatchedCopy_contigINS1_10OpaqueTypeILj1EEEjLi2ELi128ELi1EEEvPT_NS1_25CatArrInputTensorMetadataIS5_T0_XT2_EXT3_EEENS1_16TensorSizeStrideIS8_Lj4EEEiS8_ ; -- Begin function _ZN2at6native12_GLOBAL__N_126CatArrayBatchedCopy_contigINS1_10OpaqueTypeILj1EEEjLi2ELi128ELi1EEEvPT_NS1_25CatArrInputTensorMetadataIS5_T0_XT2_EXT3_EEENS1_16TensorSizeStrideIS8_Lj4EEEiS8_
	.p2align	8
	.type	_ZN2at6native12_GLOBAL__N_126CatArrayBatchedCopy_contigINS1_10OpaqueTypeILj1EEEjLi2ELi128ELi1EEEvPT_NS1_25CatArrInputTensorMetadataIS5_T0_XT2_EXT3_EEENS1_16TensorSizeStrideIS8_Lj4EEEiS8_,@function
_ZN2at6native12_GLOBAL__N_126CatArrayBatchedCopy_contigINS1_10OpaqueTypeILj1EEEjLi2ELi128ELi1EEEvPT_NS1_25CatArrInputTensorMetadataIS5_T0_XT2_EXT3_EEENS1_16TensorSizeStrideIS8_Lj4EEEiS8_: ; @_ZN2at6native12_GLOBAL__N_126CatArrayBatchedCopy_contigINS1_10OpaqueTypeILj1EEEjLi2ELi128ELi1EEEvPT_NS1_25CatArrInputTensorMetadataIS5_T0_XT2_EXT3_EEENS1_16TensorSizeStrideIS8_Lj4EEEiS8_
; %bb.0:
	s_mov_b32 s4, s3
	s_load_dword s3, s[0:1], 0xadc
	s_add_u32 s6, s0, 0xad0
	s_mov_b32 s5, 0
	s_addc_u32 s7, s1, 0
	s_lshl_b64 s[4:5], s[4:5], 2
	s_waitcnt lgkmcnt(0)
	s_and_b32 s10, s3, 0xffff
	s_add_u32 s12, s0, s4
	s_addc_u32 s13, s1, s5
	s_load_dword s8, s[12:13], 0x808
	s_mul_i32 s2, s2, s10
	v_add_u32_e32 v0, s2, v0
	s_add_u32 s2, s12, 8
	s_addc_u32 s3, s13, 0
	s_waitcnt lgkmcnt(0)
	v_cmp_gt_u32_e32 vcc, s8, v0
	s_and_saveexec_b64 s[12:13], vcc
	s_cbranch_execz .LBB8_3
; %bb.1:
	s_add_u32 s12, s2, s4
	s_addc_u32 s13, s3, s5
	s_sub_u32 s2, 0, s4
	s_subb_u32 s3, 0, s5
	s_add_u32 s14, s12, s2
	s_addc_u32 s15, s13, s3
	s_load_dword s4, s[14:15], 0x600
	s_load_dwordx2 s[16:17], s[0:1], 0xac8
	s_load_dword s5, s[0:1], 0xaac
	s_load_dwordx2 s[2:3], s[0:1], 0xab8
	s_waitcnt lgkmcnt(0)
	s_cmp_eq_u32 s16, 1
	s_cselect_b32 s9, s4, s5
	v_cvt_f32_u32_e32 v1, s9
	s_load_dwordx2 s[4:5], s[12:13], 0x0
	s_load_dword s11, s[14:15], 0x400
	s_load_dword s16, s[6:7], 0x0
	s_sub_i32 s12, 0, s9
	s_load_dwordx2 s[0:1], s[0:1], 0x0
	v_rcp_iflag_f32_e32 v1, v1
	s_mov_b64 s[6:7], 0
	s_waitcnt lgkmcnt(0)
	s_mul_i32 s11, s11, s17
	s_mul_i32 s10, s16, s10
	v_mul_f32_e32 v1, 0x4f7ffffe, v1
	v_cvt_u32_f32_e32 v1, v1
	v_mul_lo_u32 v2, s12, v1
	v_mul_hi_u32 v2, v1, v2
	v_add_u32_e32 v1, v1, v2
.LBB8_2:                                ; =>This Inner Loop Header: Depth=1
	global_load_ubyte v4, v0, s[4:5]
	v_mul_hi_u32 v5, v1, v0
	v_mul_lo_u32 v2, s9, v5
	v_not_b32_e32 v3, v5
	v_sub_u32_e32 v7, v0, v2
	v_add_u32_e32 v6, 1, v5
	v_mad_u64_u32 v[2:3], s[14:15], s9, v3, v[0:1]
	v_cmp_le_u32_e32 vcc, s9, v7
	s_nop 1
	v_cndmask_b32_e32 v3, v5, v6, vcc
	v_cndmask_b32_e32 v2, v7, v2, vcc
	v_add_u32_e32 v5, 1, v3
	v_cmp_le_u32_e32 vcc, s9, v2
	s_nop 1
	v_cndmask_b32_e32 v5, v3, v5, vcc
	v_mad_u64_u32 v[2:3], s[14:15], s12, v5, v[0:1]
	v_add_u32_e32 v0, s10, v0
	v_mul_lo_u32 v3, v5, s2
	v_mul_lo_u32 v2, v2, s3
	v_cmp_le_u32_e32 vcc, s8, v0
	v_add3_u32 v2, v3, s11, v2
	s_or_b64 s[6:7], vcc, s[6:7]
	s_waitcnt vmcnt(0)
	global_store_byte v2, v4, s[0:1]
	s_andn2_b64 exec, exec, s[6:7]
	s_cbranch_execnz .LBB8_2
.LBB8_3:
	s_endpgm
	.section	.rodata,"a",@progbits
	.p2align	6, 0x0
	.amdhsa_kernel _ZN2at6native12_GLOBAL__N_126CatArrayBatchedCopy_contigINS1_10OpaqueTypeILj1EEEjLi2ELi128ELi1EEEvPT_NS1_25CatArrInputTensorMetadataIS5_T0_XT2_EXT3_EEENS1_16TensorSizeStrideIS8_Lj4EEEiS8_
		.amdhsa_group_segment_fixed_size 0
		.amdhsa_private_segment_fixed_size 0
		.amdhsa_kernarg_size 3024
		.amdhsa_user_sgpr_count 2
		.amdhsa_user_sgpr_dispatch_ptr 0
		.amdhsa_user_sgpr_queue_ptr 0
		.amdhsa_user_sgpr_kernarg_segment_ptr 1
		.amdhsa_user_sgpr_dispatch_id 0
		.amdhsa_user_sgpr_kernarg_preload_length 0
		.amdhsa_user_sgpr_kernarg_preload_offset 0
		.amdhsa_user_sgpr_private_segment_size 0
		.amdhsa_uses_dynamic_stack 0
		.amdhsa_enable_private_segment 0
		.amdhsa_system_sgpr_workgroup_id_x 1
		.amdhsa_system_sgpr_workgroup_id_y 1
		.amdhsa_system_sgpr_workgroup_id_z 0
		.amdhsa_system_sgpr_workgroup_info 0
		.amdhsa_system_vgpr_workitem_id 0
		.amdhsa_next_free_vgpr 8
		.amdhsa_next_free_sgpr 18
		.amdhsa_accum_offset 8
		.amdhsa_reserve_vcc 1
		.amdhsa_float_round_mode_32 0
		.amdhsa_float_round_mode_16_64 0
		.amdhsa_float_denorm_mode_32 3
		.amdhsa_float_denorm_mode_16_64 3
		.amdhsa_dx10_clamp 1
		.amdhsa_ieee_mode 1
		.amdhsa_fp16_overflow 0
		.amdhsa_tg_split 0
		.amdhsa_exception_fp_ieee_invalid_op 0
		.amdhsa_exception_fp_denorm_src 0
		.amdhsa_exception_fp_ieee_div_zero 0
		.amdhsa_exception_fp_ieee_overflow 0
		.amdhsa_exception_fp_ieee_underflow 0
		.amdhsa_exception_fp_ieee_inexact 0
		.amdhsa_exception_int_div_zero 0
	.end_amdhsa_kernel
	.section	.text._ZN2at6native12_GLOBAL__N_126CatArrayBatchedCopy_contigINS1_10OpaqueTypeILj1EEEjLi2ELi128ELi1EEEvPT_NS1_25CatArrInputTensorMetadataIS5_T0_XT2_EXT3_EEENS1_16TensorSizeStrideIS8_Lj4EEEiS8_,"axG",@progbits,_ZN2at6native12_GLOBAL__N_126CatArrayBatchedCopy_contigINS1_10OpaqueTypeILj1EEEjLi2ELi128ELi1EEEvPT_NS1_25CatArrInputTensorMetadataIS5_T0_XT2_EXT3_EEENS1_16TensorSizeStrideIS8_Lj4EEEiS8_,comdat
.Lfunc_end8:
	.size	_ZN2at6native12_GLOBAL__N_126CatArrayBatchedCopy_contigINS1_10OpaqueTypeILj1EEEjLi2ELi128ELi1EEEvPT_NS1_25CatArrInputTensorMetadataIS5_T0_XT2_EXT3_EEENS1_16TensorSizeStrideIS8_Lj4EEEiS8_, .Lfunc_end8-_ZN2at6native12_GLOBAL__N_126CatArrayBatchedCopy_contigINS1_10OpaqueTypeILj1EEEjLi2ELi128ELi1EEEvPT_NS1_25CatArrInputTensorMetadataIS5_T0_XT2_EXT3_EEENS1_16TensorSizeStrideIS8_Lj4EEEiS8_
                                        ; -- End function
	.set _ZN2at6native12_GLOBAL__N_126CatArrayBatchedCopy_contigINS1_10OpaqueTypeILj1EEEjLi2ELi128ELi1EEEvPT_NS1_25CatArrInputTensorMetadataIS5_T0_XT2_EXT3_EEENS1_16TensorSizeStrideIS8_Lj4EEEiS8_.num_vgpr, 8
	.set _ZN2at6native12_GLOBAL__N_126CatArrayBatchedCopy_contigINS1_10OpaqueTypeILj1EEEjLi2ELi128ELi1EEEvPT_NS1_25CatArrInputTensorMetadataIS5_T0_XT2_EXT3_EEENS1_16TensorSizeStrideIS8_Lj4EEEiS8_.num_agpr, 0
	.set _ZN2at6native12_GLOBAL__N_126CatArrayBatchedCopy_contigINS1_10OpaqueTypeILj1EEEjLi2ELi128ELi1EEEvPT_NS1_25CatArrInputTensorMetadataIS5_T0_XT2_EXT3_EEENS1_16TensorSizeStrideIS8_Lj4EEEiS8_.numbered_sgpr, 18
	.set _ZN2at6native12_GLOBAL__N_126CatArrayBatchedCopy_contigINS1_10OpaqueTypeILj1EEEjLi2ELi128ELi1EEEvPT_NS1_25CatArrInputTensorMetadataIS5_T0_XT2_EXT3_EEENS1_16TensorSizeStrideIS8_Lj4EEEiS8_.num_named_barrier, 0
	.set _ZN2at6native12_GLOBAL__N_126CatArrayBatchedCopy_contigINS1_10OpaqueTypeILj1EEEjLi2ELi128ELi1EEEvPT_NS1_25CatArrInputTensorMetadataIS5_T0_XT2_EXT3_EEENS1_16TensorSizeStrideIS8_Lj4EEEiS8_.private_seg_size, 0
	.set _ZN2at6native12_GLOBAL__N_126CatArrayBatchedCopy_contigINS1_10OpaqueTypeILj1EEEjLi2ELi128ELi1EEEvPT_NS1_25CatArrInputTensorMetadataIS5_T0_XT2_EXT3_EEENS1_16TensorSizeStrideIS8_Lj4EEEiS8_.uses_vcc, 1
	.set _ZN2at6native12_GLOBAL__N_126CatArrayBatchedCopy_contigINS1_10OpaqueTypeILj1EEEjLi2ELi128ELi1EEEvPT_NS1_25CatArrInputTensorMetadataIS5_T0_XT2_EXT3_EEENS1_16TensorSizeStrideIS8_Lj4EEEiS8_.uses_flat_scratch, 0
	.set _ZN2at6native12_GLOBAL__N_126CatArrayBatchedCopy_contigINS1_10OpaqueTypeILj1EEEjLi2ELi128ELi1EEEvPT_NS1_25CatArrInputTensorMetadataIS5_T0_XT2_EXT3_EEENS1_16TensorSizeStrideIS8_Lj4EEEiS8_.has_dyn_sized_stack, 0
	.set _ZN2at6native12_GLOBAL__N_126CatArrayBatchedCopy_contigINS1_10OpaqueTypeILj1EEEjLi2ELi128ELi1EEEvPT_NS1_25CatArrInputTensorMetadataIS5_T0_XT2_EXT3_EEENS1_16TensorSizeStrideIS8_Lj4EEEiS8_.has_recursion, 0
	.set _ZN2at6native12_GLOBAL__N_126CatArrayBatchedCopy_contigINS1_10OpaqueTypeILj1EEEjLi2ELi128ELi1EEEvPT_NS1_25CatArrInputTensorMetadataIS5_T0_XT2_EXT3_EEENS1_16TensorSizeStrideIS8_Lj4EEEiS8_.has_indirect_call, 0
	.section	.AMDGPU.csdata,"",@progbits
; Kernel info:
; codeLenInByte = 396
; TotalNumSgprs: 24
; NumVgprs: 8
; NumAgprs: 0
; TotalNumVgprs: 8
; ScratchSize: 0
; MemoryBound: 0
; FloatMode: 240
; IeeeMode: 1
; LDSByteSize: 0 bytes/workgroup (compile time only)
; SGPRBlocks: 2
; VGPRBlocks: 0
; NumSGPRsForWavesPerEU: 24
; NumVGPRsForWavesPerEU: 8
; AccumOffset: 8
; Occupancy: 8
; WaveLimiterHint : 1
; COMPUTE_PGM_RSRC2:SCRATCH_EN: 0
; COMPUTE_PGM_RSRC2:USER_SGPR: 2
; COMPUTE_PGM_RSRC2:TRAP_HANDLER: 0
; COMPUTE_PGM_RSRC2:TGID_X_EN: 1
; COMPUTE_PGM_RSRC2:TGID_Y_EN: 1
; COMPUTE_PGM_RSRC2:TGID_Z_EN: 0
; COMPUTE_PGM_RSRC2:TIDIG_COMP_CNT: 0
; COMPUTE_PGM_RSRC3_GFX90A:ACCUM_OFFSET: 1
; COMPUTE_PGM_RSRC3_GFX90A:TG_SPLIT: 0
	.section	.text._ZN2at6native12_GLOBAL__N_119CatArrayBatchedCopyINS1_10OpaqueTypeILj1EEEjLi2ELi128ELi1EEEvPT_NS1_25CatArrInputTensorMetadataIS5_T0_XT2_EXT3_EEENS1_16TensorSizeStrideIS8_Lj4EEEiS8_,"axG",@progbits,_ZN2at6native12_GLOBAL__N_119CatArrayBatchedCopyINS1_10OpaqueTypeILj1EEEjLi2ELi128ELi1EEEvPT_NS1_25CatArrInputTensorMetadataIS5_T0_XT2_EXT3_EEENS1_16TensorSizeStrideIS8_Lj4EEEiS8_,comdat
	.globl	_ZN2at6native12_GLOBAL__N_119CatArrayBatchedCopyINS1_10OpaqueTypeILj1EEEjLi2ELi128ELi1EEEvPT_NS1_25CatArrInputTensorMetadataIS5_T0_XT2_EXT3_EEENS1_16TensorSizeStrideIS8_Lj4EEEiS8_ ; -- Begin function _ZN2at6native12_GLOBAL__N_119CatArrayBatchedCopyINS1_10OpaqueTypeILj1EEEjLi2ELi128ELi1EEEvPT_NS1_25CatArrInputTensorMetadataIS5_T0_XT2_EXT3_EEENS1_16TensorSizeStrideIS8_Lj4EEEiS8_
	.p2align	8
	.type	_ZN2at6native12_GLOBAL__N_119CatArrayBatchedCopyINS1_10OpaqueTypeILj1EEEjLi2ELi128ELi1EEEvPT_NS1_25CatArrInputTensorMetadataIS5_T0_XT2_EXT3_EEENS1_16TensorSizeStrideIS8_Lj4EEEiS8_,@function
_ZN2at6native12_GLOBAL__N_119CatArrayBatchedCopyINS1_10OpaqueTypeILj1EEEjLi2ELi128ELi1EEEvPT_NS1_25CatArrInputTensorMetadataIS5_T0_XT2_EXT3_EEENS1_16TensorSizeStrideIS8_Lj4EEEiS8_: ; @_ZN2at6native12_GLOBAL__N_119CatArrayBatchedCopyINS1_10OpaqueTypeILj1EEEjLi2ELi128ELi1EEEvPT_NS1_25CatArrInputTensorMetadataIS5_T0_XT2_EXT3_EEENS1_16TensorSizeStrideIS8_Lj4EEEiS8_
; %bb.0:
	s_mov_b32 s6, s3
	s_load_dword s3, s[0:1], 0xadc
	s_or_b32 s10, s0, 8
	s_add_u32 s12, s0, 0xad0
	s_mov_b32 s7, 0
	s_addc_u32 s13, s1, 0
	s_waitcnt lgkmcnt(0)
	s_and_b32 s15, s3, 0xffff
	s_lshl_b64 s[8:9], s[6:7], 2
	s_add_u32 s4, s10, s8
	s_addc_u32 s5, s1, s9
	s_load_dword s14, s[4:5], 0x800
	s_mul_i32 s2, s2, s15
	v_add_u32_e32 v0, s2, v0
	s_waitcnt lgkmcnt(0)
	v_cmp_gt_u32_e32 vcc, s14, v0
	s_and_saveexec_b64 s[2:3], vcc
	s_cbranch_execz .LBB9_5
; %bb.1:
	s_add_u32 s16, s10, s6
	s_addc_u32 s17, s1, 0
	v_mov_b32_e32 v1, 0
	global_load_ubyte v2, v1, s[16:17] offset:2560
	s_mov_b32 s11, s1
	s_load_dwordx2 s[18:19], s[0:1], 0xac8
	s_load_dwordx2 s[2:3], s[0:1], 0x0
	;; [unrolled: 1-line block ×3, first 2 shown]
	s_load_dword s20, s[0:1], 0xa8c
	s_load_dword s21, s[0:1], 0xaac
	;; [unrolled: 1-line block ×3, first 2 shown]
	s_mul_hi_u32 s7, s6, 7
	s_mul_i32 s6, s6, 7
	s_waitcnt lgkmcnt(0)
	s_mul_i32 s15, s22, s15
	s_waitcnt vmcnt(0)
	v_and_b32_e32 v2, 1, v2
	v_cmp_eq_u32_e32 vcc, 1, v2
	s_xor_b64 s[0:1], vcc, -1
	s_add_u32 s12, s16, s6
	s_addc_u32 s13, s17, s7
	s_sub_u32 s6, 0, s8
	s_subb_u32 s7, 0, s9
	s_add_u32 s16, s12, s6
	s_addc_u32 s17, s13, s7
	s_load_dword s23, s[16:17], 0x600
	s_load_dwordx2 s[6:7], s[10:11], 0xa90
	s_load_dwordx2 s[8:9], s[12:13], 0x0
	s_load_dword s24, s[16:17], 0x400
	s_cmp_eq_u32 s18, 1
	s_waitcnt lgkmcnt(0)
	s_cselect_b32 s12, s23, s21
	s_cselect_b32 s13, s23, s20
	v_cvt_f32_u32_e32 v2, s12
	v_cvt_f32_u32_e32 v3, s13
	s_sub_i32 s17, 0, s12
	s_sub_i32 s18, 0, s13
	v_rcp_iflag_f32_e32 v2, v2
	v_rcp_iflag_f32_e32 v3, v3
	v_cndmask_b32_e64 v6, 0, 1, s[0:1]
	s_mov_b64 s[10:11], 0
	v_mul_f32_e32 v2, 0x4f7ffffe, v2
	v_mul_f32_e32 v3, 0x4f7ffffe, v3
	v_cvt_u32_f32_e32 v2, v2
	v_cvt_u32_f32_e32 v3, v3
	s_mul_i32 s16, s24, s19
	v_cmp_ne_u32_e64 s[0:1], 1, v6
	v_mul_lo_u32 v4, s17, v2
	v_mul_lo_u32 v5, s18, v3
	v_mul_hi_u32 v4, v2, v4
	v_mul_hi_u32 v5, v3, v5
	v_add_u32_e32 v4, v2, v4
	v_add_u32_e32 v5, v3, v5
	s_branch .LBB9_3
.LBB9_2:                                ;   in Loop: Header=BB9_3 Depth=1
	v_lshl_add_u64 v[2:3], s[8:9], 0, v[2:3]
	global_load_ubyte v8, v[2:3], off
	v_mul_hi_u32 v6, v4, v0
	v_mad_u64_u32 v[2:3], s[20:21], s17, v6, v[0:1]
	v_not_b32_e32 v7, v6
	v_add_u32_e32 v3, 1, v6
	v_cmp_le_u32_e32 vcc, s12, v2
	s_nop 1
	v_cndmask_b32_e32 v3, v6, v3, vcc
	v_mad_u64_u32 v[6:7], s[20:21], s12, v7, v[0:1]
	v_cndmask_b32_e32 v2, v2, v6, vcc
	v_add_u32_e32 v6, 1, v3
	v_cmp_le_u32_e32 vcc, s12, v2
	s_nop 1
	v_cndmask_b32_e32 v6, v3, v6, vcc
	v_mad_u64_u32 v[2:3], s[20:21], s17, v6, v[0:1]
	v_add_u32_e32 v0, s15, v0
	v_mul_lo_u32 v2, v2, s5
	v_mul_lo_u32 v3, v6, s4
	v_cmp_le_u32_e32 vcc, s14, v0
	v_add3_u32 v2, v2, v3, s16
	s_or_b64 s[10:11], vcc, s[10:11]
	s_waitcnt vmcnt(0)
	global_store_byte v2, v8, s[2:3]
	s_andn2_b64 exec, exec, s[10:11]
	s_cbranch_execz .LBB9_5
.LBB9_3:                                ; =>This Inner Loop Header: Depth=1
	s_and_b64 vcc, exec, s[0:1]
	v_mov_b64_e32 v[2:3], v[0:1]
	s_cbranch_vccnz .LBB9_2
; %bb.4:                                ;   in Loop: Header=BB9_3 Depth=1
	v_mul_hi_u32 v6, v5, v0
	v_mad_u64_u32 v[2:3], s[20:21], s18, v6, v[0:1]
	v_not_b32_e32 v7, v6
	v_add_u32_e32 v3, 1, v6
	v_cmp_le_u32_e32 vcc, s13, v2
	s_nop 1
	v_cndmask_b32_e32 v3, v6, v3, vcc
	v_mad_u64_u32 v[6:7], s[20:21], s13, v7, v[0:1]
	v_cndmask_b32_e32 v2, v2, v6, vcc
	v_add_u32_e32 v6, 1, v3
	v_cmp_le_u32_e32 vcc, s13, v2
	s_nop 1
	v_cndmask_b32_e32 v6, v3, v6, vcc
	v_mad_u64_u32 v[2:3], s[20:21], s18, v6, v[0:1]
	v_mul_lo_u32 v6, v6, s6
	v_mad_u64_u32 v[2:3], s[20:21], v2, s7, v[6:7]
	v_mov_b32_e32 v3, v1
	s_branch .LBB9_2
.LBB9_5:
	s_endpgm
	.section	.rodata,"a",@progbits
	.p2align	6, 0x0
	.amdhsa_kernel _ZN2at6native12_GLOBAL__N_119CatArrayBatchedCopyINS1_10OpaqueTypeILj1EEEjLi2ELi128ELi1EEEvPT_NS1_25CatArrInputTensorMetadataIS5_T0_XT2_EXT3_EEENS1_16TensorSizeStrideIS8_Lj4EEEiS8_
		.amdhsa_group_segment_fixed_size 0
		.amdhsa_private_segment_fixed_size 0
		.amdhsa_kernarg_size 3024
		.amdhsa_user_sgpr_count 2
		.amdhsa_user_sgpr_dispatch_ptr 0
		.amdhsa_user_sgpr_queue_ptr 0
		.amdhsa_user_sgpr_kernarg_segment_ptr 1
		.amdhsa_user_sgpr_dispatch_id 0
		.amdhsa_user_sgpr_kernarg_preload_length 0
		.amdhsa_user_sgpr_kernarg_preload_offset 0
		.amdhsa_user_sgpr_private_segment_size 0
		.amdhsa_uses_dynamic_stack 0
		.amdhsa_enable_private_segment 0
		.amdhsa_system_sgpr_workgroup_id_x 1
		.amdhsa_system_sgpr_workgroup_id_y 1
		.amdhsa_system_sgpr_workgroup_id_z 0
		.amdhsa_system_sgpr_workgroup_info 0
		.amdhsa_system_vgpr_workitem_id 0
		.amdhsa_next_free_vgpr 9
		.amdhsa_next_free_sgpr 25
		.amdhsa_accum_offset 12
		.amdhsa_reserve_vcc 1
		.amdhsa_float_round_mode_32 0
		.amdhsa_float_round_mode_16_64 0
		.amdhsa_float_denorm_mode_32 3
		.amdhsa_float_denorm_mode_16_64 3
		.amdhsa_dx10_clamp 1
		.amdhsa_ieee_mode 1
		.amdhsa_fp16_overflow 0
		.amdhsa_tg_split 0
		.amdhsa_exception_fp_ieee_invalid_op 0
		.amdhsa_exception_fp_denorm_src 0
		.amdhsa_exception_fp_ieee_div_zero 0
		.amdhsa_exception_fp_ieee_overflow 0
		.amdhsa_exception_fp_ieee_underflow 0
		.amdhsa_exception_fp_ieee_inexact 0
		.amdhsa_exception_int_div_zero 0
	.end_amdhsa_kernel
	.section	.text._ZN2at6native12_GLOBAL__N_119CatArrayBatchedCopyINS1_10OpaqueTypeILj1EEEjLi2ELi128ELi1EEEvPT_NS1_25CatArrInputTensorMetadataIS5_T0_XT2_EXT3_EEENS1_16TensorSizeStrideIS8_Lj4EEEiS8_,"axG",@progbits,_ZN2at6native12_GLOBAL__N_119CatArrayBatchedCopyINS1_10OpaqueTypeILj1EEEjLi2ELi128ELi1EEEvPT_NS1_25CatArrInputTensorMetadataIS5_T0_XT2_EXT3_EEENS1_16TensorSizeStrideIS8_Lj4EEEiS8_,comdat
.Lfunc_end9:
	.size	_ZN2at6native12_GLOBAL__N_119CatArrayBatchedCopyINS1_10OpaqueTypeILj1EEEjLi2ELi128ELi1EEEvPT_NS1_25CatArrInputTensorMetadataIS5_T0_XT2_EXT3_EEENS1_16TensorSizeStrideIS8_Lj4EEEiS8_, .Lfunc_end9-_ZN2at6native12_GLOBAL__N_119CatArrayBatchedCopyINS1_10OpaqueTypeILj1EEEjLi2ELi128ELi1EEEvPT_NS1_25CatArrInputTensorMetadataIS5_T0_XT2_EXT3_EEENS1_16TensorSizeStrideIS8_Lj4EEEiS8_
                                        ; -- End function
	.set _ZN2at6native12_GLOBAL__N_119CatArrayBatchedCopyINS1_10OpaqueTypeILj1EEEjLi2ELi128ELi1EEEvPT_NS1_25CatArrInputTensorMetadataIS5_T0_XT2_EXT3_EEENS1_16TensorSizeStrideIS8_Lj4EEEiS8_.num_vgpr, 9
	.set _ZN2at6native12_GLOBAL__N_119CatArrayBatchedCopyINS1_10OpaqueTypeILj1EEEjLi2ELi128ELi1EEEvPT_NS1_25CatArrInputTensorMetadataIS5_T0_XT2_EXT3_EEENS1_16TensorSizeStrideIS8_Lj4EEEiS8_.num_agpr, 0
	.set _ZN2at6native12_GLOBAL__N_119CatArrayBatchedCopyINS1_10OpaqueTypeILj1EEEjLi2ELi128ELi1EEEvPT_NS1_25CatArrInputTensorMetadataIS5_T0_XT2_EXT3_EEENS1_16TensorSizeStrideIS8_Lj4EEEiS8_.numbered_sgpr, 25
	.set _ZN2at6native12_GLOBAL__N_119CatArrayBatchedCopyINS1_10OpaqueTypeILj1EEEjLi2ELi128ELi1EEEvPT_NS1_25CatArrInputTensorMetadataIS5_T0_XT2_EXT3_EEENS1_16TensorSizeStrideIS8_Lj4EEEiS8_.num_named_barrier, 0
	.set _ZN2at6native12_GLOBAL__N_119CatArrayBatchedCopyINS1_10OpaqueTypeILj1EEEjLi2ELi128ELi1EEEvPT_NS1_25CatArrInputTensorMetadataIS5_T0_XT2_EXT3_EEENS1_16TensorSizeStrideIS8_Lj4EEEiS8_.private_seg_size, 0
	.set _ZN2at6native12_GLOBAL__N_119CatArrayBatchedCopyINS1_10OpaqueTypeILj1EEEjLi2ELi128ELi1EEEvPT_NS1_25CatArrInputTensorMetadataIS5_T0_XT2_EXT3_EEENS1_16TensorSizeStrideIS8_Lj4EEEiS8_.uses_vcc, 1
	.set _ZN2at6native12_GLOBAL__N_119CatArrayBatchedCopyINS1_10OpaqueTypeILj1EEEjLi2ELi128ELi1EEEvPT_NS1_25CatArrInputTensorMetadataIS5_T0_XT2_EXT3_EEENS1_16TensorSizeStrideIS8_Lj4EEEiS8_.uses_flat_scratch, 0
	.set _ZN2at6native12_GLOBAL__N_119CatArrayBatchedCopyINS1_10OpaqueTypeILj1EEEjLi2ELi128ELi1EEEvPT_NS1_25CatArrInputTensorMetadataIS5_T0_XT2_EXT3_EEENS1_16TensorSizeStrideIS8_Lj4EEEiS8_.has_dyn_sized_stack, 0
	.set _ZN2at6native12_GLOBAL__N_119CatArrayBatchedCopyINS1_10OpaqueTypeILj1EEEjLi2ELi128ELi1EEEvPT_NS1_25CatArrInputTensorMetadataIS5_T0_XT2_EXT3_EEENS1_16TensorSizeStrideIS8_Lj4EEEiS8_.has_recursion, 0
	.set _ZN2at6native12_GLOBAL__N_119CatArrayBatchedCopyINS1_10OpaqueTypeILj1EEEjLi2ELi128ELi1EEEvPT_NS1_25CatArrInputTensorMetadataIS5_T0_XT2_EXT3_EEENS1_16TensorSizeStrideIS8_Lj4EEEiS8_.has_indirect_call, 0
	.section	.AMDGPU.csdata,"",@progbits
; Kernel info:
; codeLenInByte = 636
; TotalNumSgprs: 31
; NumVgprs: 9
; NumAgprs: 0
; TotalNumVgprs: 9
; ScratchSize: 0
; MemoryBound: 0
; FloatMode: 240
; IeeeMode: 1
; LDSByteSize: 0 bytes/workgroup (compile time only)
; SGPRBlocks: 3
; VGPRBlocks: 1
; NumSGPRsForWavesPerEU: 31
; NumVGPRsForWavesPerEU: 9
; AccumOffset: 12
; Occupancy: 8
; WaveLimiterHint : 1
; COMPUTE_PGM_RSRC2:SCRATCH_EN: 0
; COMPUTE_PGM_RSRC2:USER_SGPR: 2
; COMPUTE_PGM_RSRC2:TRAP_HANDLER: 0
; COMPUTE_PGM_RSRC2:TGID_X_EN: 1
; COMPUTE_PGM_RSRC2:TGID_Y_EN: 1
; COMPUTE_PGM_RSRC2:TGID_Z_EN: 0
; COMPUTE_PGM_RSRC2:TIDIG_COMP_CNT: 0
; COMPUTE_PGM_RSRC3_GFX90A:ACCUM_OFFSET: 2
; COMPUTE_PGM_RSRC3_GFX90A:TG_SPLIT: 0
	.section	.text._ZN2at6native12_GLOBAL__N_130CatArrayBatchedCopy_vectorizedINS1_10OpaqueTypeILj1EEEjLi3ELi128ELi1ELi16ELi16EEEvPcNS1_25CatArrInputTensorMetadataIT_T0_XT2_EXT3_EEENS1_16TensorSizeStrideIS8_Lj4EEEiS8_,"axG",@progbits,_ZN2at6native12_GLOBAL__N_130CatArrayBatchedCopy_vectorizedINS1_10OpaqueTypeILj1EEEjLi3ELi128ELi1ELi16ELi16EEEvPcNS1_25CatArrInputTensorMetadataIT_T0_XT2_EXT3_EEENS1_16TensorSizeStrideIS8_Lj4EEEiS8_,comdat
	.globl	_ZN2at6native12_GLOBAL__N_130CatArrayBatchedCopy_vectorizedINS1_10OpaqueTypeILj1EEEjLi3ELi128ELi1ELi16ELi16EEEvPcNS1_25CatArrInputTensorMetadataIT_T0_XT2_EXT3_EEENS1_16TensorSizeStrideIS8_Lj4EEEiS8_ ; -- Begin function _ZN2at6native12_GLOBAL__N_130CatArrayBatchedCopy_vectorizedINS1_10OpaqueTypeILj1EEEjLi3ELi128ELi1ELi16ELi16EEEvPcNS1_25CatArrInputTensorMetadataIT_T0_XT2_EXT3_EEENS1_16TensorSizeStrideIS8_Lj4EEEiS8_
	.p2align	8
	.type	_ZN2at6native12_GLOBAL__N_130CatArrayBatchedCopy_vectorizedINS1_10OpaqueTypeILj1EEEjLi3ELi128ELi1ELi16ELi16EEEvPcNS1_25CatArrInputTensorMetadataIT_T0_XT2_EXT3_EEENS1_16TensorSizeStrideIS8_Lj4EEEiS8_,@function
_ZN2at6native12_GLOBAL__N_130CatArrayBatchedCopy_vectorizedINS1_10OpaqueTypeILj1EEEjLi3ELi128ELi1ELi16ELi16EEEvPcNS1_25CatArrInputTensorMetadataIT_T0_XT2_EXT3_EEENS1_16TensorSizeStrideIS8_Lj4EEEiS8_: ; @_ZN2at6native12_GLOBAL__N_130CatArrayBatchedCopy_vectorizedINS1_10OpaqueTypeILj1EEEjLi3ELi128ELi1ELi16ELi16EEEvPcNS1_25CatArrInputTensorMetadataIT_T0_XT2_EXT3_EEENS1_16TensorSizeStrideIS8_Lj4EEEiS8_
; %bb.0:
	s_mov_b32 s4, s3
	s_load_dword s3, s[0:1], 0xadc
	s_add_u32 s8, s0, 0xad0
	s_mov_b32 s5, 0
	s_addc_u32 s9, s1, 0
	s_lshl_b64 s[10:11], s[4:5], 2
	s_waitcnt lgkmcnt(0)
	s_and_b32 s13, s3, 0xffff
	s_add_u32 s4, s0, s10
	s_addc_u32 s5, s1, s11
	s_load_dword s6, s[4:5], 0x808
	s_mul_i32 s2, s2, s13
	v_add_u32_e32 v0, s2, v0
	s_add_u32 s2, s4, 8
	s_addc_u32 s3, s5, 0
	s_waitcnt lgkmcnt(0)
	s_lshr_b32 s12, s6, 4
	v_cmp_gt_u32_e32 vcc, s12, v0
	s_and_saveexec_b64 s[4:5], vcc
	s_cbranch_execz .LBB10_3
; %bb.1:
	s_add_u32 s16, s2, s10
	s_addc_u32 s17, s3, s11
	s_sub_u32 s2, 0, s10
	s_load_dwordx2 s[14:15], s[0:1], 0xac8
	s_load_dwordx4 s[4:7], s[0:1], 0xab8
	s_subb_u32 s3, 0, s11
	s_add_u32 s10, s16, s2
	s_addc_u32 s11, s17, s3
	s_load_dwordx2 s[2:3], s[16:17], 0x0
	s_waitcnt lgkmcnt(0)
	s_load_dword s7, s[10:11], 0x400
	s_load_dword s22, s[10:11], 0x600
	s_load_dwordx2 s[18:19], s[0:1], 0x0
	s_load_dwordx2 s[20:21], s[0:1], 0xaac
	s_load_dword s23, s[8:9], 0x0
	s_waitcnt lgkmcnt(0)
	s_mul_i32 s7, s7, s15
	s_mul_i32 s22, s22, s15
	s_and_b32 s8, s7, -16
	s_lshr_b32 s9, s22, 4
	s_cmp_eq_u32 s14, 2
	s_cselect_b32 s7, s9, s21
	v_cvt_f32_u32_e32 v1, s7
	s_cmp_eq_u32 s14, 1
	s_cselect_b32 s11, s9, s20
	v_cvt_f32_u32_e32 v2, s11
	v_rcp_iflag_f32_e32 v1, v1
	s_add_u32 s8, s18, s8
	s_mul_i32 s10, s23, s13
	v_rcp_iflag_f32_e32 v2, v2
	v_mul_f32_e32 v1, 0x4f7ffffe, v1
	v_cvt_u32_f32_e32 v1, v1
	s_addc_u32 s9, s19, 0
	v_mul_f32_e32 v2, 0x4f7ffffe, v2
	v_cvt_u32_f32_e32 v4, v2
	s_sub_i32 s13, 0, s7
	v_mul_lo_u32 v3, s13, v1
	v_mul_hi_u32 v3, v1, v3
	s_sub_i32 s14, 0, s11
	v_add_u32_e32 v2, v1, v3
	v_mul_lo_u32 v3, s14, v4
	v_mul_hi_u32 v3, v4, v3
	s_mov_b64 s[0:1], 0
	v_mov_b32_e32 v1, 0
	v_add_u32_e32 v3, v4, v3
.LBB10_2:                               ; =>This Inner Loop Header: Depth=1
	v_lshl_add_u64 v[4:5], v[0:1], 4, s[2:3]
	global_load_dwordx4 v[4:7], v[4:5], off
	v_mul_hi_u32 v8, v2, v0
	v_mul_lo_u32 v10, s7, v8
	v_not_b32_e32 v11, v8
	v_sub_u32_e32 v13, v0, v10
	v_add_u32_e32 v12, 1, v8
	v_mad_u64_u32 v[10:11], s[14:15], s7, v11, v[0:1]
	v_cmp_le_u32_e32 vcc, s7, v13
	v_mov_b32_e32 v9, v1
	s_nop 0
	v_cndmask_b32_e32 v8, v8, v12, vcc
	v_cndmask_b32_e32 v10, v13, v10, vcc
	v_add_u32_e32 v11, 1, v8
	v_cmp_le_u32_e32 vcc, s7, v10
	s_nop 1
	v_cndmask_b32_e32 v8, v8, v11, vcc
	v_mad_u64_u32 v[10:11], s[14:15], s13, v8, v[0:1]
	v_mul_hi_u32 v11, v8, v3
	v_add_u32_e32 v0, s10, v0
	v_mul_lo_u32 v12, v11, s11
	v_cmp_le_u32_e32 vcc, s12, v0
	v_sub_u32_e32 v12, v8, v12
	v_add_u32_e32 v13, 1, v11
	s_or_b64 s[0:1], vcc, s[0:1]
	v_cmp_le_u32_e32 vcc, s11, v12
	v_mul_lo_u32 v10, v10, s6
	s_nop 0
	v_cndmask_b32_e32 v11, v11, v13, vcc
	v_subrev_u32_e32 v13, s11, v12
	v_cndmask_b32_e32 v12, v12, v13, vcc
	v_add_u32_e32 v13, 1, v11
	v_cmp_le_u32_e32 vcc, s11, v12
	s_nop 1
	v_cndmask_b32_e32 v11, v11, v13, vcc
	v_mul_lo_u32 v12, v11, s11
	v_sub_u32_e32 v8, v8, v12
	v_mul_lo_u32 v11, v11, s4
	v_mul_lo_u32 v8, v8, s5
	v_add3_u32 v8, v10, v11, v8
	v_lshl_add_u64 v[8:9], v[8:9], 4, s[8:9]
	s_waitcnt vmcnt(0)
	global_store_dwordx4 v[8:9], v[4:7], off
	s_andn2_b64 exec, exec, s[0:1]
	s_cbranch_execnz .LBB10_2
.LBB10_3:
	s_endpgm
	.section	.rodata,"a",@progbits
	.p2align	6, 0x0
	.amdhsa_kernel _ZN2at6native12_GLOBAL__N_130CatArrayBatchedCopy_vectorizedINS1_10OpaqueTypeILj1EEEjLi3ELi128ELi1ELi16ELi16EEEvPcNS1_25CatArrInputTensorMetadataIT_T0_XT2_EXT3_EEENS1_16TensorSizeStrideIS8_Lj4EEEiS8_
		.amdhsa_group_segment_fixed_size 0
		.amdhsa_private_segment_fixed_size 0
		.amdhsa_kernarg_size 3024
		.amdhsa_user_sgpr_count 2
		.amdhsa_user_sgpr_dispatch_ptr 0
		.amdhsa_user_sgpr_queue_ptr 0
		.amdhsa_user_sgpr_kernarg_segment_ptr 1
		.amdhsa_user_sgpr_dispatch_id 0
		.amdhsa_user_sgpr_kernarg_preload_length 0
		.amdhsa_user_sgpr_kernarg_preload_offset 0
		.amdhsa_user_sgpr_private_segment_size 0
		.amdhsa_uses_dynamic_stack 0
		.amdhsa_enable_private_segment 0
		.amdhsa_system_sgpr_workgroup_id_x 1
		.amdhsa_system_sgpr_workgroup_id_y 1
		.amdhsa_system_sgpr_workgroup_id_z 0
		.amdhsa_system_sgpr_workgroup_info 0
		.amdhsa_system_vgpr_workitem_id 0
		.amdhsa_next_free_vgpr 14
		.amdhsa_next_free_sgpr 24
		.amdhsa_accum_offset 16
		.amdhsa_reserve_vcc 1
		.amdhsa_float_round_mode_32 0
		.amdhsa_float_round_mode_16_64 0
		.amdhsa_float_denorm_mode_32 3
		.amdhsa_float_denorm_mode_16_64 3
		.amdhsa_dx10_clamp 1
		.amdhsa_ieee_mode 1
		.amdhsa_fp16_overflow 0
		.amdhsa_tg_split 0
		.amdhsa_exception_fp_ieee_invalid_op 0
		.amdhsa_exception_fp_denorm_src 0
		.amdhsa_exception_fp_ieee_div_zero 0
		.amdhsa_exception_fp_ieee_overflow 0
		.amdhsa_exception_fp_ieee_underflow 0
		.amdhsa_exception_fp_ieee_inexact 0
		.amdhsa_exception_int_div_zero 0
	.end_amdhsa_kernel
	.section	.text._ZN2at6native12_GLOBAL__N_130CatArrayBatchedCopy_vectorizedINS1_10OpaqueTypeILj1EEEjLi3ELi128ELi1ELi16ELi16EEEvPcNS1_25CatArrInputTensorMetadataIT_T0_XT2_EXT3_EEENS1_16TensorSizeStrideIS8_Lj4EEEiS8_,"axG",@progbits,_ZN2at6native12_GLOBAL__N_130CatArrayBatchedCopy_vectorizedINS1_10OpaqueTypeILj1EEEjLi3ELi128ELi1ELi16ELi16EEEvPcNS1_25CatArrInputTensorMetadataIT_T0_XT2_EXT3_EEENS1_16TensorSizeStrideIS8_Lj4EEEiS8_,comdat
.Lfunc_end10:
	.size	_ZN2at6native12_GLOBAL__N_130CatArrayBatchedCopy_vectorizedINS1_10OpaqueTypeILj1EEEjLi3ELi128ELi1ELi16ELi16EEEvPcNS1_25CatArrInputTensorMetadataIT_T0_XT2_EXT3_EEENS1_16TensorSizeStrideIS8_Lj4EEEiS8_, .Lfunc_end10-_ZN2at6native12_GLOBAL__N_130CatArrayBatchedCopy_vectorizedINS1_10OpaqueTypeILj1EEEjLi3ELi128ELi1ELi16ELi16EEEvPcNS1_25CatArrInputTensorMetadataIT_T0_XT2_EXT3_EEENS1_16TensorSizeStrideIS8_Lj4EEEiS8_
                                        ; -- End function
	.set _ZN2at6native12_GLOBAL__N_130CatArrayBatchedCopy_vectorizedINS1_10OpaqueTypeILj1EEEjLi3ELi128ELi1ELi16ELi16EEEvPcNS1_25CatArrInputTensorMetadataIT_T0_XT2_EXT3_EEENS1_16TensorSizeStrideIS8_Lj4EEEiS8_.num_vgpr, 14
	.set _ZN2at6native12_GLOBAL__N_130CatArrayBatchedCopy_vectorizedINS1_10OpaqueTypeILj1EEEjLi3ELi128ELi1ELi16ELi16EEEvPcNS1_25CatArrInputTensorMetadataIT_T0_XT2_EXT3_EEENS1_16TensorSizeStrideIS8_Lj4EEEiS8_.num_agpr, 0
	.set _ZN2at6native12_GLOBAL__N_130CatArrayBatchedCopy_vectorizedINS1_10OpaqueTypeILj1EEEjLi3ELi128ELi1ELi16ELi16EEEvPcNS1_25CatArrInputTensorMetadataIT_T0_XT2_EXT3_EEENS1_16TensorSizeStrideIS8_Lj4EEEiS8_.numbered_sgpr, 24
	.set _ZN2at6native12_GLOBAL__N_130CatArrayBatchedCopy_vectorizedINS1_10OpaqueTypeILj1EEEjLi3ELi128ELi1ELi16ELi16EEEvPcNS1_25CatArrInputTensorMetadataIT_T0_XT2_EXT3_EEENS1_16TensorSizeStrideIS8_Lj4EEEiS8_.num_named_barrier, 0
	.set _ZN2at6native12_GLOBAL__N_130CatArrayBatchedCopy_vectorizedINS1_10OpaqueTypeILj1EEEjLi3ELi128ELi1ELi16ELi16EEEvPcNS1_25CatArrInputTensorMetadataIT_T0_XT2_EXT3_EEENS1_16TensorSizeStrideIS8_Lj4EEEiS8_.private_seg_size, 0
	.set _ZN2at6native12_GLOBAL__N_130CatArrayBatchedCopy_vectorizedINS1_10OpaqueTypeILj1EEEjLi3ELi128ELi1ELi16ELi16EEEvPcNS1_25CatArrInputTensorMetadataIT_T0_XT2_EXT3_EEENS1_16TensorSizeStrideIS8_Lj4EEEiS8_.uses_vcc, 1
	.set _ZN2at6native12_GLOBAL__N_130CatArrayBatchedCopy_vectorizedINS1_10OpaqueTypeILj1EEEjLi3ELi128ELi1ELi16ELi16EEEvPcNS1_25CatArrInputTensorMetadataIT_T0_XT2_EXT3_EEENS1_16TensorSizeStrideIS8_Lj4EEEiS8_.uses_flat_scratch, 0
	.set _ZN2at6native12_GLOBAL__N_130CatArrayBatchedCopy_vectorizedINS1_10OpaqueTypeILj1EEEjLi3ELi128ELi1ELi16ELi16EEEvPcNS1_25CatArrInputTensorMetadataIT_T0_XT2_EXT3_EEENS1_16TensorSizeStrideIS8_Lj4EEEiS8_.has_dyn_sized_stack, 0
	.set _ZN2at6native12_GLOBAL__N_130CatArrayBatchedCopy_vectorizedINS1_10OpaqueTypeILj1EEEjLi3ELi128ELi1ELi16ELi16EEEvPcNS1_25CatArrInputTensorMetadataIT_T0_XT2_EXT3_EEENS1_16TensorSizeStrideIS8_Lj4EEEiS8_.has_recursion, 0
	.set _ZN2at6native12_GLOBAL__N_130CatArrayBatchedCopy_vectorizedINS1_10OpaqueTypeILj1EEEjLi3ELi128ELi1ELi16ELi16EEEvPcNS1_25CatArrInputTensorMetadataIT_T0_XT2_EXT3_EEENS1_16TensorSizeStrideIS8_Lj4EEEiS8_.has_indirect_call, 0
	.section	.AMDGPU.csdata,"",@progbits
; Kernel info:
; codeLenInByte = 576
; TotalNumSgprs: 30
; NumVgprs: 14
; NumAgprs: 0
; TotalNumVgprs: 14
; ScratchSize: 0
; MemoryBound: 0
; FloatMode: 240
; IeeeMode: 1
; LDSByteSize: 0 bytes/workgroup (compile time only)
; SGPRBlocks: 3
; VGPRBlocks: 1
; NumSGPRsForWavesPerEU: 30
; NumVGPRsForWavesPerEU: 14
; AccumOffset: 16
; Occupancy: 8
; WaveLimiterHint : 1
; COMPUTE_PGM_RSRC2:SCRATCH_EN: 0
; COMPUTE_PGM_RSRC2:USER_SGPR: 2
; COMPUTE_PGM_RSRC2:TRAP_HANDLER: 0
; COMPUTE_PGM_RSRC2:TGID_X_EN: 1
; COMPUTE_PGM_RSRC2:TGID_Y_EN: 1
; COMPUTE_PGM_RSRC2:TGID_Z_EN: 0
; COMPUTE_PGM_RSRC2:TIDIG_COMP_CNT: 0
; COMPUTE_PGM_RSRC3_GFX90A:ACCUM_OFFSET: 3
; COMPUTE_PGM_RSRC3_GFX90A:TG_SPLIT: 0
	.section	.text._ZN2at6native12_GLOBAL__N_135CatArrayBatchedCopy_alignedK_contigINS1_10OpaqueTypeILj1EEEjLi3ELi128ELi1ELi16EEEvPT_NS1_25CatArrInputTensorMetadataIS5_T0_XT2_EXT3_EEENS1_16TensorSizeStrideIS8_Lj4EEEiS8_,"axG",@progbits,_ZN2at6native12_GLOBAL__N_135CatArrayBatchedCopy_alignedK_contigINS1_10OpaqueTypeILj1EEEjLi3ELi128ELi1ELi16EEEvPT_NS1_25CatArrInputTensorMetadataIS5_T0_XT2_EXT3_EEENS1_16TensorSizeStrideIS8_Lj4EEEiS8_,comdat
	.globl	_ZN2at6native12_GLOBAL__N_135CatArrayBatchedCopy_alignedK_contigINS1_10OpaqueTypeILj1EEEjLi3ELi128ELi1ELi16EEEvPT_NS1_25CatArrInputTensorMetadataIS5_T0_XT2_EXT3_EEENS1_16TensorSizeStrideIS8_Lj4EEEiS8_ ; -- Begin function _ZN2at6native12_GLOBAL__N_135CatArrayBatchedCopy_alignedK_contigINS1_10OpaqueTypeILj1EEEjLi3ELi128ELi1ELi16EEEvPT_NS1_25CatArrInputTensorMetadataIS5_T0_XT2_EXT3_EEENS1_16TensorSizeStrideIS8_Lj4EEEiS8_
	.p2align	8
	.type	_ZN2at6native12_GLOBAL__N_135CatArrayBatchedCopy_alignedK_contigINS1_10OpaqueTypeILj1EEEjLi3ELi128ELi1ELi16EEEvPT_NS1_25CatArrInputTensorMetadataIS5_T0_XT2_EXT3_EEENS1_16TensorSizeStrideIS8_Lj4EEEiS8_,@function
_ZN2at6native12_GLOBAL__N_135CatArrayBatchedCopy_alignedK_contigINS1_10OpaqueTypeILj1EEEjLi3ELi128ELi1ELi16EEEvPT_NS1_25CatArrInputTensorMetadataIS5_T0_XT2_EXT3_EEENS1_16TensorSizeStrideIS8_Lj4EEEiS8_: ; @_ZN2at6native12_GLOBAL__N_135CatArrayBatchedCopy_alignedK_contigINS1_10OpaqueTypeILj1EEEjLi3ELi128ELi1ELi16EEEvPT_NS1_25CatArrInputTensorMetadataIS5_T0_XT2_EXT3_EEENS1_16TensorSizeStrideIS8_Lj4EEEiS8_
; %bb.0:
	s_mov_b32 s6, s3
	s_load_dword s3, s[0:1], 0xadc
	s_add_u32 s4, s0, 0xad0
	s_mov_b32 s7, 0
	s_addc_u32 s5, s1, 0
	s_lshl_b64 s[6:7], s[6:7], 2
	s_waitcnt lgkmcnt(0)
	s_and_b32 s3, s3, 0xffff
	s_add_u32 s8, s0, s6
	s_addc_u32 s9, s1, s7
	s_load_dword s28, s[8:9], 0x808
	s_mul_i32 s2, s2, s3
	v_add_lshl_u32 v16, s2, v0, 4
	s_add_u32 s2, s8, 8
	s_addc_u32 s12, s9, 0
	s_waitcnt lgkmcnt(0)
	v_cmp_gt_u32_e32 vcc, s28, v16
	s_and_saveexec_b64 s[8:9], vcc
	s_cbranch_execz .LBB11_10
; %bb.1:
	s_add_u32 s18, s2, s6
	s_addc_u32 s19, s12, s7
	s_sub_u32 s2, 0, s6
	s_load_dwordx2 s[14:15], s[0:1], 0xac8
	s_load_dwordx4 s[8:11], s[0:1], 0xab8
	s_subb_u32 s6, 0, s7
	s_add_u32 s20, s18, s2
	s_addc_u32 s21, s19, s6
	s_waitcnt lgkmcnt(0)
	s_load_dword s11, s[20:21], 0x400
	s_load_dwordx2 s[6:7], s[0:1], 0x0
	s_load_dwordx2 s[16:17], s[0:1], 0xaac
	s_load_dwordx2 s[12:13], s[18:19], 0x0
	s_load_dword s29, s[20:21], 0x600
	v_add_u32_e32 v0, 16, v16
	s_mov_b64 s[18:19], 0
	s_waitcnt lgkmcnt(0)
	s_mul_i32 s11, s11, s15
	v_cmp_ge_u32_e32 vcc, s28, v0
	s_and_saveexec_b64 s[20:21], vcc
	s_cbranch_execz .LBB11_7
; %bb.2:
	s_load_dword s0, s[4:5], 0x0
	v_mov_b32_e32 v17, 0
	s_mov_b32 s23, 0
	v_add_u32_e32 v23, 3, v16
	v_add_u32_e32 v26, 2, v16
	s_waitcnt lgkmcnt(0)
	s_mul_i32 s0, s0, s3
	s_lshl_b32 s22, s0, 4
	s_cmp_eq_u32 s14, 2
	s_cselect_b32 s15, s29, s17
	s_cmp_eq_u32 s14, 1
	v_cvt_f32_u32_e32 v0, s15
	s_cselect_b32 s30, s29, s16
	v_cvt_f32_u32_e32 v1, s30
	s_sub_i32 s31, 0, s15
	v_rcp_iflag_f32_e32 v0, v0
	s_sub_i32 s0, 0, s30
	v_rcp_iflag_f32_e32 v1, v1
	v_add_u32_e32 v27, 1, v16
	v_mul_f32_e32 v0, 0x4f7ffffe, v0
	v_cvt_u32_f32_e32 v0, v0
	v_mul_f32_e32 v1, 0x4f7ffffe, v1
	v_cvt_u32_f32_e32 v1, v1
	v_mov_b32_e32 v4, v17
	v_mul_lo_u32 v2, s31, v0
	v_mul_hi_u32 v2, v0, v2
	v_mul_lo_u32 v3, s0, v1
	v_add_u32_e32 v24, v0, v2
	v_mul_hi_u32 v0, v1, v3
	v_add_u32_e32 v25, v1, v0
	v_mov_b32_e32 v0, v17
	v_mov_b32_e32 v1, v17
	;; [unrolled: 1-line block ×15, first 2 shown]
	v_mov_b64_e32 v[18:19], v[16:17]
	s_mov_b64 s[24:25], 0
.LBB11_3:                               ; =>This Loop Header: Depth=1
                                        ;     Child Loop BB11_4 Depth 2
	v_lshl_add_u64 v[20:21], v[16:17], 0, s[24:25]
	s_mov_b64 s[26:27], 0
	v_mov_b32_e32 v21, v18
	v_mov_b32_e32 v28, v27
	;; [unrolled: 1-line block ×4, first 2 shown]
.LBB11_4:                               ;   Parent Loop BB11_3 Depth=1
                                        ; =>  This Inner Loop Header: Depth=2
	v_mul_hi_u32 v32, v24, v29
	v_mul_hi_u32 v33, v24, v28
	;; [unrolled: 1-line block ×3, first 2 shown]
	v_add_u32_e32 v22, s26, v18
	v_not_b32_e32 v38, v32
	v_not_b32_e32 v39, v33
	;; [unrolled: 1-line block ×3, first 2 shown]
	v_mul_hi_u32 v31, v24, v30
	v_add_u32_e32 v35, s26, v20
	v_mul_lo_u32 v40, s15, v32
	v_mul_lo_u32 v41, s15, v33
	v_mul_hi_u32 v43, v22, v24
	v_mad_u64_u32 v[32:33], s[0:1], s31, v34, v[22:23]
	v_mul_lo_u32 v44, s15, v38
	v_mul_lo_u32 v45, s15, v39
	v_mad_u64_u32 v[38:39], s[0:1], s15, v42, v[22:23]
	v_mul_lo_u32 v37, s15, v31
	v_not_b32_e32 v31, v31
	v_add_u32_e32 v33, 1, v22
	v_add_u32_e32 v46, 1, v43
	v_sub_u32_e32 v39, v35, v41
	v_cmp_le_u32_e32 vcc, s15, v32
	v_add_u32_e32 v34, 2, v22
	v_mul_lo_u32 v31, s15, v31
	v_mul_hi_u32 v33, v33, v24
	v_sub_u32_e32 v40, v35, v40
	v_cndmask_b32_e32 v43, v43, v46, vcc
	v_cndmask_b32_e32 v32, v32, v38, vcc
	v_add_u32_e32 v38, 1, v39
	v_add_u32_e32 v36, 3, v22
	v_mul_hi_u32 v41, v34, v24
	v_sub_u32_e32 v37, v35, v37
	v_add_u32_e32 v39, 1, v33
	v_add3_u32 v45, v45, v35, 1
	v_add_u32_e32 v40, 2, v40
	v_add3_u32 v44, v44, v35, 2
	v_add3_u32 v31, v31, v35, 3
	v_add_u32_e32 v35, 1, v43
	v_cmp_le_u32_e32 vcc, s15, v38
	v_cmp_le_u32_e64 s[4:5], s15, v32
	v_mul_hi_u32 v42, v36, v24
	v_add_u32_e32 v46, 1, v41
	v_add_u32_e32 v37, 3, v37
	v_cndmask_b32_e32 v39, v33, v39, vcc
	v_cmp_le_u32_e64 s[0:1], s15, v40
	v_cndmask_b32_e64 v43, v43, v35, s[4:5]
	v_cndmask_b32_e32 v35, v38, v45, vcc
	v_add_u32_e32 v47, 1, v42
	v_cndmask_b32_e64 v41, v41, v46, s[0:1]
	v_cmp_le_u32_e64 s[2:3], s15, v37
	v_add_u32_e32 v38, 1, v39
	v_cndmask_b32_e64 v40, v40, v44, s[0:1]
	v_cmp_le_u32_e32 vcc, s15, v35
	v_cndmask_b32_e64 v42, v42, v47, s[2:3]
	v_add_u32_e32 v44, 1, v41
	v_cndmask_b32_e64 v31, v37, v31, s[2:3]
	v_cndmask_b32_e32 v38, v39, v38, vcc
	v_cmp_le_u32_e32 vcc, s15, v40
	v_add_u32_e32 v37, 1, v42
	v_mul_hi_u32 v45, v43, v25
	v_cndmask_b32_e32 v39, v41, v44, vcc
	v_cmp_le_u32_e32 vcc, s15, v31
	v_mad_u64_u32 v[32:33], s[0:1], s31, v43, v[22:23]
	s_nop 0
	v_cndmask_b32_e32 v31, v42, v37, vcc
	v_mul_lo_u32 v41, v45, s30
	v_mad_u64_u32 v[36:37], s[0:1], s31, v31, v[36:37]
	v_mul_lo_u32 v40, v32, s10
	v_mad_u64_u32 v[32:33], s[0:1], s31, v38, v[22:23]
	v_mul_hi_u32 v22, v38, v25
	v_sub_u32_e32 v37, v43, v41
	v_add_u32_e32 v42, 1, v45
	v_mad_u64_u32 v[34:35], s[0:1], s31, v39, v[34:35]
	v_mul_hi_u32 v33, v39, v25
	v_mul_lo_u32 v41, v22, s30
	v_cmp_le_u32_e32 vcc, s30, v37
	v_mul_hi_u32 v35, v31, v25
	v_mul_lo_u32 v46, v33, s30
	v_cndmask_b32_e32 v42, v45, v42, vcc
	v_subrev_u32_e32 v45, s30, v37
	v_sub_u32_e32 v41, v38, v41
	v_add_u32_e32 v44, 1, v22
	v_mul_lo_u32 v48, v35, s30
	v_sub_u32_e32 v46, v39, v46
	v_cndmask_b32_e32 v37, v37, v45, vcc
	v_cmp_le_u32_e32 vcc, s30, v41
	v_add_u32_e32 v47, 1, v33
	v_sub_u32_e32 v48, v31, v48
	v_cndmask_b32_e32 v22, v22, v44, vcc
	v_subrev_u32_e32 v44, s30, v41
	v_cmp_le_u32_e64 s[0:1], s30, v46
	v_add_u32_e32 v49, 1, v35
	v_add_u32_e32 v45, 1, v42
	v_cndmask_b32_e64 v33, v33, v47, s[0:1]
	v_subrev_u32_e32 v47, s30, v46
	v_cmp_le_u32_e64 s[2:3], s30, v48
	v_cmp_le_u32_e64 s[4:5], s30, v37
	v_cndmask_b32_e32 v41, v41, v44, vcc
	v_cndmask_b32_e64 v35, v35, v49, s[2:3]
	v_subrev_u32_e32 v49, s30, v48
	v_cndmask_b32_e64 v37, v42, v45, s[4:5]
	v_add_u32_e32 v42, 1, v22
	v_cndmask_b32_e64 v44, v46, v47, s[0:1]
	v_cmp_le_u32_e32 vcc, s30, v41
	v_add_u32_e32 v45, 1, v33
	v_cndmask_b32_e64 v46, v48, v49, s[2:3]
	v_mul_lo_u32 v48, v37, s30
	v_cndmask_b32_e32 v22, v22, v42, vcc
	v_cmp_le_u32_e32 vcc, s30, v44
	v_add_u32_e32 v47, 1, v35
	v_sub_u32_e32 v41, v43, v48
	v_cndmask_b32_e32 v33, v33, v45, vcc
	v_cmp_le_u32_e32 vcc, s30, v46
	v_mul_lo_u32 v42, v22, s30
	s_add_i32 s33, s26, 1
	s_add_i32 s34, s26, 2
	s_add_i32 s35, s26, 3
	v_mul_lo_u32 v32, s10, v32
	v_mul_lo_u32 v37, v37, s8
	v_cndmask_b32_e32 v35, v35, v47, vcc
	v_mul_lo_u32 v43, v33, s30
	v_mul_lo_u32 v41, v41, s9
	v_sub_u32_e32 v38, v38, v42
	v_add_u32_e32 v32, s10, v32
	v_mul_lo_u32 v22, v22, s8
	v_mul_lo_u32 v44, v35, s30
	v_sub_u32_e32 v39, v39, v43
	v_add3_u32 v37, v40, v37, v41
	v_mul_lo_u32 v38, v38, s9
	s_set_gpr_idx_on s26, gpr_idx(DST)
	v_mov_b32_e32 v0, v37
	s_set_gpr_idx_off
	s_add_u32 s26, s26, 4
	v_mul_lo_u32 v34, v34, s10
	v_mul_lo_u32 v33, v33, s8
	v_sub_u32_e32 v31, v31, v44
	v_mul_lo_u32 v39, v39, s9
	v_add3_u32 v22, v32, v22, v38
	s_set_gpr_idx_on s33, gpr_idx(DST)
	v_mov_b32_e32 v0, v22
	s_set_gpr_idx_off
	s_addc_u32 s27, s27, 0
	v_add_u32_e32 v30, 4, v30
	v_add_u32_e32 v29, 4, v29
	;; [unrolled: 1-line block ×4, first 2 shown]
	v_mul_lo_u32 v36, v36, s10
	v_mul_lo_u32 v35, v35, s8
	;; [unrolled: 1-line block ×3, first 2 shown]
	v_add3_u32 v32, v34, v33, v39
	s_set_gpr_idx_on s34, gpr_idx(DST)
	v_mov_b32_e32 v0, v32
	s_set_gpr_idx_off
	s_cmp_eq_u32 s26, 16
	v_add3_u32 v31, v36, v35, v31
	s_set_gpr_idx_on s35, gpr_idx(DST)
	v_mov_b32_e32 v0, v31
	s_set_gpr_idx_off
	s_cbranch_scc0 .LBB11_4
; %bb.5:                                ;   in Loop: Header=BB11_3 Depth=1
	global_load_dwordx4 v[28:31], v18, s[12:13]
	v_lshl_add_u64 v[18:19], v[18:19], 0, s[22:23]
	s_add_u32 s24, s24, s22
	v_add_u32_e32 v45, 16, v18
	s_addc_u32 s25, s25, 0
	v_cmp_lt_u32_e32 vcc, s28, v45
	v_add_u32_e32 v20, s11, v0
	v_add_u32_e32 v23, s22, v23
	;; [unrolled: 1-line block ×3, first 2 shown]
	s_or_b64 s[18:19], vcc, s[18:19]
	v_add_u32_e32 v27, s22, v27
	v_add_u32_e32 v21, s11, v1
	;; [unrolled: 1-line block ×16, first 2 shown]
	s_waitcnt vmcnt(0)
	v_lshrrev_b32_e32 v45, 8, v28
	v_lshrrev_b32_e32 v46, 24, v28
	;; [unrolled: 1-line block ×8, first 2 shown]
	global_store_byte v20, v28, s[6:7]
	global_store_byte v21, v45, s[6:7]
	global_store_byte_d16_hi v22, v28, s[6:7]
	global_store_byte v32, v46, s[6:7]
	global_store_byte v33, v29, s[6:7]
	global_store_byte v34, v47, s[6:7]
	global_store_byte_d16_hi v35, v29, s[6:7]
	global_store_byte v36, v48, s[6:7]
	;; [unrolled: 4-line block ×4, first 2 shown]
	s_andn2_b64 exec, exec, s[18:19]
	s_cbranch_execnz .LBB11_3
; %bb.6:
	s_or_b64 exec, exec, s[18:19]
	v_mov_b32_e32 v16, v18
.LBB11_7:
	s_or_b64 exec, exec, s[20:21]
	v_cmp_gt_u32_e32 vcc, s28, v16
	s_and_b64 exec, exec, vcc
	s_cbranch_execz .LBB11_10
; %bb.8:
	s_cmp_eq_u32 s14, 2
	s_cselect_b32 s4, s29, s17
	v_cvt_f32_u32_e32 v0, s4
	s_cmp_eq_u32 s14, 1
	s_cselect_b32 s5, s29, s16
	v_cvt_f32_u32_e32 v2, s5
	v_rcp_iflag_f32_e32 v0, v0
	s_sub_i32 s0, 0, s4
	s_sub_i32 s1, 0, s5
	v_rcp_iflag_f32_e32 v2, v2
	v_mul_f32_e32 v0, 0x4f7ffffe, v0
	v_cvt_u32_f32_e32 v0, v0
	v_mov_b32_e32 v1, 0
	v_mul_f32_e32 v2, 0x4f7ffffe, v2
	v_cvt_u32_f32_e32 v2, v2
	v_mul_lo_u32 v3, s0, v0
	v_mul_hi_u32 v3, v0, v3
	v_add_u32_e32 v0, v0, v3
	v_mul_lo_u32 v3, s1, v2
	v_mul_hi_u32 v3, v2, v3
	v_add_u32_e32 v4, v2, v3
	v_mov_b32_e32 v17, v1
	v_mad_u64_u32 v[2:3], s[0:1], v16, v0, 0
	s_mov_b64 s[2:3], 0
.LBB11_9:                               ; =>This Inner Loop Header: Depth=1
	v_lshl_add_u64 v[6:7], s[12:13], 0, v[16:17]
	global_load_ubyte v5, v[6:7], off
	v_mul_lo_u32 v6, s4, v3
	v_not_b32_e32 v7, v3
	v_sub_u32_e32 v9, v16, v6
	v_add_u32_e32 v8, 1, v3
	v_mad_u64_u32 v[6:7], s[0:1], s4, v7, v[16:17]
	v_cmp_le_u32_e32 vcc, s4, v9
	s_nop 1
	v_cndmask_b32_e32 v7, v3, v8, vcc
	v_cndmask_b32_e32 v6, v9, v6, vcc
	v_add_u32_e32 v8, 1, v7
	v_cmp_le_u32_e32 vcc, s4, v6
	v_lshl_add_u64 v[2:3], v[2:3], 0, v[0:1]
	s_nop 0
	v_cndmask_b32_e32 v7, v7, v8, vcc
	v_mul_hi_u32 v6, v7, v4
	v_mul_lo_u32 v9, v6, s5
	v_sub_u32_e32 v9, v7, v9
	v_mul_lo_u32 v8, v7, s4
	v_add_u32_e32 v10, 1, v6
	v_cmp_le_u32_e64 s[0:1], s5, v9
	v_sub_u32_e32 v8, v16, v8
	v_lshl_add_u64 v[16:17], v[16:17], 0, 1
	v_cndmask_b32_e64 v6, v6, v10, s[0:1]
	v_subrev_u32_e32 v10, s5, v9
	v_cmp_le_u32_e32 vcc, s28, v16
	v_cndmask_b32_e64 v9, v9, v10, s[0:1]
	s_or_b64 s[2:3], vcc, s[2:3]
	v_add_u32_e32 v10, 1, v6
	v_cmp_le_u32_e32 vcc, s5, v9
	s_nop 1
	v_cndmask_b32_e32 v6, v6, v10, vcc
	v_mul_lo_u32 v9, v6, s5
	v_mul_lo_u32 v6, v6, s8
	v_sub_u32_e32 v9, v7, v9
	v_mad_u64_u32 v[6:7], s[0:1], v8, s10, v[6:7]
	v_mul_lo_u32 v7, v9, s9
	v_add3_u32 v6, v6, v7, s11
	s_waitcnt vmcnt(0)
	global_store_byte v6, v5, s[6:7]
	s_andn2_b64 exec, exec, s[2:3]
	s_cbranch_execnz .LBB11_9
.LBB11_10:
	s_endpgm
	.section	.rodata,"a",@progbits
	.p2align	6, 0x0
	.amdhsa_kernel _ZN2at6native12_GLOBAL__N_135CatArrayBatchedCopy_alignedK_contigINS1_10OpaqueTypeILj1EEEjLi3ELi128ELi1ELi16EEEvPT_NS1_25CatArrInputTensorMetadataIS5_T0_XT2_EXT3_EEENS1_16TensorSizeStrideIS8_Lj4EEEiS8_
		.amdhsa_group_segment_fixed_size 0
		.amdhsa_private_segment_fixed_size 0
		.amdhsa_kernarg_size 3024
		.amdhsa_user_sgpr_count 2
		.amdhsa_user_sgpr_dispatch_ptr 0
		.amdhsa_user_sgpr_queue_ptr 0
		.amdhsa_user_sgpr_kernarg_segment_ptr 1
		.amdhsa_user_sgpr_dispatch_id 0
		.amdhsa_user_sgpr_kernarg_preload_length 0
		.amdhsa_user_sgpr_kernarg_preload_offset 0
		.amdhsa_user_sgpr_private_segment_size 0
		.amdhsa_uses_dynamic_stack 0
		.amdhsa_enable_private_segment 0
		.amdhsa_system_sgpr_workgroup_id_x 1
		.amdhsa_system_sgpr_workgroup_id_y 1
		.amdhsa_system_sgpr_workgroup_id_z 0
		.amdhsa_system_sgpr_workgroup_info 0
		.amdhsa_system_vgpr_workitem_id 0
		.amdhsa_next_free_vgpr 53
		.amdhsa_next_free_sgpr 36
		.amdhsa_accum_offset 56
		.amdhsa_reserve_vcc 1
		.amdhsa_float_round_mode_32 0
		.amdhsa_float_round_mode_16_64 0
		.amdhsa_float_denorm_mode_32 3
		.amdhsa_float_denorm_mode_16_64 3
		.amdhsa_dx10_clamp 1
		.amdhsa_ieee_mode 1
		.amdhsa_fp16_overflow 0
		.amdhsa_tg_split 0
		.amdhsa_exception_fp_ieee_invalid_op 0
		.amdhsa_exception_fp_denorm_src 0
		.amdhsa_exception_fp_ieee_div_zero 0
		.amdhsa_exception_fp_ieee_overflow 0
		.amdhsa_exception_fp_ieee_underflow 0
		.amdhsa_exception_fp_ieee_inexact 0
		.amdhsa_exception_int_div_zero 0
	.end_amdhsa_kernel
	.section	.text._ZN2at6native12_GLOBAL__N_135CatArrayBatchedCopy_alignedK_contigINS1_10OpaqueTypeILj1EEEjLi3ELi128ELi1ELi16EEEvPT_NS1_25CatArrInputTensorMetadataIS5_T0_XT2_EXT3_EEENS1_16TensorSizeStrideIS8_Lj4EEEiS8_,"axG",@progbits,_ZN2at6native12_GLOBAL__N_135CatArrayBatchedCopy_alignedK_contigINS1_10OpaqueTypeILj1EEEjLi3ELi128ELi1ELi16EEEvPT_NS1_25CatArrInputTensorMetadataIS5_T0_XT2_EXT3_EEENS1_16TensorSizeStrideIS8_Lj4EEEiS8_,comdat
.Lfunc_end11:
	.size	_ZN2at6native12_GLOBAL__N_135CatArrayBatchedCopy_alignedK_contigINS1_10OpaqueTypeILj1EEEjLi3ELi128ELi1ELi16EEEvPT_NS1_25CatArrInputTensorMetadataIS5_T0_XT2_EXT3_EEENS1_16TensorSizeStrideIS8_Lj4EEEiS8_, .Lfunc_end11-_ZN2at6native12_GLOBAL__N_135CatArrayBatchedCopy_alignedK_contigINS1_10OpaqueTypeILj1EEEjLi3ELi128ELi1ELi16EEEvPT_NS1_25CatArrInputTensorMetadataIS5_T0_XT2_EXT3_EEENS1_16TensorSizeStrideIS8_Lj4EEEiS8_
                                        ; -- End function
	.set _ZN2at6native12_GLOBAL__N_135CatArrayBatchedCopy_alignedK_contigINS1_10OpaqueTypeILj1EEEjLi3ELi128ELi1ELi16EEEvPT_NS1_25CatArrInputTensorMetadataIS5_T0_XT2_EXT3_EEENS1_16TensorSizeStrideIS8_Lj4EEEiS8_.num_vgpr, 53
	.set _ZN2at6native12_GLOBAL__N_135CatArrayBatchedCopy_alignedK_contigINS1_10OpaqueTypeILj1EEEjLi3ELi128ELi1ELi16EEEvPT_NS1_25CatArrInputTensorMetadataIS5_T0_XT2_EXT3_EEENS1_16TensorSizeStrideIS8_Lj4EEEiS8_.num_agpr, 0
	.set _ZN2at6native12_GLOBAL__N_135CatArrayBatchedCopy_alignedK_contigINS1_10OpaqueTypeILj1EEEjLi3ELi128ELi1ELi16EEEvPT_NS1_25CatArrInputTensorMetadataIS5_T0_XT2_EXT3_EEENS1_16TensorSizeStrideIS8_Lj4EEEiS8_.numbered_sgpr, 36
	.set _ZN2at6native12_GLOBAL__N_135CatArrayBatchedCopy_alignedK_contigINS1_10OpaqueTypeILj1EEEjLi3ELi128ELi1ELi16EEEvPT_NS1_25CatArrInputTensorMetadataIS5_T0_XT2_EXT3_EEENS1_16TensorSizeStrideIS8_Lj4EEEiS8_.num_named_barrier, 0
	.set _ZN2at6native12_GLOBAL__N_135CatArrayBatchedCopy_alignedK_contigINS1_10OpaqueTypeILj1EEEjLi3ELi128ELi1ELi16EEEvPT_NS1_25CatArrInputTensorMetadataIS5_T0_XT2_EXT3_EEENS1_16TensorSizeStrideIS8_Lj4EEEiS8_.private_seg_size, 0
	.set _ZN2at6native12_GLOBAL__N_135CatArrayBatchedCopy_alignedK_contigINS1_10OpaqueTypeILj1EEEjLi3ELi128ELi1ELi16EEEvPT_NS1_25CatArrInputTensorMetadataIS5_T0_XT2_EXT3_EEENS1_16TensorSizeStrideIS8_Lj4EEEiS8_.uses_vcc, 1
	.set _ZN2at6native12_GLOBAL__N_135CatArrayBatchedCopy_alignedK_contigINS1_10OpaqueTypeILj1EEEjLi3ELi128ELi1ELi16EEEvPT_NS1_25CatArrInputTensorMetadataIS5_T0_XT2_EXT3_EEENS1_16TensorSizeStrideIS8_Lj4EEEiS8_.uses_flat_scratch, 0
	.set _ZN2at6native12_GLOBAL__N_135CatArrayBatchedCopy_alignedK_contigINS1_10OpaqueTypeILj1EEEjLi3ELi128ELi1ELi16EEEvPT_NS1_25CatArrInputTensorMetadataIS5_T0_XT2_EXT3_EEENS1_16TensorSizeStrideIS8_Lj4EEEiS8_.has_dyn_sized_stack, 0
	.set _ZN2at6native12_GLOBAL__N_135CatArrayBatchedCopy_alignedK_contigINS1_10OpaqueTypeILj1EEEjLi3ELi128ELi1ELi16EEEvPT_NS1_25CatArrInputTensorMetadataIS5_T0_XT2_EXT3_EEENS1_16TensorSizeStrideIS8_Lj4EEEiS8_.has_recursion, 0
	.set _ZN2at6native12_GLOBAL__N_135CatArrayBatchedCopy_alignedK_contigINS1_10OpaqueTypeILj1EEEjLi3ELi128ELi1ELi16EEEvPT_NS1_25CatArrInputTensorMetadataIS5_T0_XT2_EXT3_EEENS1_16TensorSizeStrideIS8_Lj4EEEiS8_.has_indirect_call, 0
	.section	.AMDGPU.csdata,"",@progbits
; Kernel info:
; codeLenInByte = 2036
; TotalNumSgprs: 42
; NumVgprs: 53
; NumAgprs: 0
; TotalNumVgprs: 53
; ScratchSize: 0
; MemoryBound: 0
; FloatMode: 240
; IeeeMode: 1
; LDSByteSize: 0 bytes/workgroup (compile time only)
; SGPRBlocks: 5
; VGPRBlocks: 6
; NumSGPRsForWavesPerEU: 42
; NumVGPRsForWavesPerEU: 53
; AccumOffset: 56
; Occupancy: 8
; WaveLimiterHint : 1
; COMPUTE_PGM_RSRC2:SCRATCH_EN: 0
; COMPUTE_PGM_RSRC2:USER_SGPR: 2
; COMPUTE_PGM_RSRC2:TRAP_HANDLER: 0
; COMPUTE_PGM_RSRC2:TGID_X_EN: 1
; COMPUTE_PGM_RSRC2:TGID_Y_EN: 1
; COMPUTE_PGM_RSRC2:TGID_Z_EN: 0
; COMPUTE_PGM_RSRC2:TIDIG_COMP_CNT: 0
; COMPUTE_PGM_RSRC3_GFX90A:ACCUM_OFFSET: 13
; COMPUTE_PGM_RSRC3_GFX90A:TG_SPLIT: 0
	.section	.text._ZN2at6native12_GLOBAL__N_135CatArrayBatchedCopy_alignedK_contigINS1_10OpaqueTypeILj1EEEjLi3ELi128ELi1ELi8EEEvPT_NS1_25CatArrInputTensorMetadataIS5_T0_XT2_EXT3_EEENS1_16TensorSizeStrideIS8_Lj4EEEiS8_,"axG",@progbits,_ZN2at6native12_GLOBAL__N_135CatArrayBatchedCopy_alignedK_contigINS1_10OpaqueTypeILj1EEEjLi3ELi128ELi1ELi8EEEvPT_NS1_25CatArrInputTensorMetadataIS5_T0_XT2_EXT3_EEENS1_16TensorSizeStrideIS8_Lj4EEEiS8_,comdat
	.globl	_ZN2at6native12_GLOBAL__N_135CatArrayBatchedCopy_alignedK_contigINS1_10OpaqueTypeILj1EEEjLi3ELi128ELi1ELi8EEEvPT_NS1_25CatArrInputTensorMetadataIS5_T0_XT2_EXT3_EEENS1_16TensorSizeStrideIS8_Lj4EEEiS8_ ; -- Begin function _ZN2at6native12_GLOBAL__N_135CatArrayBatchedCopy_alignedK_contigINS1_10OpaqueTypeILj1EEEjLi3ELi128ELi1ELi8EEEvPT_NS1_25CatArrInputTensorMetadataIS5_T0_XT2_EXT3_EEENS1_16TensorSizeStrideIS8_Lj4EEEiS8_
	.p2align	8
	.type	_ZN2at6native12_GLOBAL__N_135CatArrayBatchedCopy_alignedK_contigINS1_10OpaqueTypeILj1EEEjLi3ELi128ELi1ELi8EEEvPT_NS1_25CatArrInputTensorMetadataIS5_T0_XT2_EXT3_EEENS1_16TensorSizeStrideIS8_Lj4EEEiS8_,@function
_ZN2at6native12_GLOBAL__N_135CatArrayBatchedCopy_alignedK_contigINS1_10OpaqueTypeILj1EEEjLi3ELi128ELi1ELi8EEEvPT_NS1_25CatArrInputTensorMetadataIS5_T0_XT2_EXT3_EEENS1_16TensorSizeStrideIS8_Lj4EEEiS8_: ; @_ZN2at6native12_GLOBAL__N_135CatArrayBatchedCopy_alignedK_contigINS1_10OpaqueTypeILj1EEEjLi3ELi128ELi1ELi8EEEvPT_NS1_25CatArrInputTensorMetadataIS5_T0_XT2_EXT3_EEENS1_16TensorSizeStrideIS8_Lj4EEEiS8_
; %bb.0:
	s_mov_b32 s6, s3
	s_load_dword s3, s[0:1], 0xadc
	s_add_u32 s4, s0, 0xad0
	s_mov_b32 s7, 0
	s_addc_u32 s5, s1, 0
	s_lshl_b64 s[6:7], s[6:7], 2
	s_waitcnt lgkmcnt(0)
	s_and_b32 s3, s3, 0xffff
	s_add_u32 s8, s0, s6
	s_addc_u32 s9, s1, s7
	s_load_dword s30, s[8:9], 0x808
	s_mul_i32 s2, s2, s3
	v_add_lshl_u32 v0, s2, v0, 3
	s_add_u32 s2, s8, 8
	s_addc_u32 s8, s9, 0
	s_waitcnt lgkmcnt(0)
	v_cmp_gt_u32_e32 vcc, s30, v0
	s_and_saveexec_b64 s[10:11], vcc
	s_cbranch_execz .LBB12_8
; %bb.1:
	s_add_u32 s10, s2, s6
	s_addc_u32 s11, s8, s7
	s_sub_u32 s2, 0, s6
	s_load_dwordx2 s[22:23], s[0:1], 0xac8
	s_load_dwordx4 s[16:19], s[0:1], 0xab8
	s_subb_u32 s7, 0, s7
	s_add_u32 s6, s10, s2
	s_addc_u32 s7, s11, s7
	s_waitcnt lgkmcnt(0)
	s_load_dword s19, s[6:7], 0x400
	s_load_dwordx2 s[14:15], s[0:1], 0x0
	s_load_dwordx2 s[24:25], s[0:1], 0xaac
	;; [unrolled: 1-line block ×3, first 2 shown]
	s_load_dword s31, s[6:7], 0x600
	v_add_u32_e32 v1, 8, v0
	s_mov_b64 s[26:27], 0
	s_waitcnt lgkmcnt(0)
	s_mul_i32 s19, s19, s23
	v_cmp_ge_u32_e32 vcc, s30, v1
	s_and_saveexec_b64 s[28:29], vcc
	s_cbranch_execz .LBB12_5
; %bb.2:
	s_load_dword s0, s[4:5], 0x0
	v_add_u32_e32 v1, 7, v0
	v_add_u32_e32 v3, 6, v0
	;; [unrolled: 1-line block ×4, first 2 shown]
	s_waitcnt lgkmcnt(0)
	s_mul_i32 s0, s0, s3
	s_lshl_b32 s23, s0, 3
	s_cmp_eq_u32 s22, 2
	s_cselect_b32 s33, s31, s25
	s_cmp_eq_u32 s22, 1
	v_cvt_f32_u32_e32 v2, s33
	s_cselect_b32 s34, s31, s24
	v_cvt_f32_u32_e32 v4, s34
	s_sub_i32 s35, 0, s33
	v_rcp_iflag_f32_e32 v2, v2
	s_sub_i32 s0, 0, s34
	v_rcp_iflag_f32_e32 v4, v4
	v_add_u32_e32 v15, 3, v0
	v_mul_f32_e32 v2, 0x4f7ffffe, v2
	v_cvt_u32_f32_e32 v2, v2
	v_mul_f32_e32 v4, 0x4f7ffffe, v4
	v_cvt_u32_f32_e32 v4, v4
	v_add_u32_e32 v17, 2, v0
	v_mul_lo_u32 v5, s35, v2
	v_mul_hi_u32 v5, v2, v5
	v_mul_lo_u32 v6, s0, v4
	v_add_u32_e32 v9, v2, v5
	v_mul_hi_u32 v2, v4, v6
	v_add_u32_e32 v11, v4, v2
	v_add_u32_e32 v18, 1, v0
.LBB12_3:                               ; =>This Inner Loop Header: Depth=1
	global_load_dwordx2 v[4:5], v0, s[20:21]
	v_mul_hi_u32 v19, v9, v0
	v_mul_hi_u32 v20, v9, v1
	v_mul_hi_u32 v26, v9, v18
	v_add_u32_e32 v1, s23, v1
	v_mul_hi_u32 v21, v9, v3
	v_mul_hi_u32 v24, v9, v15
	;; [unrolled: 1-line block ×3, first 2 shown]
	v_add_u32_e32 v8, 1, v0
	v_add_u32_e32 v2, 2, v0
	;; [unrolled: 1-line block ×7, first 2 shown]
	v_not_b32_e32 v36, v19
	v_not_b32_e32 v38, v26
	v_mad_u64_u32 v[28:29], s[0:1], s35, v19, v[0:1]
	v_mul_hi_u32 v22, v9, v7
	v_mul_hi_u32 v23, v9, v13
	v_add_u32_e32 v6, 3, v0
	v_add_u32_e32 v7, s23, v7
	v_not_b32_e32 v40, v20
	v_not_b32_e32 v41, v21
	;; [unrolled: 1-line block ×3, first 2 shown]
	v_add_u32_e32 v29, 1, v19
	v_mad_u64_u32 v[26:27], s[0:1], s35, v26, v[8:9]
	v_mul_hi_u32 v47, v2, v9
	v_mad_u64_u32 v[30:31], s[0:1], s35, v25, v[2:3]
	v_mad_u64_u32 v[34:35], s[0:1], s35, v21, v[14:15]
	;; [unrolled: 1-line block ×3, first 2 shown]
	v_cmp_le_u32_e32 vcc, s33, v28
	v_mad_u64_u32 v[36:37], s[0:1], s33, v36, v[0:1]
	v_mad_u64_u32 v[38:39], s[0:1], s33, v38, v[8:9]
	v_add_u32_e32 v10, 4, v0
	v_add_u32_e32 v12, 5, v0
	;; [unrolled: 1-line block ×3, first 2 shown]
	v_not_b32_e32 v42, v22
	v_not_b32_e32 v43, v23
	;; [unrolled: 1-line block ×3, first 2 shown]
	v_mul_hi_u32 v46, v8, v9
	v_mul_hi_u32 v31, v6, v9
	v_mad_u64_u32 v[24:25], s[0:1], s35, v24, v[6:7]
	v_cndmask_b32_e32 v19, v19, v29, vcc
	v_cndmask_b32_e32 v21, v28, v36, vcc
	v_add_u32_e32 v39, 1, v47
	v_cmp_le_u32_e32 vcc, s33, v26
	v_mad_u64_u32 v[36:37], s[0:1], s33, v44, v[6:7]
	v_cmp_le_u32_e64 s[2:3], s33, v30
	v_mul_hi_u32 v25, v10, v9
	v_mad_u64_u32 v[32:33], s[0:1], s35, v23, v[10:11]
	v_add_u32_e32 v8, 1, v46
	v_mad_u64_u32 v[28:29], s[0:1], s33, v45, v[2:3]
	v_add_u32_e32 v45, 1, v31
	v_cndmask_b32_e32 v37, v26, v38, vcc
	v_mad_u64_u32 v[26:27], s[0:1], s33, v43, v[10:11]
	v_cndmask_b32_e64 v43, v47, v39, s[2:3]
	v_mad_u64_u32 v[38:39], s[4:5], s33, v42, v[12:13]
	v_cmp_le_u32_e64 s[6:7], s33, v24
	v_cndmask_b32_e32 v8, v46, v8, vcc
	v_add_u32_e32 v44, 1, v25
	v_cmp_le_u32_e32 vcc, s33, v32
	v_cndmask_b32_e64 v39, v30, v28, s[2:3]
	v_mad_u64_u32 v[28:29], s[4:5], s33, v41, v[14:15]
	v_cndmask_b32_e64 v41, v31, v45, s[6:7]
	v_mad_u64_u32 v[30:31], s[8:9], s33, v40, v[16:17]
	v_mad_u64_u32 v[22:23], s[0:1], s35, v22, v[12:13]
	v_cmp_le_u32_e64 s[4:5], s33, v20
	v_add_u32_e32 v31, 1, v19
	v_cndmask_b32_e32 v25, v25, v44, vcc
	v_cndmask_b32_e32 v26, v32, v26, vcc
	v_cmp_le_u32_e32 vcc, s33, v21
	v_mul_hi_u32 v23, v14, v9
	v_cndmask_b32_e64 v20, v20, v30, s[4:5]
	v_cndmask_b32_e32 v19, v19, v31, vcc
	v_mul_hi_u32 v33, v12, v9
	v_mul_hi_u32 v35, v16, v9
	v_cmp_le_u32_e64 s[0:1], s33, v22
	v_add_u32_e32 v42, 1, v23
	v_cmp_le_u32_e64 s[2:3], s33, v34
	v_cmp_le_u32_e64 s[10:11], s33, v20
	v_mad_u64_u32 v[20:21], s[12:13], s35, v19, v[0:1]
	v_add_u32_e32 v27, 1, v33
	v_add_u32_e32 v29, 1, v35
	v_cndmask_b32_e64 v24, v24, v36, s[6:7]
	v_cndmask_b32_e64 v22, v22, v38, s[0:1]
	;; [unrolled: 1-line block ×4, first 2 shown]
	v_add_u32_e32 v30, 1, v8
	v_cmp_le_u32_e32 vcc, s33, v37
	v_mul_hi_u32 v21, v19, v11
	v_cndmask_b32_e64 v27, v33, v27, s[0:1]
	v_cndmask_b32_e64 v29, v35, v29, s[4:5]
	v_add_u32_e32 v31, 1, v43
	v_cmp_le_u32_e64 s[0:1], s33, v39
	v_add_u32_e32 v32, 1, v41
	v_cmp_le_u32_e64 s[2:3], s33, v24
	v_cmp_le_u32_e64 s[6:7], s33, v22
	v_add_u32_e32 v22, 1, v23
	v_cmp_le_u32_e64 s[8:9], s33, v28
	v_cndmask_b32_e32 v36, v8, v30, vcc
	v_mul_lo_u32 v8, v21, s34
	v_add_u32_e32 v24, 1, v25
	v_cmp_le_u32_e64 s[4:5], s33, v26
	v_add_u32_e32 v26, 1, v27
	v_add_u32_e32 v28, 1, v29
	v_cndmask_b32_e64 v37, v43, v31, s[0:1]
	v_cndmask_b32_e64 v38, v41, v32, s[2:3]
	;; [unrolled: 1-line block ×3, first 2 shown]
	v_mad_u64_u32 v[22:23], s[0:1], s35, v36, v[0:1]
	v_sub_u32_e32 v8, v19, v8
	v_cndmask_b32_e64 v39, v25, v24, s[4:5]
	v_cndmask_b32_e64 v40, v27, v26, s[6:7]
	;; [unrolled: 1-line block ×3, first 2 shown]
	v_add_u32_e32 v43, 1, v21
	v_mul_hi_u32 v23, v36, v11
	v_mad_u64_u32 v[24:25], s[0:1], s35, v37, v[2:3]
	v_add_u32_e32 v0, s23, v0
	v_cmp_le_u32_e32 vcc, s34, v8
	v_mul_hi_u32 v2, v37, v11
	v_mad_u64_u32 v[26:27], s[0:1], s35, v38, v[6:7]
	v_mad_u64_u32 v[28:29], s[0:1], s35, v39, v[10:11]
	v_mad_u64_u32 v[30:31], s[0:1], s35, v40, v[12:13]
	v_mad_u64_u32 v[32:33], s[0:1], s35, v41, v[14:15]
	v_mad_u64_u32 v[34:35], s[0:1], s35, v42, v[16:17]
	v_mul_lo_u32 v25, v23, s34
	v_cndmask_b32_e32 v21, v21, v43, vcc
	v_add_u32_e32 v43, 8, v0
	v_mul_hi_u32 v6, v38, v11
	v_mul_hi_u32 v10, v39, v11
	;; [unrolled: 1-line block ×5, first 2 shown]
	v_mul_lo_u32 v29, v2, s34
	v_cmp_lt_u32_e64 s[0:1], s30, v43
	v_subrev_u32_e32 v43, s34, v8
	v_sub_u32_e32 v25, v36, v25
	v_add_u32_e32 v27, 1, v23
	v_mul_lo_u32 v33, v6, s34
	v_mul_lo_u32 v44, v10, s34
	;; [unrolled: 1-line block ×5, first 2 shown]
	v_sub_u32_e32 v29, v37, v29
	v_cndmask_b32_e32 v8, v8, v43, vcc
	v_cmp_le_u32_e32 vcc, s34, v25
	v_add_u32_e32 v31, 1, v2
	v_sub_u32_e32 v33, v38, v33
	v_sub_u32_e32 v44, v39, v44
	;; [unrolled: 1-line block ×5, first 2 shown]
	v_add_u32_e32 v43, 1, v21
	v_cndmask_b32_e32 v23, v23, v27, vcc
	v_subrev_u32_e32 v27, s34, v25
	v_cmp_le_u32_e64 s[2:3], s34, v29
	s_or_b64 s[26:27], s[0:1], s[26:27]
	v_cmp_le_u32_e64 s[0:1], s34, v8
	v_add_u32_e32 v35, 1, v6
	v_add_u32_e32 v45, 1, v10
	;; [unrolled: 1-line block ×5, first 2 shown]
	v_cndmask_b32_e64 v31, v2, v31, s[2:3]
	v_subrev_u32_e32 v2, s34, v29
	v_cmp_le_u32_e64 s[4:5], s34, v33
	v_cmp_le_u32_e64 s[6:7], s34, v44
	;; [unrolled: 1-line block ×5, first 2 shown]
	v_cndmask_b32_e64 v8, v21, v43, s[0:1]
	v_cndmask_b32_e32 v21, v25, v27, vcc
	v_cndmask_b32_e64 v6, v6, v35, s[4:5]
	v_subrev_u32_e32 v35, s34, v33
	v_cndmask_b32_e64 v10, v10, v45, s[6:7]
	v_subrev_u32_e32 v45, s34, v44
	;; [unrolled: 2-line block ×5, first 2 shown]
	v_add_u32_e32 v25, 1, v23
	v_cndmask_b32_e64 v27, v29, v2, s[2:3]
	v_cmp_le_u32_e32 vcc, s34, v21
	v_add_u32_e32 v29, 1, v31
	v_cndmask_b32_e64 v33, v33, v35, s[4:5]
	v_cndmask_b32_e64 v43, v44, v45, s[6:7]
	;; [unrolled: 1-line block ×5, first 2 shown]
	v_mul_lo_u32 v51, v8, s34
	v_mul_lo_u32 v2, v8, s16
	v_cndmask_b32_e32 v8, v23, v25, vcc
	v_cmp_le_u32_e32 vcc, s34, v27
	v_add_u32_e32 v35, 1, v6
	v_add_u32_e32 v44, 1, v10
	v_cndmask_b32_e32 v23, v31, v29, vcc
	v_cmp_le_u32_e32 vcc, s34, v33
	v_add_u32_e32 v46, 1, v12
	v_add_u32_e32 v48, 1, v14
	v_cndmask_b32_e32 v6, v6, v35, vcc
	v_cmp_le_u32_e32 vcc, s34, v43
	v_add_u32_e32 v50, 1, v16
	v_mad_u64_u32 v[20:21], s[0:1], v20, s18, v[2:3]
	v_cndmask_b32_e32 v10, v10, v44, vcc
	v_cmp_le_u32_e32 vcc, s34, v45
	v_mul_lo_u32 v22, s18, v22
	v_sub_u32_e32 v19, v19, v51
	v_cndmask_b32_e32 v12, v12, v46, vcc
	v_cmp_le_u32_e32 vcc, s34, v47
	v_mul_lo_u32 v21, v8, s34
	v_mul_lo_u32 v25, v8, s16
	v_cndmask_b32_e32 v14, v14, v48, vcc
	v_cmp_le_u32_e32 vcc, s34, v49
	v_mul_lo_u32 v27, v23, s34
	v_mul_lo_u32 v2, v23, s16
	v_cndmask_b32_e32 v16, v16, v50, vcc
	v_mul_lo_u32 v29, v6, s34
	v_mul_lo_u32 v6, v6, s16
	;; [unrolled: 1-line block ×11, first 2 shown]
	v_sub_u32_e32 v19, v36, v21
	v_add3_u32 v21, v22, s18, v25
	v_sub_u32_e32 v36, v37, v27
	v_mad_u64_u32 v[22:23], s[0:1], v24, s18, v[2:3]
	v_sub_u32_e32 v2, v38, v29
	v_mad_u64_u32 v[24:25], s[0:1], v26, s18, v[6:7]
	;; [unrolled: 2-line block ×5, first 2 shown]
	v_sub_u32_e32 v12, v42, v43
	v_add_u32_e32 v18, s23, v18
	v_mad_u64_u32 v[32:33], s[0:1], v34, s18, v[14:15]
	v_mul_lo_u32 v14, v19, s17
	v_mul_lo_u32 v19, v36, s17
	;; [unrolled: 1-line block ×7, first 2 shown]
	v_add3_u32 v16, v20, v16, s19
	v_add3_u32 v14, v21, v14, s19
	;; [unrolled: 1-line block ×8, first 2 shown]
	s_waitcnt vmcnt(0)
	v_lshrrev_b32_e32 v20, 8, v4
	v_lshrrev_b32_e32 v21, 24, v4
	;; [unrolled: 1-line block ×4, first 2 shown]
	global_store_byte v16, v4, s[14:15]
	global_store_byte v14, v20, s[14:15]
	global_store_byte_d16_hi v19, v4, s[14:15]
	global_store_byte v2, v21, s[14:15]
	global_store_byte v6, v5, s[14:15]
	;; [unrolled: 1-line block ×3, first 2 shown]
	global_store_byte_d16_hi v10, v5, s[14:15]
	global_store_byte v12, v23, s[14:15]
	s_andn2_b64 exec, exec, s[26:27]
	s_cbranch_execnz .LBB12_3
; %bb.4:
	s_or_b64 exec, exec, s[26:27]
.LBB12_5:
	s_or_b64 exec, exec, s[28:29]
	v_cmp_gt_u32_e32 vcc, s30, v0
	s_and_b64 exec, exec, vcc
	s_cbranch_execz .LBB12_8
; %bb.6:
	s_cmp_eq_u32 s22, 2
	s_cselect_b32 s4, s31, s25
	v_cvt_f32_u32_e32 v1, s4
	s_cmp_eq_u32 s22, 1
	s_cselect_b32 s5, s31, s24
	v_cvt_f32_u32_e32 v2, s5
	v_rcp_iflag_f32_e32 v1, v1
	s_sub_i32 s0, 0, s4
	s_sub_i32 s1, 0, s5
	v_rcp_iflag_f32_e32 v2, v2
	v_mul_f32_e32 v1, 0x4f7ffffe, v1
	v_cvt_u32_f32_e32 v1, v1
	v_mov_b32_e32 v3, 0
	v_mul_f32_e32 v2, 0x4f7ffffe, v2
	v_cvt_u32_f32_e32 v4, v2
	v_mul_lo_u32 v2, s0, v1
	v_mul_hi_u32 v2, v1, v2
	v_add_u32_e32 v2, v1, v2
	v_mul_lo_u32 v1, s1, v4
	v_mul_hi_u32 v1, v4, v1
	v_add_u32_e32 v6, v4, v1
	v_mov_b32_e32 v1, v3
	v_mad_u64_u32 v[4:5], s[0:1], v0, v2, 0
	s_mov_b64 s[2:3], 0
.LBB12_7:                               ; =>This Inner Loop Header: Depth=1
	v_lshl_add_u64 v[8:9], s[20:21], 0, v[0:1]
	global_load_ubyte v7, v[8:9], off
	v_mul_lo_u32 v8, s4, v5
	v_not_b32_e32 v9, v5
	v_sub_u32_e32 v11, v0, v8
	v_add_u32_e32 v10, 1, v5
	v_mad_u64_u32 v[8:9], s[0:1], s4, v9, v[0:1]
	v_cmp_le_u32_e32 vcc, s4, v11
	s_nop 1
	v_cndmask_b32_e32 v9, v5, v10, vcc
	v_cndmask_b32_e32 v8, v11, v8, vcc
	v_add_u32_e32 v10, 1, v9
	v_cmp_le_u32_e32 vcc, s4, v8
	v_lshl_add_u64 v[4:5], v[4:5], 0, v[2:3]
	s_nop 0
	v_cndmask_b32_e32 v9, v9, v10, vcc
	v_mul_hi_u32 v8, v9, v6
	v_mul_lo_u32 v11, v8, s5
	v_sub_u32_e32 v11, v9, v11
	v_mul_lo_u32 v10, v9, s4
	v_add_u32_e32 v12, 1, v8
	v_cmp_le_u32_e64 s[0:1], s5, v11
	v_sub_u32_e32 v10, v0, v10
	v_lshl_add_u64 v[0:1], v[0:1], 0, 1
	v_cndmask_b32_e64 v8, v8, v12, s[0:1]
	v_subrev_u32_e32 v12, s5, v11
	v_cmp_le_u32_e32 vcc, s30, v0
	v_cndmask_b32_e64 v11, v11, v12, s[0:1]
	s_or_b64 s[2:3], vcc, s[2:3]
	v_add_u32_e32 v12, 1, v8
	v_cmp_le_u32_e32 vcc, s5, v11
	s_nop 1
	v_cndmask_b32_e32 v8, v8, v12, vcc
	v_mul_lo_u32 v11, v8, s5
	v_mul_lo_u32 v8, v8, s16
	v_sub_u32_e32 v11, v9, v11
	v_mad_u64_u32 v[8:9], s[0:1], v10, s18, v[8:9]
	v_mul_lo_u32 v9, v11, s17
	v_add3_u32 v8, v8, v9, s19
	s_waitcnt vmcnt(0)
	global_store_byte v8, v7, s[14:15]
	s_andn2_b64 exec, exec, s[2:3]
	s_cbranch_execnz .LBB12_7
.LBB12_8:
	s_endpgm
	.section	.rodata,"a",@progbits
	.p2align	6, 0x0
	.amdhsa_kernel _ZN2at6native12_GLOBAL__N_135CatArrayBatchedCopy_alignedK_contigINS1_10OpaqueTypeILj1EEEjLi3ELi128ELi1ELi8EEEvPT_NS1_25CatArrInputTensorMetadataIS5_T0_XT2_EXT3_EEENS1_16TensorSizeStrideIS8_Lj4EEEiS8_
		.amdhsa_group_segment_fixed_size 0
		.amdhsa_private_segment_fixed_size 0
		.amdhsa_kernarg_size 3024
		.amdhsa_user_sgpr_count 2
		.amdhsa_user_sgpr_dispatch_ptr 0
		.amdhsa_user_sgpr_queue_ptr 0
		.amdhsa_user_sgpr_kernarg_segment_ptr 1
		.amdhsa_user_sgpr_dispatch_id 0
		.amdhsa_user_sgpr_kernarg_preload_length 0
		.amdhsa_user_sgpr_kernarg_preload_offset 0
		.amdhsa_user_sgpr_private_segment_size 0
		.amdhsa_uses_dynamic_stack 0
		.amdhsa_enable_private_segment 0
		.amdhsa_system_sgpr_workgroup_id_x 1
		.amdhsa_system_sgpr_workgroup_id_y 1
		.amdhsa_system_sgpr_workgroup_id_z 0
		.amdhsa_system_sgpr_workgroup_info 0
		.amdhsa_system_vgpr_workitem_id 0
		.amdhsa_next_free_vgpr 52
		.amdhsa_next_free_sgpr 36
		.amdhsa_accum_offset 52
		.amdhsa_reserve_vcc 1
		.amdhsa_float_round_mode_32 0
		.amdhsa_float_round_mode_16_64 0
		.amdhsa_float_denorm_mode_32 3
		.amdhsa_float_denorm_mode_16_64 3
		.amdhsa_dx10_clamp 1
		.amdhsa_ieee_mode 1
		.amdhsa_fp16_overflow 0
		.amdhsa_tg_split 0
		.amdhsa_exception_fp_ieee_invalid_op 0
		.amdhsa_exception_fp_denorm_src 0
		.amdhsa_exception_fp_ieee_div_zero 0
		.amdhsa_exception_fp_ieee_overflow 0
		.amdhsa_exception_fp_ieee_underflow 0
		.amdhsa_exception_fp_ieee_inexact 0
		.amdhsa_exception_int_div_zero 0
	.end_amdhsa_kernel
	.section	.text._ZN2at6native12_GLOBAL__N_135CatArrayBatchedCopy_alignedK_contigINS1_10OpaqueTypeILj1EEEjLi3ELi128ELi1ELi8EEEvPT_NS1_25CatArrInputTensorMetadataIS5_T0_XT2_EXT3_EEENS1_16TensorSizeStrideIS8_Lj4EEEiS8_,"axG",@progbits,_ZN2at6native12_GLOBAL__N_135CatArrayBatchedCopy_alignedK_contigINS1_10OpaqueTypeILj1EEEjLi3ELi128ELi1ELi8EEEvPT_NS1_25CatArrInputTensorMetadataIS5_T0_XT2_EXT3_EEENS1_16TensorSizeStrideIS8_Lj4EEEiS8_,comdat
.Lfunc_end12:
	.size	_ZN2at6native12_GLOBAL__N_135CatArrayBatchedCopy_alignedK_contigINS1_10OpaqueTypeILj1EEEjLi3ELi128ELi1ELi8EEEvPT_NS1_25CatArrInputTensorMetadataIS5_T0_XT2_EXT3_EEENS1_16TensorSizeStrideIS8_Lj4EEEiS8_, .Lfunc_end12-_ZN2at6native12_GLOBAL__N_135CatArrayBatchedCopy_alignedK_contigINS1_10OpaqueTypeILj1EEEjLi3ELi128ELi1ELi8EEEvPT_NS1_25CatArrInputTensorMetadataIS5_T0_XT2_EXT3_EEENS1_16TensorSizeStrideIS8_Lj4EEEiS8_
                                        ; -- End function
	.set _ZN2at6native12_GLOBAL__N_135CatArrayBatchedCopy_alignedK_contigINS1_10OpaqueTypeILj1EEEjLi3ELi128ELi1ELi8EEEvPT_NS1_25CatArrInputTensorMetadataIS5_T0_XT2_EXT3_EEENS1_16TensorSizeStrideIS8_Lj4EEEiS8_.num_vgpr, 52
	.set _ZN2at6native12_GLOBAL__N_135CatArrayBatchedCopy_alignedK_contigINS1_10OpaqueTypeILj1EEEjLi3ELi128ELi1ELi8EEEvPT_NS1_25CatArrInputTensorMetadataIS5_T0_XT2_EXT3_EEENS1_16TensorSizeStrideIS8_Lj4EEEiS8_.num_agpr, 0
	.set _ZN2at6native12_GLOBAL__N_135CatArrayBatchedCopy_alignedK_contigINS1_10OpaqueTypeILj1EEEjLi3ELi128ELi1ELi8EEEvPT_NS1_25CatArrInputTensorMetadataIS5_T0_XT2_EXT3_EEENS1_16TensorSizeStrideIS8_Lj4EEEiS8_.numbered_sgpr, 36
	.set _ZN2at6native12_GLOBAL__N_135CatArrayBatchedCopy_alignedK_contigINS1_10OpaqueTypeILj1EEEjLi3ELi128ELi1ELi8EEEvPT_NS1_25CatArrInputTensorMetadataIS5_T0_XT2_EXT3_EEENS1_16TensorSizeStrideIS8_Lj4EEEiS8_.num_named_barrier, 0
	.set _ZN2at6native12_GLOBAL__N_135CatArrayBatchedCopy_alignedK_contigINS1_10OpaqueTypeILj1EEEjLi3ELi128ELi1ELi8EEEvPT_NS1_25CatArrInputTensorMetadataIS5_T0_XT2_EXT3_EEENS1_16TensorSizeStrideIS8_Lj4EEEiS8_.private_seg_size, 0
	.set _ZN2at6native12_GLOBAL__N_135CatArrayBatchedCopy_alignedK_contigINS1_10OpaqueTypeILj1EEEjLi3ELi128ELi1ELi8EEEvPT_NS1_25CatArrInputTensorMetadataIS5_T0_XT2_EXT3_EEENS1_16TensorSizeStrideIS8_Lj4EEEiS8_.uses_vcc, 1
	.set _ZN2at6native12_GLOBAL__N_135CatArrayBatchedCopy_alignedK_contigINS1_10OpaqueTypeILj1EEEjLi3ELi128ELi1ELi8EEEvPT_NS1_25CatArrInputTensorMetadataIS5_T0_XT2_EXT3_EEENS1_16TensorSizeStrideIS8_Lj4EEEiS8_.uses_flat_scratch, 0
	.set _ZN2at6native12_GLOBAL__N_135CatArrayBatchedCopy_alignedK_contigINS1_10OpaqueTypeILj1EEEjLi3ELi128ELi1ELi8EEEvPT_NS1_25CatArrInputTensorMetadataIS5_T0_XT2_EXT3_EEENS1_16TensorSizeStrideIS8_Lj4EEEiS8_.has_dyn_sized_stack, 0
	.set _ZN2at6native12_GLOBAL__N_135CatArrayBatchedCopy_alignedK_contigINS1_10OpaqueTypeILj1EEEjLi3ELi128ELi1ELi8EEEvPT_NS1_25CatArrInputTensorMetadataIS5_T0_XT2_EXT3_EEENS1_16TensorSizeStrideIS8_Lj4EEEiS8_.has_recursion, 0
	.set _ZN2at6native12_GLOBAL__N_135CatArrayBatchedCopy_alignedK_contigINS1_10OpaqueTypeILj1EEEjLi3ELi128ELi1ELi8EEEvPT_NS1_25CatArrInputTensorMetadataIS5_T0_XT2_EXT3_EEENS1_16TensorSizeStrideIS8_Lj4EEEiS8_.has_indirect_call, 0
	.section	.AMDGPU.csdata,"",@progbits
; Kernel info:
; codeLenInByte = 2460
; TotalNumSgprs: 42
; NumVgprs: 52
; NumAgprs: 0
; TotalNumVgprs: 52
; ScratchSize: 0
; MemoryBound: 0
; FloatMode: 240
; IeeeMode: 1
; LDSByteSize: 0 bytes/workgroup (compile time only)
; SGPRBlocks: 5
; VGPRBlocks: 6
; NumSGPRsForWavesPerEU: 42
; NumVGPRsForWavesPerEU: 52
; AccumOffset: 52
; Occupancy: 8
; WaveLimiterHint : 1
; COMPUTE_PGM_RSRC2:SCRATCH_EN: 0
; COMPUTE_PGM_RSRC2:USER_SGPR: 2
; COMPUTE_PGM_RSRC2:TRAP_HANDLER: 0
; COMPUTE_PGM_RSRC2:TGID_X_EN: 1
; COMPUTE_PGM_RSRC2:TGID_Y_EN: 1
; COMPUTE_PGM_RSRC2:TGID_Z_EN: 0
; COMPUTE_PGM_RSRC2:TIDIG_COMP_CNT: 0
; COMPUTE_PGM_RSRC3_GFX90A:ACCUM_OFFSET: 12
; COMPUTE_PGM_RSRC3_GFX90A:TG_SPLIT: 0
	.section	.text._ZN2at6native12_GLOBAL__N_126CatArrayBatchedCopy_contigINS1_10OpaqueTypeILj1EEEjLi3ELi128ELi1EEEvPT_NS1_25CatArrInputTensorMetadataIS5_T0_XT2_EXT3_EEENS1_16TensorSizeStrideIS8_Lj4EEEiS8_,"axG",@progbits,_ZN2at6native12_GLOBAL__N_126CatArrayBatchedCopy_contigINS1_10OpaqueTypeILj1EEEjLi3ELi128ELi1EEEvPT_NS1_25CatArrInputTensorMetadataIS5_T0_XT2_EXT3_EEENS1_16TensorSizeStrideIS8_Lj4EEEiS8_,comdat
	.globl	_ZN2at6native12_GLOBAL__N_126CatArrayBatchedCopy_contigINS1_10OpaqueTypeILj1EEEjLi3ELi128ELi1EEEvPT_NS1_25CatArrInputTensorMetadataIS5_T0_XT2_EXT3_EEENS1_16TensorSizeStrideIS8_Lj4EEEiS8_ ; -- Begin function _ZN2at6native12_GLOBAL__N_126CatArrayBatchedCopy_contigINS1_10OpaqueTypeILj1EEEjLi3ELi128ELi1EEEvPT_NS1_25CatArrInputTensorMetadataIS5_T0_XT2_EXT3_EEENS1_16TensorSizeStrideIS8_Lj4EEEiS8_
	.p2align	8
	.type	_ZN2at6native12_GLOBAL__N_126CatArrayBatchedCopy_contigINS1_10OpaqueTypeILj1EEEjLi3ELi128ELi1EEEvPT_NS1_25CatArrInputTensorMetadataIS5_T0_XT2_EXT3_EEENS1_16TensorSizeStrideIS8_Lj4EEEiS8_,@function
_ZN2at6native12_GLOBAL__N_126CatArrayBatchedCopy_contigINS1_10OpaqueTypeILj1EEEjLi3ELi128ELi1EEEvPT_NS1_25CatArrInputTensorMetadataIS5_T0_XT2_EXT3_EEENS1_16TensorSizeStrideIS8_Lj4EEEiS8_: ; @_ZN2at6native12_GLOBAL__N_126CatArrayBatchedCopy_contigINS1_10OpaqueTypeILj1EEEjLi3ELi128ELi1EEEvPT_NS1_25CatArrInputTensorMetadataIS5_T0_XT2_EXT3_EEENS1_16TensorSizeStrideIS8_Lj4EEEiS8_
; %bb.0:
	s_mov_b32 s4, s3
	s_load_dword s3, s[0:1], 0xadc
	s_add_u32 s10, s0, 0xad0
	s_mov_b32 s5, 0
	s_addc_u32 s11, s1, 0
	s_lshl_b64 s[8:9], s[4:5], 2
	s_waitcnt lgkmcnt(0)
	s_and_b32 s15, s3, 0xffff
	s_add_u32 s4, s0, s8
	s_addc_u32 s5, s1, s9
	s_load_dword s12, s[4:5], 0x808
	s_mul_i32 s2, s2, s15
	v_add_u32_e32 v0, s2, v0
	s_add_u32 s13, s4, 8
	s_addc_u32 s14, s5, 0
	s_waitcnt lgkmcnt(0)
	v_cmp_gt_u32_e32 vcc, s12, v0
	s_and_saveexec_b64 s[2:3], vcc
	s_cbranch_execz .LBB13_3
; %bb.1:
	s_load_dwordx2 s[16:17], s[0:1], 0xac8
	s_load_dwordx4 s[4:7], s[0:1], 0xab8
	s_load_dwordx2 s[2:3], s[0:1], 0x0
	s_load_dwordx2 s[18:19], s[0:1], 0xaac
	s_add_u32 s0, s13, s8
	s_addc_u32 s1, s14, s9
	s_waitcnt lgkmcnt(0)
	s_sub_u32 s7, 0, s8
	s_subb_u32 s8, 0, s9
	s_add_u32 s20, s0, s7
	s_addc_u32 s21, s1, s8
	s_load_dwordx2 s[8:9], s[0:1], 0x0
	s_load_dword s22, s[20:21], 0x600
	s_load_dword s23, s[20:21], 0x400
	s_cmp_eq_u32 s16, 2
	s_load_dword s0, s[10:11], 0x0
	s_mov_b32 s13, s6
	s_waitcnt lgkmcnt(0)
	s_cselect_b32 s14, s22, s19
	v_cvt_f32_u32_e32 v1, s14
	s_cmp_eq_u32 s16, 1
	s_cselect_b32 s10, s22, s18
	v_cvt_f32_u32_e32 v2, s10
	v_rcp_iflag_f32_e32 v1, v1
	s_mul_i32 s15, s0, s15
	s_sub_i32 s0, 0, s14
	v_rcp_iflag_f32_e32 v2, v2
	v_mul_f32_e32 v1, 0x4f7ffffe, v1
	v_cvt_u32_f32_e32 v1, v1
	s_mov_b64 s[6:7], 0
	v_mul_f32_e32 v2, 0x4f7ffffe, v2
	v_cvt_u32_f32_e32 v2, v2
	v_mul_lo_u32 v3, s0, v1
	v_mul_hi_u32 v3, v1, v3
	s_sub_i32 s0, 0, s10
	v_add_u32_e32 v1, v1, v3
	v_mul_lo_u32 v3, s0, v2
	v_mul_hi_u32 v3, v2, v3
	s_mul_i32 s11, s23, s17
	v_add_u32_e32 v2, v2, v3
.LBB13_2:                               ; =>This Inner Loop Header: Depth=1
	global_load_ubyte v3, v0, s[8:9]
	v_mul_hi_u32 v6, v1, v0
	v_mul_lo_u32 v4, s14, v6
	v_not_b32_e32 v5, v6
	v_sub_u32_e32 v8, v0, v4
	v_add_u32_e32 v7, 1, v6
	v_mad_u64_u32 v[4:5], s[0:1], s14, v5, v[0:1]
	v_cmp_le_u32_e32 vcc, s14, v8
	s_nop 1
	v_cndmask_b32_e32 v5, v6, v7, vcc
	v_cndmask_b32_e32 v4, v8, v4, vcc
	v_add_u32_e32 v6, 1, v5
	v_cmp_le_u32_e32 vcc, s14, v4
	s_nop 1
	v_cndmask_b32_e32 v4, v5, v6, vcc
	v_mul_hi_u32 v5, v4, v2
	v_mul_lo_u32 v7, v5, s10
	v_sub_u32_e32 v7, v4, v7
	v_mul_lo_u32 v6, v4, s14
	v_add_u32_e32 v8, 1, v5
	v_cmp_le_u32_e64 s[0:1], s10, v7
	v_sub_u32_e32 v6, v0, v6
	v_add_u32_e32 v0, s15, v0
	v_cndmask_b32_e64 v5, v5, v8, s[0:1]
	v_subrev_u32_e32 v8, s10, v7
	v_cmp_le_u32_e32 vcc, s12, v0
	v_cndmask_b32_e64 v7, v7, v8, s[0:1]
	s_or_b64 s[6:7], vcc, s[6:7]
	v_add_u32_e32 v8, 1, v5
	v_cmp_le_u32_e32 vcc, s10, v7
	v_mul_lo_u32 v6, v6, s13
	s_nop 0
	v_cndmask_b32_e32 v5, v5, v8, vcc
	v_mul_lo_u32 v7, v5, s10
	v_mul_lo_u32 v5, v5, s4
	v_sub_u32_e32 v4, v4, v7
	v_add_u32_e32 v5, s11, v5
	v_mul_lo_u32 v4, v4, s5
	v_add3_u32 v4, v5, v6, v4
	s_waitcnt vmcnt(0)
	global_store_byte v4, v3, s[2:3]
	s_andn2_b64 exec, exec, s[6:7]
	s_cbranch_execnz .LBB13_2
.LBB13_3:
	s_endpgm
	.section	.rodata,"a",@progbits
	.p2align	6, 0x0
	.amdhsa_kernel _ZN2at6native12_GLOBAL__N_126CatArrayBatchedCopy_contigINS1_10OpaqueTypeILj1EEEjLi3ELi128ELi1EEEvPT_NS1_25CatArrInputTensorMetadataIS5_T0_XT2_EXT3_EEENS1_16TensorSizeStrideIS8_Lj4EEEiS8_
		.amdhsa_group_segment_fixed_size 0
		.amdhsa_private_segment_fixed_size 0
		.amdhsa_kernarg_size 3024
		.amdhsa_user_sgpr_count 2
		.amdhsa_user_sgpr_dispatch_ptr 0
		.amdhsa_user_sgpr_queue_ptr 0
		.amdhsa_user_sgpr_kernarg_segment_ptr 1
		.amdhsa_user_sgpr_dispatch_id 0
		.amdhsa_user_sgpr_kernarg_preload_length 0
		.amdhsa_user_sgpr_kernarg_preload_offset 0
		.amdhsa_user_sgpr_private_segment_size 0
		.amdhsa_uses_dynamic_stack 0
		.amdhsa_enable_private_segment 0
		.amdhsa_system_sgpr_workgroup_id_x 1
		.amdhsa_system_sgpr_workgroup_id_y 1
		.amdhsa_system_sgpr_workgroup_id_z 0
		.amdhsa_system_sgpr_workgroup_info 0
		.amdhsa_system_vgpr_workitem_id 0
		.amdhsa_next_free_vgpr 9
		.amdhsa_next_free_sgpr 24
		.amdhsa_accum_offset 12
		.amdhsa_reserve_vcc 1
		.amdhsa_float_round_mode_32 0
		.amdhsa_float_round_mode_16_64 0
		.amdhsa_float_denorm_mode_32 3
		.amdhsa_float_denorm_mode_16_64 3
		.amdhsa_dx10_clamp 1
		.amdhsa_ieee_mode 1
		.amdhsa_fp16_overflow 0
		.amdhsa_tg_split 0
		.amdhsa_exception_fp_ieee_invalid_op 0
		.amdhsa_exception_fp_denorm_src 0
		.amdhsa_exception_fp_ieee_div_zero 0
		.amdhsa_exception_fp_ieee_overflow 0
		.amdhsa_exception_fp_ieee_underflow 0
		.amdhsa_exception_fp_ieee_inexact 0
		.amdhsa_exception_int_div_zero 0
	.end_amdhsa_kernel
	.section	.text._ZN2at6native12_GLOBAL__N_126CatArrayBatchedCopy_contigINS1_10OpaqueTypeILj1EEEjLi3ELi128ELi1EEEvPT_NS1_25CatArrInputTensorMetadataIS5_T0_XT2_EXT3_EEENS1_16TensorSizeStrideIS8_Lj4EEEiS8_,"axG",@progbits,_ZN2at6native12_GLOBAL__N_126CatArrayBatchedCopy_contigINS1_10OpaqueTypeILj1EEEjLi3ELi128ELi1EEEvPT_NS1_25CatArrInputTensorMetadataIS5_T0_XT2_EXT3_EEENS1_16TensorSizeStrideIS8_Lj4EEEiS8_,comdat
.Lfunc_end13:
	.size	_ZN2at6native12_GLOBAL__N_126CatArrayBatchedCopy_contigINS1_10OpaqueTypeILj1EEEjLi3ELi128ELi1EEEvPT_NS1_25CatArrInputTensorMetadataIS5_T0_XT2_EXT3_EEENS1_16TensorSizeStrideIS8_Lj4EEEiS8_, .Lfunc_end13-_ZN2at6native12_GLOBAL__N_126CatArrayBatchedCopy_contigINS1_10OpaqueTypeILj1EEEjLi3ELi128ELi1EEEvPT_NS1_25CatArrInputTensorMetadataIS5_T0_XT2_EXT3_EEENS1_16TensorSizeStrideIS8_Lj4EEEiS8_
                                        ; -- End function
	.set _ZN2at6native12_GLOBAL__N_126CatArrayBatchedCopy_contigINS1_10OpaqueTypeILj1EEEjLi3ELi128ELi1EEEvPT_NS1_25CatArrInputTensorMetadataIS5_T0_XT2_EXT3_EEENS1_16TensorSizeStrideIS8_Lj4EEEiS8_.num_vgpr, 9
	.set _ZN2at6native12_GLOBAL__N_126CatArrayBatchedCopy_contigINS1_10OpaqueTypeILj1EEEjLi3ELi128ELi1EEEvPT_NS1_25CatArrInputTensorMetadataIS5_T0_XT2_EXT3_EEENS1_16TensorSizeStrideIS8_Lj4EEEiS8_.num_agpr, 0
	.set _ZN2at6native12_GLOBAL__N_126CatArrayBatchedCopy_contigINS1_10OpaqueTypeILj1EEEjLi3ELi128ELi1EEEvPT_NS1_25CatArrInputTensorMetadataIS5_T0_XT2_EXT3_EEENS1_16TensorSizeStrideIS8_Lj4EEEiS8_.numbered_sgpr, 24
	.set _ZN2at6native12_GLOBAL__N_126CatArrayBatchedCopy_contigINS1_10OpaqueTypeILj1EEEjLi3ELi128ELi1EEEvPT_NS1_25CatArrInputTensorMetadataIS5_T0_XT2_EXT3_EEENS1_16TensorSizeStrideIS8_Lj4EEEiS8_.num_named_barrier, 0
	.set _ZN2at6native12_GLOBAL__N_126CatArrayBatchedCopy_contigINS1_10OpaqueTypeILj1EEEjLi3ELi128ELi1EEEvPT_NS1_25CatArrInputTensorMetadataIS5_T0_XT2_EXT3_EEENS1_16TensorSizeStrideIS8_Lj4EEEiS8_.private_seg_size, 0
	.set _ZN2at6native12_GLOBAL__N_126CatArrayBatchedCopy_contigINS1_10OpaqueTypeILj1EEEjLi3ELi128ELi1EEEvPT_NS1_25CatArrInputTensorMetadataIS5_T0_XT2_EXT3_EEENS1_16TensorSizeStrideIS8_Lj4EEEiS8_.uses_vcc, 1
	.set _ZN2at6native12_GLOBAL__N_126CatArrayBatchedCopy_contigINS1_10OpaqueTypeILj1EEEjLi3ELi128ELi1EEEvPT_NS1_25CatArrInputTensorMetadataIS5_T0_XT2_EXT3_EEENS1_16TensorSizeStrideIS8_Lj4EEEiS8_.uses_flat_scratch, 0
	.set _ZN2at6native12_GLOBAL__N_126CatArrayBatchedCopy_contigINS1_10OpaqueTypeILj1EEEjLi3ELi128ELi1EEEvPT_NS1_25CatArrInputTensorMetadataIS5_T0_XT2_EXT3_EEENS1_16TensorSizeStrideIS8_Lj4EEEiS8_.has_dyn_sized_stack, 0
	.set _ZN2at6native12_GLOBAL__N_126CatArrayBatchedCopy_contigINS1_10OpaqueTypeILj1EEEjLi3ELi128ELi1EEEvPT_NS1_25CatArrInputTensorMetadataIS5_T0_XT2_EXT3_EEENS1_16TensorSizeStrideIS8_Lj4EEEiS8_.has_recursion, 0
	.set _ZN2at6native12_GLOBAL__N_126CatArrayBatchedCopy_contigINS1_10OpaqueTypeILj1EEEjLi3ELi128ELi1EEEvPT_NS1_25CatArrInputTensorMetadataIS5_T0_XT2_EXT3_EEENS1_16TensorSizeStrideIS8_Lj4EEEiS8_.has_indirect_call, 0
	.section	.AMDGPU.csdata,"",@progbits
; Kernel info:
; codeLenInByte = 548
; TotalNumSgprs: 30
; NumVgprs: 9
; NumAgprs: 0
; TotalNumVgprs: 9
; ScratchSize: 0
; MemoryBound: 0
; FloatMode: 240
; IeeeMode: 1
; LDSByteSize: 0 bytes/workgroup (compile time only)
; SGPRBlocks: 3
; VGPRBlocks: 1
; NumSGPRsForWavesPerEU: 30
; NumVGPRsForWavesPerEU: 9
; AccumOffset: 12
; Occupancy: 8
; WaveLimiterHint : 1
; COMPUTE_PGM_RSRC2:SCRATCH_EN: 0
; COMPUTE_PGM_RSRC2:USER_SGPR: 2
; COMPUTE_PGM_RSRC2:TRAP_HANDLER: 0
; COMPUTE_PGM_RSRC2:TGID_X_EN: 1
; COMPUTE_PGM_RSRC2:TGID_Y_EN: 1
; COMPUTE_PGM_RSRC2:TGID_Z_EN: 0
; COMPUTE_PGM_RSRC2:TIDIG_COMP_CNT: 0
; COMPUTE_PGM_RSRC3_GFX90A:ACCUM_OFFSET: 2
; COMPUTE_PGM_RSRC3_GFX90A:TG_SPLIT: 0
	.section	.text._ZN2at6native12_GLOBAL__N_119CatArrayBatchedCopyINS1_10OpaqueTypeILj1EEEjLi3ELi128ELi1EEEvPT_NS1_25CatArrInputTensorMetadataIS5_T0_XT2_EXT3_EEENS1_16TensorSizeStrideIS8_Lj4EEEiS8_,"axG",@progbits,_ZN2at6native12_GLOBAL__N_119CatArrayBatchedCopyINS1_10OpaqueTypeILj1EEEjLi3ELi128ELi1EEEvPT_NS1_25CatArrInputTensorMetadataIS5_T0_XT2_EXT3_EEENS1_16TensorSizeStrideIS8_Lj4EEEiS8_,comdat
	.globl	_ZN2at6native12_GLOBAL__N_119CatArrayBatchedCopyINS1_10OpaqueTypeILj1EEEjLi3ELi128ELi1EEEvPT_NS1_25CatArrInputTensorMetadataIS5_T0_XT2_EXT3_EEENS1_16TensorSizeStrideIS8_Lj4EEEiS8_ ; -- Begin function _ZN2at6native12_GLOBAL__N_119CatArrayBatchedCopyINS1_10OpaqueTypeILj1EEEjLi3ELi128ELi1EEEvPT_NS1_25CatArrInputTensorMetadataIS5_T0_XT2_EXT3_EEENS1_16TensorSizeStrideIS8_Lj4EEEiS8_
	.p2align	8
	.type	_ZN2at6native12_GLOBAL__N_119CatArrayBatchedCopyINS1_10OpaqueTypeILj1EEEjLi3ELi128ELi1EEEvPT_NS1_25CatArrInputTensorMetadataIS5_T0_XT2_EXT3_EEENS1_16TensorSizeStrideIS8_Lj4EEEiS8_,@function
_ZN2at6native12_GLOBAL__N_119CatArrayBatchedCopyINS1_10OpaqueTypeILj1EEEjLi3ELi128ELi1EEEvPT_NS1_25CatArrInputTensorMetadataIS5_T0_XT2_EXT3_EEENS1_16TensorSizeStrideIS8_Lj4EEEiS8_: ; @_ZN2at6native12_GLOBAL__N_119CatArrayBatchedCopyINS1_10OpaqueTypeILj1EEEjLi3ELi128ELi1EEEvPT_NS1_25CatArrInputTensorMetadataIS5_T0_XT2_EXT3_EEENS1_16TensorSizeStrideIS8_Lj4EEEiS8_
; %bb.0:
	s_mov_b32 s12, s3
	s_load_dword s3, s[0:1], 0xadc
	s_or_b32 s18, s0, 8
	s_add_u32 s16, s0, 0xad0
	s_mov_b32 s13, 0
	s_addc_u32 s17, s1, 0
	s_waitcnt lgkmcnt(0)
	s_and_b32 s21, s3, 0xffff
	s_lshl_b64 s[14:15], s[12:13], 2
	s_add_u32 s4, s18, s14
	s_addc_u32 s5, s1, s15
	s_load_dword s20, s[4:5], 0x800
	s_mul_i32 s2, s2, s21
	v_add_u32_e32 v0, s2, v0
	s_waitcnt lgkmcnt(0)
	v_cmp_gt_u32_e32 vcc, s20, v0
	s_and_saveexec_b64 s[2:3], vcc
	s_cbranch_execz .LBB14_5
; %bb.1:
	s_add_u32 s22, s18, s12
	s_addc_u32 s23, s1, 0
	v_mov_b32_e32 v1, 0
	global_load_ubyte v2, v1, s[22:23] offset:2560
	s_mov_b32 s19, s1
	s_load_dwordx2 s[24:25], s[0:1], 0xac8
	s_load_dwordx4 s[4:7], s[0:1], 0xab8
	s_load_dwordx4 s[8:11], s[18:19], 0xa90
	s_waitcnt lgkmcnt(0)
	s_load_dword s7, s[18:19], 0xa94
	s_load_dwordx2 s[2:3], s[0:1], 0x0
	s_load_dwordx2 s[26:27], s[0:1], 0xa8c
	;; [unrolled: 1-line block ×3, first 2 shown]
	s_load_dword s30, s[16:17], 0x0
	s_mul_i32 s16, s12, 7
	s_mul_hi_u32 s11, s12, 7
	s_mov_b64 s[12:13], 0
	s_mov_b32 s9, s10
	s_waitcnt vmcnt(0)
	v_and_b32_e32 v2, 1, v2
	v_cmp_eq_u32_e32 vcc, 1, v2
	s_xor_b64 s[0:1], vcc, -1
	s_add_u32 s16, s22, s16
	s_addc_u32 s17, s23, s11
	s_sub_u32 s10, 0, s14
	s_subb_u32 s11, 0, s15
	s_add_u32 s14, s16, s10
	s_addc_u32 s15, s17, s11
	s_load_dwordx2 s[10:11], s[16:17], 0x0
	s_load_dword s18, s[14:15], 0x400
	s_load_dword s19, s[14:15], 0x600
	s_cmp_eq_u32 s24, 2
	s_waitcnt lgkmcnt(0)
	s_mul_i32 s14, s30, s21
	v_cndmask_b32_e64 v2, 0, 1, s[0:1]
	s_mul_i32 s15, s18, s25
	s_cselect_b32 s16, s19, s29
	s_cselect_b32 s17, s19, s27
	s_cmp_eq_u32 s24, 1
	s_cselect_b32 s18, s19, s28
	s_cselect_b32 s19, s19, s26
	v_cvt_f32_u32_e32 v3, s16
	v_cvt_f32_u32_e32 v4, s17
	;; [unrolled: 1-line block ×4, first 2 shown]
	v_rcp_iflag_f32_e32 v3, v3
	v_rcp_iflag_f32_e32 v4, v4
	;; [unrolled: 1-line block ×4, first 2 shown]
	v_mul_f32_e32 v3, 0x4f7ffffe, v3
	v_mul_f32_e32 v4, 0x4f7ffffe, v4
	v_cvt_u32_f32_e32 v3, v3
	v_mul_f32_e32 v5, 0x4f7ffffe, v5
	v_cvt_u32_f32_e32 v7, v4
	;; [unrolled: 2-line block ×3, first 2 shown]
	v_cvt_u32_f32_e32 v8, v4
	s_sub_i32 s21, 0, s16
	s_sub_i32 s22, 0, s17
	;; [unrolled: 1-line block ×4, first 2 shown]
	v_mul_lo_u32 v4, s21, v3
	v_mul_lo_u32 v5, s22, v7
	v_mul_hi_u32 v4, v3, v4
	v_mul_lo_u32 v9, s0, v6
	v_mul_hi_u32 v5, v7, v5
	v_mul_lo_u32 v10, s1, v8
	v_add_u32_e32 v4, v3, v4
	v_mul_hi_u32 v3, v6, v9
	v_add_u32_e32 v5, v7, v5
	v_mul_hi_u32 v7, v8, v10
	v_add_u32_e32 v6, v6, v3
	v_add_u32_e32 v7, v8, v7
	v_cmp_ne_u32_e64 s[0:1], 1, v2
	s_branch .LBB14_3
.LBB14_2:                               ;   in Loop: Header=BB14_3 Depth=1
	v_lshl_add_u64 v[2:3], s[10:11], 0, v[2:3]
	global_load_ubyte v10, v[2:3], off
	v_mul_hi_u32 v8, v4, v0
	v_mad_u64_u32 v[2:3], s[24:25], s21, v8, v[0:1]
	v_not_b32_e32 v9, v8
	v_add_u32_e32 v3, 1, v8
	v_cmp_le_u32_e32 vcc, s16, v2
	s_nop 1
	v_cndmask_b32_e32 v3, v8, v3, vcc
	v_mad_u64_u32 v[8:9], s[24:25], s16, v9, v[0:1]
	v_cndmask_b32_e32 v2, v2, v8, vcc
	v_add_u32_e32 v8, 1, v3
	v_cmp_le_u32_e32 vcc, s16, v2
	s_nop 1
	v_cndmask_b32_e32 v8, v3, v8, vcc
	v_mad_u64_u32 v[2:3], s[24:25], s21, v8, v[0:1]
	v_mul_hi_u32 v3, v8, v6
	v_mul_lo_u32 v9, v3, s18
	v_sub_u32_e32 v9, v8, v9
	v_add_u32_e32 v11, 1, v3
	v_cmp_le_u32_e32 vcc, s18, v9
	v_add_u32_e32 v0, s14, v0
	s_nop 0
	v_cndmask_b32_e32 v3, v3, v11, vcc
	v_subrev_u32_e32 v11, s18, v9
	v_cndmask_b32_e32 v9, v9, v11, vcc
	v_add_u32_e32 v11, 1, v3
	v_cmp_le_u32_e32 vcc, s18, v9
	s_nop 1
	v_cndmask_b32_e32 v3, v3, v11, vcc
	v_mul_lo_u32 v9, v3, s18
	v_sub_u32_e32 v8, v8, v9
	v_mul_lo_u32 v9, v8, s5
	v_mul_lo_u32 v8, v3, s4
	v_mad_u64_u32 v[2:3], s[24:25], v2, s6, v[8:9]
	v_cmp_le_u32_e32 vcc, s20, v0
	v_add3_u32 v2, v2, v9, s15
	s_or_b64 s[12:13], vcc, s[12:13]
	s_waitcnt vmcnt(0)
	global_store_byte v2, v10, s[2:3]
	s_andn2_b64 exec, exec, s[12:13]
	s_cbranch_execz .LBB14_5
.LBB14_3:                               ; =>This Inner Loop Header: Depth=1
	s_and_b64 vcc, exec, s[0:1]
	v_mov_b64_e32 v[2:3], v[0:1]
	s_cbranch_vccnz .LBB14_2
; %bb.4:                                ;   in Loop: Header=BB14_3 Depth=1
	v_mul_hi_u32 v8, v5, v0
	v_mad_u64_u32 v[2:3], s[24:25], s22, v8, v[0:1]
	v_not_b32_e32 v9, v8
	v_add_u32_e32 v3, 1, v8
	v_cmp_le_u32_e32 vcc, s17, v2
	s_nop 1
	v_cndmask_b32_e32 v3, v8, v3, vcc
	v_mad_u64_u32 v[8:9], s[24:25], s17, v9, v[0:1]
	v_cndmask_b32_e32 v2, v2, v8, vcc
	v_add_u32_e32 v8, 1, v3
	v_cmp_le_u32_e32 vcc, s17, v2
	s_nop 1
	v_cndmask_b32_e32 v8, v3, v8, vcc
	v_mad_u64_u32 v[2:3], s[24:25], s22, v8, v[0:1]
	v_mul_hi_u32 v3, v8, v7
	v_mul_lo_u32 v9, v3, s19
	v_sub_u32_e32 v9, v8, v9
	v_add_u32_e32 v10, 1, v3
	v_cmp_le_u32_e32 vcc, s19, v9
	v_mul_lo_u32 v2, v2, s9
	s_nop 0
	v_cndmask_b32_e32 v3, v3, v10, vcc
	v_subrev_u32_e32 v10, s19, v9
	v_cndmask_b32_e32 v9, v9, v10, vcc
	v_add_u32_e32 v10, 1, v3
	v_cmp_le_u32_e32 vcc, s19, v9
	s_nop 1
	v_cndmask_b32_e32 v3, v3, v10, vcc
	v_mul_lo_u32 v9, v3, s19
	v_sub_u32_e32 v8, v8, v9
	v_mul_lo_u32 v8, v8, s7
	v_mul_lo_u32 v3, v3, s8
	v_add3_u32 v2, v2, v3, v8
	v_mov_b32_e32 v3, v1
	s_branch .LBB14_2
.LBB14_5:
	s_endpgm
	.section	.rodata,"a",@progbits
	.p2align	6, 0x0
	.amdhsa_kernel _ZN2at6native12_GLOBAL__N_119CatArrayBatchedCopyINS1_10OpaqueTypeILj1EEEjLi3ELi128ELi1EEEvPT_NS1_25CatArrInputTensorMetadataIS5_T0_XT2_EXT3_EEENS1_16TensorSizeStrideIS8_Lj4EEEiS8_
		.amdhsa_group_segment_fixed_size 0
		.amdhsa_private_segment_fixed_size 0
		.amdhsa_kernarg_size 3024
		.amdhsa_user_sgpr_count 2
		.amdhsa_user_sgpr_dispatch_ptr 0
		.amdhsa_user_sgpr_queue_ptr 0
		.amdhsa_user_sgpr_kernarg_segment_ptr 1
		.amdhsa_user_sgpr_dispatch_id 0
		.amdhsa_user_sgpr_kernarg_preload_length 0
		.amdhsa_user_sgpr_kernarg_preload_offset 0
		.amdhsa_user_sgpr_private_segment_size 0
		.amdhsa_uses_dynamic_stack 0
		.amdhsa_enable_private_segment 0
		.amdhsa_system_sgpr_workgroup_id_x 1
		.amdhsa_system_sgpr_workgroup_id_y 1
		.amdhsa_system_sgpr_workgroup_id_z 0
		.amdhsa_system_sgpr_workgroup_info 0
		.amdhsa_system_vgpr_workitem_id 0
		.amdhsa_next_free_vgpr 12
		.amdhsa_next_free_sgpr 31
		.amdhsa_accum_offset 12
		.amdhsa_reserve_vcc 1
		.amdhsa_float_round_mode_32 0
		.amdhsa_float_round_mode_16_64 0
		.amdhsa_float_denorm_mode_32 3
		.amdhsa_float_denorm_mode_16_64 3
		.amdhsa_dx10_clamp 1
		.amdhsa_ieee_mode 1
		.amdhsa_fp16_overflow 0
		.amdhsa_tg_split 0
		.amdhsa_exception_fp_ieee_invalid_op 0
		.amdhsa_exception_fp_denorm_src 0
		.amdhsa_exception_fp_ieee_div_zero 0
		.amdhsa_exception_fp_ieee_overflow 0
		.amdhsa_exception_fp_ieee_underflow 0
		.amdhsa_exception_fp_ieee_inexact 0
		.amdhsa_exception_int_div_zero 0
	.end_amdhsa_kernel
	.section	.text._ZN2at6native12_GLOBAL__N_119CatArrayBatchedCopyINS1_10OpaqueTypeILj1EEEjLi3ELi128ELi1EEEvPT_NS1_25CatArrInputTensorMetadataIS5_T0_XT2_EXT3_EEENS1_16TensorSizeStrideIS8_Lj4EEEiS8_,"axG",@progbits,_ZN2at6native12_GLOBAL__N_119CatArrayBatchedCopyINS1_10OpaqueTypeILj1EEEjLi3ELi128ELi1EEEvPT_NS1_25CatArrInputTensorMetadataIS5_T0_XT2_EXT3_EEENS1_16TensorSizeStrideIS8_Lj4EEEiS8_,comdat
.Lfunc_end14:
	.size	_ZN2at6native12_GLOBAL__N_119CatArrayBatchedCopyINS1_10OpaqueTypeILj1EEEjLi3ELi128ELi1EEEvPT_NS1_25CatArrInputTensorMetadataIS5_T0_XT2_EXT3_EEENS1_16TensorSizeStrideIS8_Lj4EEEiS8_, .Lfunc_end14-_ZN2at6native12_GLOBAL__N_119CatArrayBatchedCopyINS1_10OpaqueTypeILj1EEEjLi3ELi128ELi1EEEvPT_NS1_25CatArrInputTensorMetadataIS5_T0_XT2_EXT3_EEENS1_16TensorSizeStrideIS8_Lj4EEEiS8_
                                        ; -- End function
	.set _ZN2at6native12_GLOBAL__N_119CatArrayBatchedCopyINS1_10OpaqueTypeILj1EEEjLi3ELi128ELi1EEEvPT_NS1_25CatArrInputTensorMetadataIS5_T0_XT2_EXT3_EEENS1_16TensorSizeStrideIS8_Lj4EEEiS8_.num_vgpr, 12
	.set _ZN2at6native12_GLOBAL__N_119CatArrayBatchedCopyINS1_10OpaqueTypeILj1EEEjLi3ELi128ELi1EEEvPT_NS1_25CatArrInputTensorMetadataIS5_T0_XT2_EXT3_EEENS1_16TensorSizeStrideIS8_Lj4EEEiS8_.num_agpr, 0
	.set _ZN2at6native12_GLOBAL__N_119CatArrayBatchedCopyINS1_10OpaqueTypeILj1EEEjLi3ELi128ELi1EEEvPT_NS1_25CatArrInputTensorMetadataIS5_T0_XT2_EXT3_EEENS1_16TensorSizeStrideIS8_Lj4EEEiS8_.numbered_sgpr, 31
	.set _ZN2at6native12_GLOBAL__N_119CatArrayBatchedCopyINS1_10OpaqueTypeILj1EEEjLi3ELi128ELi1EEEvPT_NS1_25CatArrInputTensorMetadataIS5_T0_XT2_EXT3_EEENS1_16TensorSizeStrideIS8_Lj4EEEiS8_.num_named_barrier, 0
	.set _ZN2at6native12_GLOBAL__N_119CatArrayBatchedCopyINS1_10OpaqueTypeILj1EEEjLi3ELi128ELi1EEEvPT_NS1_25CatArrInputTensorMetadataIS5_T0_XT2_EXT3_EEENS1_16TensorSizeStrideIS8_Lj4EEEiS8_.private_seg_size, 0
	.set _ZN2at6native12_GLOBAL__N_119CatArrayBatchedCopyINS1_10OpaqueTypeILj1EEEjLi3ELi128ELi1EEEvPT_NS1_25CatArrInputTensorMetadataIS5_T0_XT2_EXT3_EEENS1_16TensorSizeStrideIS8_Lj4EEEiS8_.uses_vcc, 1
	.set _ZN2at6native12_GLOBAL__N_119CatArrayBatchedCopyINS1_10OpaqueTypeILj1EEEjLi3ELi128ELi1EEEvPT_NS1_25CatArrInputTensorMetadataIS5_T0_XT2_EXT3_EEENS1_16TensorSizeStrideIS8_Lj4EEEiS8_.uses_flat_scratch, 0
	.set _ZN2at6native12_GLOBAL__N_119CatArrayBatchedCopyINS1_10OpaqueTypeILj1EEEjLi3ELi128ELi1EEEvPT_NS1_25CatArrInputTensorMetadataIS5_T0_XT2_EXT3_EEENS1_16TensorSizeStrideIS8_Lj4EEEiS8_.has_dyn_sized_stack, 0
	.set _ZN2at6native12_GLOBAL__N_119CatArrayBatchedCopyINS1_10OpaqueTypeILj1EEEjLi3ELi128ELi1EEEvPT_NS1_25CatArrInputTensorMetadataIS5_T0_XT2_EXT3_EEENS1_16TensorSizeStrideIS8_Lj4EEEiS8_.has_recursion, 0
	.set _ZN2at6native12_GLOBAL__N_119CatArrayBatchedCopyINS1_10OpaqueTypeILj1EEEjLi3ELi128ELi1EEEvPT_NS1_25CatArrInputTensorMetadataIS5_T0_XT2_EXT3_EEENS1_16TensorSizeStrideIS8_Lj4EEEiS8_.has_indirect_call, 0
	.section	.AMDGPU.csdata,"",@progbits
; Kernel info:
; codeLenInByte = 916
; TotalNumSgprs: 37
; NumVgprs: 12
; NumAgprs: 0
; TotalNumVgprs: 12
; ScratchSize: 0
; MemoryBound: 0
; FloatMode: 240
; IeeeMode: 1
; LDSByteSize: 0 bytes/workgroup (compile time only)
; SGPRBlocks: 4
; VGPRBlocks: 1
; NumSGPRsForWavesPerEU: 37
; NumVGPRsForWavesPerEU: 12
; AccumOffset: 12
; Occupancy: 8
; WaveLimiterHint : 1
; COMPUTE_PGM_RSRC2:SCRATCH_EN: 0
; COMPUTE_PGM_RSRC2:USER_SGPR: 2
; COMPUTE_PGM_RSRC2:TRAP_HANDLER: 0
; COMPUTE_PGM_RSRC2:TGID_X_EN: 1
; COMPUTE_PGM_RSRC2:TGID_Y_EN: 1
; COMPUTE_PGM_RSRC2:TGID_Z_EN: 0
; COMPUTE_PGM_RSRC2:TIDIG_COMP_CNT: 0
; COMPUTE_PGM_RSRC3_GFX90A:ACCUM_OFFSET: 2
; COMPUTE_PGM_RSRC3_GFX90A:TG_SPLIT: 0
	.section	.text._ZN2at6native12_GLOBAL__N_130CatArrayBatchedCopy_vectorizedINS1_10OpaqueTypeILj1EEEjLi4ELi128ELi1ELi16ELi16EEEvPcNS1_25CatArrInputTensorMetadataIT_T0_XT2_EXT3_EEENS1_16TensorSizeStrideIS8_Lj4EEEiS8_,"axG",@progbits,_ZN2at6native12_GLOBAL__N_130CatArrayBatchedCopy_vectorizedINS1_10OpaqueTypeILj1EEEjLi4ELi128ELi1ELi16ELi16EEEvPcNS1_25CatArrInputTensorMetadataIT_T0_XT2_EXT3_EEENS1_16TensorSizeStrideIS8_Lj4EEEiS8_,comdat
	.globl	_ZN2at6native12_GLOBAL__N_130CatArrayBatchedCopy_vectorizedINS1_10OpaqueTypeILj1EEEjLi4ELi128ELi1ELi16ELi16EEEvPcNS1_25CatArrInputTensorMetadataIT_T0_XT2_EXT3_EEENS1_16TensorSizeStrideIS8_Lj4EEEiS8_ ; -- Begin function _ZN2at6native12_GLOBAL__N_130CatArrayBatchedCopy_vectorizedINS1_10OpaqueTypeILj1EEEjLi4ELi128ELi1ELi16ELi16EEEvPcNS1_25CatArrInputTensorMetadataIT_T0_XT2_EXT3_EEENS1_16TensorSizeStrideIS8_Lj4EEEiS8_
	.p2align	8
	.type	_ZN2at6native12_GLOBAL__N_130CatArrayBatchedCopy_vectorizedINS1_10OpaqueTypeILj1EEEjLi4ELi128ELi1ELi16ELi16EEEvPcNS1_25CatArrInputTensorMetadataIT_T0_XT2_EXT3_EEENS1_16TensorSizeStrideIS8_Lj4EEEiS8_,@function
_ZN2at6native12_GLOBAL__N_130CatArrayBatchedCopy_vectorizedINS1_10OpaqueTypeILj1EEEjLi4ELi128ELi1ELi16ELi16EEEvPcNS1_25CatArrInputTensorMetadataIT_T0_XT2_EXT3_EEENS1_16TensorSizeStrideIS8_Lj4EEEiS8_: ; @_ZN2at6native12_GLOBAL__N_130CatArrayBatchedCopy_vectorizedINS1_10OpaqueTypeILj1EEEjLi4ELi128ELi1ELi16ELi16EEEvPcNS1_25CatArrInputTensorMetadataIT_T0_XT2_EXT3_EEENS1_16TensorSizeStrideIS8_Lj4EEEiS8_
; %bb.0:
	s_mov_b32 s4, s3
	s_load_dword s3, s[0:1], 0xadc
	s_add_u32 s8, s0, 0xad0
	s_mov_b32 s5, 0
	s_addc_u32 s9, s1, 0
	s_lshl_b64 s[10:11], s[4:5], 2
	s_waitcnt lgkmcnt(0)
	s_and_b32 s13, s3, 0xffff
	s_add_u32 s4, s0, s10
	s_addc_u32 s5, s1, s11
	s_load_dword s6, s[4:5], 0x808
	s_mul_i32 s2, s2, s13
	v_add_u32_e32 v0, s2, v0
	s_add_u32 s2, s4, 8
	s_addc_u32 s3, s5, 0
	s_waitcnt lgkmcnt(0)
	s_lshr_b32 s12, s6, 4
	v_cmp_gt_u32_e32 vcc, s12, v0
	s_and_saveexec_b64 s[4:5], vcc
	s_cbranch_execz .LBB15_3
; %bb.1:
	s_add_u32 s2, s2, s10
	s_addc_u32 s3, s3, s11
	s_load_dwordx4 s[4:7], s[0:1], 0xab8
	s_load_dwordx2 s[14:15], s[0:1], 0xac8
	s_load_dwordx2 s[20:21], s[0:1], 0x0
	s_load_dwordx4 s[16:19], s[0:1], 0xaac
	s_sub_u32 s0, 0, s10
	s_subb_u32 s1, 0, s11
	s_add_u32 s10, s2, s0
	s_addc_u32 s11, s3, s1
	s_waitcnt lgkmcnt(0)
	s_load_dword s19, s[10:11], 0x400
	s_load_dwordx2 s[0:1], s[2:3], 0x0
	s_load_dword s22, s[10:11], 0x600
	s_load_dword s23, s[8:9], 0x0
	s_mov_b64 s[2:3], 0
	s_waitcnt lgkmcnt(0)
	s_mul_i32 s19, s19, s15
	s_and_b32 s8, s19, -16
	s_mul_i32 s22, s22, s15
	s_lshr_b32 s9, s22, 4
	s_cmp_eq_u32 s14, 3
	s_cselect_b32 s10, s9, s18
	v_cvt_f32_u32_e32 v1, s10
	s_cmp_eq_u32 s14, 2
	s_mul_i32 s11, s23, s13
	s_cselect_b32 s13, s9, s17
	v_rcp_iflag_f32_e32 v1, v1
	s_cmp_eq_u32 s14, 1
	v_cvt_f32_u32_e32 v2, s13
	s_cselect_b32 s14, s9, s16
	v_mul_f32_e32 v1, 0x4f7ffffe, v1
	v_cvt_u32_f32_e32 v1, v1
	s_add_u32 s8, s20, s8
	s_addc_u32 s9, s21, 0
	s_sub_i32 s15, 0, s10
	v_mul_lo_u32 v3, s15, v1
	v_rcp_iflag_f32_e32 v4, v2
	v_mul_hi_u32 v2, v1, v3
	v_cvt_f32_u32_e32 v3, s14
	v_add_u32_e32 v2, v1, v2
	v_mul_f32_e32 v1, 0x4f7ffffe, v4
	v_cvt_u32_f32_e32 v4, v1
	v_rcp_iflag_f32_e32 v3, v3
	s_sub_i32 s16, 0, s13
	v_mov_b32_e32 v1, 0
	v_mul_lo_u32 v5, s16, v4
	v_mul_f32_e32 v3, 0x4f7ffffe, v3
	v_cvt_u32_f32_e32 v6, v3
	v_mul_hi_u32 v3, v4, v5
	s_sub_i32 s16, 0, s14
	v_add_u32_e32 v3, v4, v3
	v_mul_lo_u32 v4, s16, v6
	v_mul_hi_u32 v4, v6, v4
	v_add_u32_e32 v4, v6, v4
.LBB15_2:                               ; =>This Inner Loop Header: Depth=1
	v_lshl_add_u64 v[6:7], v[0:1], 4, s[0:1]
	global_load_dwordx4 v[6:9], v[6:7], off
	v_mul_hi_u32 v5, v2, v0
	v_mul_lo_u32 v10, s10, v5
	v_not_b32_e32 v12, v5
	v_sub_u32_e32 v10, v0, v10
	v_add_u32_e32 v14, 1, v5
	v_mad_u64_u32 v[12:13], s[16:17], s10, v12, v[0:1]
	v_cmp_le_u32_e32 vcc, s10, v10
	v_mov_b32_e32 v11, v1
	s_nop 0
	v_cndmask_b32_e32 v5, v5, v14, vcc
	v_cndmask_b32_e32 v10, v10, v12, vcc
	v_add_u32_e32 v12, 1, v5
	v_cmp_le_u32_e32 vcc, s10, v10
	s_nop 1
	v_cndmask_b32_e32 v5, v5, v12, vcc
	v_mul_hi_u32 v14, v5, v3
	v_mad_u64_u32 v[12:13], s[16:17], s15, v5, v[0:1]
	v_add_u32_e32 v0, s11, v0
	v_mul_lo_u32 v13, v14, s13
	v_mul_lo_u32 v10, v12, s7
	v_cmp_le_u32_e32 vcc, s12, v0
	v_sub_u32_e32 v12, v5, v13
	v_add_u32_e32 v15, 1, v14
	s_or_b64 s[2:3], vcc, s[2:3]
	v_cmp_le_u32_e32 vcc, s13, v12
	s_nop 1
	v_cndmask_b32_e32 v13, v14, v15, vcc
	v_subrev_u32_e32 v14, s13, v12
	v_cndmask_b32_e32 v12, v12, v14, vcc
	v_add_u32_e32 v14, 1, v13
	v_cmp_le_u32_e32 vcc, s13, v12
	s_nop 1
	v_cndmask_b32_e32 v14, v13, v14, vcc
	v_mul_lo_u32 v12, v14, s13
	v_mul_hi_u32 v13, v14, v4
	v_sub_u32_e32 v5, v5, v12
	v_mul_lo_u32 v12, v13, s14
	v_sub_u32_e32 v12, v14, v12
	v_add_u32_e32 v15, 1, v13
	v_cmp_le_u32_e32 vcc, s14, v12
	v_mul_lo_u32 v5, v5, s6
	s_nop 0
	v_cndmask_b32_e32 v13, v13, v15, vcc
	v_subrev_u32_e32 v15, s14, v12
	v_cndmask_b32_e32 v12, v12, v15, vcc
	v_add_u32_e32 v15, 1, v13
	v_cmp_le_u32_e32 vcc, s14, v12
	s_nop 1
	v_cndmask_b32_e32 v12, v13, v15, vcc
	v_mul_lo_u32 v15, v12, s14
	v_mad_u64_u32 v[12:13], s[16:17], v12, s4, v[10:11]
	v_sub_u32_e32 v10, v14, v15
	v_mul_lo_u32 v10, v10, s5
	v_add3_u32 v10, v12, v5, v10
	v_lshl_add_u64 v[10:11], v[10:11], 4, s[8:9]
	s_waitcnt vmcnt(0)
	global_store_dwordx4 v[10:11], v[6:9], off
	s_andn2_b64 exec, exec, s[2:3]
	s_cbranch_execnz .LBB15_2
.LBB15_3:
	s_endpgm
	.section	.rodata,"a",@progbits
	.p2align	6, 0x0
	.amdhsa_kernel _ZN2at6native12_GLOBAL__N_130CatArrayBatchedCopy_vectorizedINS1_10OpaqueTypeILj1EEEjLi4ELi128ELi1ELi16ELi16EEEvPcNS1_25CatArrInputTensorMetadataIT_T0_XT2_EXT3_EEENS1_16TensorSizeStrideIS8_Lj4EEEiS8_
		.amdhsa_group_segment_fixed_size 0
		.amdhsa_private_segment_fixed_size 0
		.amdhsa_kernarg_size 3024
		.amdhsa_user_sgpr_count 2
		.amdhsa_user_sgpr_dispatch_ptr 0
		.amdhsa_user_sgpr_queue_ptr 0
		.amdhsa_user_sgpr_kernarg_segment_ptr 1
		.amdhsa_user_sgpr_dispatch_id 0
		.amdhsa_user_sgpr_kernarg_preload_length 0
		.amdhsa_user_sgpr_kernarg_preload_offset 0
		.amdhsa_user_sgpr_private_segment_size 0
		.amdhsa_uses_dynamic_stack 0
		.amdhsa_enable_private_segment 0
		.amdhsa_system_sgpr_workgroup_id_x 1
		.amdhsa_system_sgpr_workgroup_id_y 1
		.amdhsa_system_sgpr_workgroup_id_z 0
		.amdhsa_system_sgpr_workgroup_info 0
		.amdhsa_system_vgpr_workitem_id 0
		.amdhsa_next_free_vgpr 16
		.amdhsa_next_free_sgpr 24
		.amdhsa_accum_offset 16
		.amdhsa_reserve_vcc 1
		.amdhsa_float_round_mode_32 0
		.amdhsa_float_round_mode_16_64 0
		.amdhsa_float_denorm_mode_32 3
		.amdhsa_float_denorm_mode_16_64 3
		.amdhsa_dx10_clamp 1
		.amdhsa_ieee_mode 1
		.amdhsa_fp16_overflow 0
		.amdhsa_tg_split 0
		.amdhsa_exception_fp_ieee_invalid_op 0
		.amdhsa_exception_fp_denorm_src 0
		.amdhsa_exception_fp_ieee_div_zero 0
		.amdhsa_exception_fp_ieee_overflow 0
		.amdhsa_exception_fp_ieee_underflow 0
		.amdhsa_exception_fp_ieee_inexact 0
		.amdhsa_exception_int_div_zero 0
	.end_amdhsa_kernel
	.section	.text._ZN2at6native12_GLOBAL__N_130CatArrayBatchedCopy_vectorizedINS1_10OpaqueTypeILj1EEEjLi4ELi128ELi1ELi16ELi16EEEvPcNS1_25CatArrInputTensorMetadataIT_T0_XT2_EXT3_EEENS1_16TensorSizeStrideIS8_Lj4EEEiS8_,"axG",@progbits,_ZN2at6native12_GLOBAL__N_130CatArrayBatchedCopy_vectorizedINS1_10OpaqueTypeILj1EEEjLi4ELi128ELi1ELi16ELi16EEEvPcNS1_25CatArrInputTensorMetadataIT_T0_XT2_EXT3_EEENS1_16TensorSizeStrideIS8_Lj4EEEiS8_,comdat
.Lfunc_end15:
	.size	_ZN2at6native12_GLOBAL__N_130CatArrayBatchedCopy_vectorizedINS1_10OpaqueTypeILj1EEEjLi4ELi128ELi1ELi16ELi16EEEvPcNS1_25CatArrInputTensorMetadataIT_T0_XT2_EXT3_EEENS1_16TensorSizeStrideIS8_Lj4EEEiS8_, .Lfunc_end15-_ZN2at6native12_GLOBAL__N_130CatArrayBatchedCopy_vectorizedINS1_10OpaqueTypeILj1EEEjLi4ELi128ELi1ELi16ELi16EEEvPcNS1_25CatArrInputTensorMetadataIT_T0_XT2_EXT3_EEENS1_16TensorSizeStrideIS8_Lj4EEEiS8_
                                        ; -- End function
	.set _ZN2at6native12_GLOBAL__N_130CatArrayBatchedCopy_vectorizedINS1_10OpaqueTypeILj1EEEjLi4ELi128ELi1ELi16ELi16EEEvPcNS1_25CatArrInputTensorMetadataIT_T0_XT2_EXT3_EEENS1_16TensorSizeStrideIS8_Lj4EEEiS8_.num_vgpr, 16
	.set _ZN2at6native12_GLOBAL__N_130CatArrayBatchedCopy_vectorizedINS1_10OpaqueTypeILj1EEEjLi4ELi128ELi1ELi16ELi16EEEvPcNS1_25CatArrInputTensorMetadataIT_T0_XT2_EXT3_EEENS1_16TensorSizeStrideIS8_Lj4EEEiS8_.num_agpr, 0
	.set _ZN2at6native12_GLOBAL__N_130CatArrayBatchedCopy_vectorizedINS1_10OpaqueTypeILj1EEEjLi4ELi128ELi1ELi16ELi16EEEvPcNS1_25CatArrInputTensorMetadataIT_T0_XT2_EXT3_EEENS1_16TensorSizeStrideIS8_Lj4EEEiS8_.numbered_sgpr, 24
	.set _ZN2at6native12_GLOBAL__N_130CatArrayBatchedCopy_vectorizedINS1_10OpaqueTypeILj1EEEjLi4ELi128ELi1ELi16ELi16EEEvPcNS1_25CatArrInputTensorMetadataIT_T0_XT2_EXT3_EEENS1_16TensorSizeStrideIS8_Lj4EEEiS8_.num_named_barrier, 0
	.set _ZN2at6native12_GLOBAL__N_130CatArrayBatchedCopy_vectorizedINS1_10OpaqueTypeILj1EEEjLi4ELi128ELi1ELi16ELi16EEEvPcNS1_25CatArrInputTensorMetadataIT_T0_XT2_EXT3_EEENS1_16TensorSizeStrideIS8_Lj4EEEiS8_.private_seg_size, 0
	.set _ZN2at6native12_GLOBAL__N_130CatArrayBatchedCopy_vectorizedINS1_10OpaqueTypeILj1EEEjLi4ELi128ELi1ELi16ELi16EEEvPcNS1_25CatArrInputTensorMetadataIT_T0_XT2_EXT3_EEENS1_16TensorSizeStrideIS8_Lj4EEEiS8_.uses_vcc, 1
	.set _ZN2at6native12_GLOBAL__N_130CatArrayBatchedCopy_vectorizedINS1_10OpaqueTypeILj1EEEjLi4ELi128ELi1ELi16ELi16EEEvPcNS1_25CatArrInputTensorMetadataIT_T0_XT2_EXT3_EEENS1_16TensorSizeStrideIS8_Lj4EEEiS8_.uses_flat_scratch, 0
	.set _ZN2at6native12_GLOBAL__N_130CatArrayBatchedCopy_vectorizedINS1_10OpaqueTypeILj1EEEjLi4ELi128ELi1ELi16ELi16EEEvPcNS1_25CatArrInputTensorMetadataIT_T0_XT2_EXT3_EEENS1_16TensorSizeStrideIS8_Lj4EEEiS8_.has_dyn_sized_stack, 0
	.set _ZN2at6native12_GLOBAL__N_130CatArrayBatchedCopy_vectorizedINS1_10OpaqueTypeILj1EEEjLi4ELi128ELi1ELi16ELi16EEEvPcNS1_25CatArrInputTensorMetadataIT_T0_XT2_EXT3_EEENS1_16TensorSizeStrideIS8_Lj4EEEiS8_.has_recursion, 0
	.set _ZN2at6native12_GLOBAL__N_130CatArrayBatchedCopy_vectorizedINS1_10OpaqueTypeILj1EEEjLi4ELi128ELi1ELi16ELi16EEEvPcNS1_25CatArrInputTensorMetadataIT_T0_XT2_EXT3_EEENS1_16TensorSizeStrideIS8_Lj4EEEiS8_.has_indirect_call, 0
	.section	.AMDGPU.csdata,"",@progbits
; Kernel info:
; codeLenInByte = 708
; TotalNumSgprs: 30
; NumVgprs: 16
; NumAgprs: 0
; TotalNumVgprs: 16
; ScratchSize: 0
; MemoryBound: 0
; FloatMode: 240
; IeeeMode: 1
; LDSByteSize: 0 bytes/workgroup (compile time only)
; SGPRBlocks: 3
; VGPRBlocks: 1
; NumSGPRsForWavesPerEU: 30
; NumVGPRsForWavesPerEU: 16
; AccumOffset: 16
; Occupancy: 8
; WaveLimiterHint : 1
; COMPUTE_PGM_RSRC2:SCRATCH_EN: 0
; COMPUTE_PGM_RSRC2:USER_SGPR: 2
; COMPUTE_PGM_RSRC2:TRAP_HANDLER: 0
; COMPUTE_PGM_RSRC2:TGID_X_EN: 1
; COMPUTE_PGM_RSRC2:TGID_Y_EN: 1
; COMPUTE_PGM_RSRC2:TGID_Z_EN: 0
; COMPUTE_PGM_RSRC2:TIDIG_COMP_CNT: 0
; COMPUTE_PGM_RSRC3_GFX90A:ACCUM_OFFSET: 3
; COMPUTE_PGM_RSRC3_GFX90A:TG_SPLIT: 0
	.section	.text._ZN2at6native12_GLOBAL__N_135CatArrayBatchedCopy_alignedK_contigINS1_10OpaqueTypeILj1EEEjLi4ELi128ELi1ELi16EEEvPT_NS1_25CatArrInputTensorMetadataIS5_T0_XT2_EXT3_EEENS1_16TensorSizeStrideIS8_Lj4EEEiS8_,"axG",@progbits,_ZN2at6native12_GLOBAL__N_135CatArrayBatchedCopy_alignedK_contigINS1_10OpaqueTypeILj1EEEjLi4ELi128ELi1ELi16EEEvPT_NS1_25CatArrInputTensorMetadataIS5_T0_XT2_EXT3_EEENS1_16TensorSizeStrideIS8_Lj4EEEiS8_,comdat
	.globl	_ZN2at6native12_GLOBAL__N_135CatArrayBatchedCopy_alignedK_contigINS1_10OpaqueTypeILj1EEEjLi4ELi128ELi1ELi16EEEvPT_NS1_25CatArrInputTensorMetadataIS5_T0_XT2_EXT3_EEENS1_16TensorSizeStrideIS8_Lj4EEEiS8_ ; -- Begin function _ZN2at6native12_GLOBAL__N_135CatArrayBatchedCopy_alignedK_contigINS1_10OpaqueTypeILj1EEEjLi4ELi128ELi1ELi16EEEvPT_NS1_25CatArrInputTensorMetadataIS5_T0_XT2_EXT3_EEENS1_16TensorSizeStrideIS8_Lj4EEEiS8_
	.p2align	8
	.type	_ZN2at6native12_GLOBAL__N_135CatArrayBatchedCopy_alignedK_contigINS1_10OpaqueTypeILj1EEEjLi4ELi128ELi1ELi16EEEvPT_NS1_25CatArrInputTensorMetadataIS5_T0_XT2_EXT3_EEENS1_16TensorSizeStrideIS8_Lj4EEEiS8_,@function
_ZN2at6native12_GLOBAL__N_135CatArrayBatchedCopy_alignedK_contigINS1_10OpaqueTypeILj1EEEjLi4ELi128ELi1ELi16EEEvPT_NS1_25CatArrInputTensorMetadataIS5_T0_XT2_EXT3_EEENS1_16TensorSizeStrideIS8_Lj4EEEiS8_: ; @_ZN2at6native12_GLOBAL__N_135CatArrayBatchedCopy_alignedK_contigINS1_10OpaqueTypeILj1EEEjLi4ELi128ELi1ELi16EEEvPT_NS1_25CatArrInputTensorMetadataIS5_T0_XT2_EXT3_EEENS1_16TensorSizeStrideIS8_Lj4EEEiS8_
; %bb.0:
	s_mov_b32 s4, s3
	s_load_dword s3, s[0:1], 0xadc
	s_add_u32 s18, s0, 0xad0
	s_mov_b32 s5, 0
	s_addc_u32 s19, s1, 0
	s_lshl_b64 s[4:5], s[4:5], 2
	s_waitcnt lgkmcnt(0)
	s_and_b32 s20, s3, 0xffff
	s_add_u32 s6, s0, s4
	s_addc_u32 s7, s1, s5
	s_load_dword s22, s[6:7], 0x808
	s_mul_i32 s2, s2, s20
	v_add_lshl_u32 v16, s2, v0, 4
	s_add_u32 s6, s6, 8
	s_addc_u32 s7, s7, 0
	s_waitcnt lgkmcnt(0)
	v_cmp_gt_u32_e32 vcc, s22, v16
	s_and_saveexec_b64 s[2:3], vcc
	s_cbranch_execz .LBB16_10
; %bb.1:
	s_add_u32 s14, s6, s4
	s_addc_u32 s15, s7, s5
	s_sub_u32 s4, 0, s4
	s_load_dwordx2 s[2:3], s[0:1], 0x0
	s_subb_u32 s5, 0, s5
	s_add_u32 s16, s14, s4
	s_addc_u32 s17, s15, s5
	s_load_dword s21, s[0:1], 0xacc
	s_load_dword s23, s[16:17], 0x400
	s_load_dwordx8 s[4:11], s[0:1], 0xaac
	s_load_dwordx2 s[12:13], s[14:15], 0x0
	s_load_dword s24, s[16:17], 0x600
	v_add_u32_e32 v0, 16, v16
	s_mov_b64 s[14:15], 0
	s_waitcnt lgkmcnt(0)
	s_mul_i32 s23, s23, s21
	v_cmp_ge_u32_e32 vcc, s22, v0
	s_and_saveexec_b64 s[16:17], vcc
	s_cbranch_execz .LBB16_7
; %bb.2:
	s_load_dword s0, s[18:19], 0x0
	v_mov_b32_e32 v17, 0
	s_mov_b32 s19, 0
	v_add_u32_e32 v22, 1, v16
	v_mov_b32_e32 v4, v17
	s_waitcnt lgkmcnt(0)
	s_mul_i32 s0, s0, s20
	s_lshl_b32 s18, s0, 4
	s_cmp_eq_u32 s11, 3
	s_cselect_b32 s25, s24, s6
	s_cmp_eq_u32 s11, 2
	v_cvt_f32_u32_e32 v0, s25
	s_cselect_b32 s26, s24, s5
	s_cmp_eq_u32 s11, 1
	v_cvt_f32_u32_e32 v1, s26
	s_cselect_b32 s27, s24, s4
	v_rcp_iflag_f32_e32 v0, v0
	v_cvt_f32_u32_e32 v2, s27
	v_rcp_iflag_f32_e32 v1, v1
	s_sub_i32 s28, 0, s25
	v_mul_f32_e32 v0, 0x4f7ffffe, v0
	v_rcp_iflag_f32_e32 v2, v2
	v_cvt_u32_f32_e32 v0, v0
	v_mul_f32_e32 v1, 0x4f7ffffe, v1
	v_cvt_u32_f32_e32 v1, v1
	v_mul_f32_e32 v2, 0x4f7ffffe, v2
	v_mul_lo_u32 v3, s28, v0
	v_cvt_u32_f32_e32 v2, v2
	v_mul_hi_u32 v3, v0, v3
	s_sub_i32 s0, 0, s26
	v_add_u32_e32 v19, v0, v3
	v_mul_lo_u32 v0, s0, v1
	v_mul_hi_u32 v0, v1, v0
	s_sub_i32 s0, 0, s27
	v_add_u32_e32 v20, v1, v0
	v_mul_lo_u32 v0, s0, v2
	v_mul_hi_u32 v0, v2, v0
	v_add_u32_e32 v21, v2, v0
	v_mov_b32_e32 v0, v17
	v_mov_b32_e32 v1, v17
	;; [unrolled: 1-line block ×15, first 2 shown]
.LBB16_3:                               ; =>This Loop Header: Depth=1
                                        ;     Child Loop BB16_4 Depth 2
	s_mov_b64 s[20:21], 0
	v_mov_b32_e32 v23, v16
	v_mov_b32_e32 v24, v22
.LBB16_4:                               ;   Parent Loop BB16_3 Depth=1
                                        ; =>  This Inner Loop Header: Depth=2
	v_mul_hi_u32 v25, v19, v24
	v_mul_hi_u32 v26, v19, v23
	v_add_u32_e32 v18, s20, v16
	v_mul_lo_u32 v28, s25, v25
	v_not_b32_e32 v29, v26
	v_mul_hi_u32 v30, v18, v19
	v_mad_u64_u32 v[26:27], s[0:1], s28, v26, v[18:19]
	v_not_b32_e32 v25, v25
	v_add_u32_e32 v27, 1, v18
	v_sub_u32_e32 v31, v22, v28
	v_add_u32_e32 v32, 1, v30
	v_mad_u64_u32 v[28:29], s[0:1], s25, v29, v[18:19]
	v_cmp_le_u32_e32 vcc, s25, v26
	v_mul_lo_u32 v25, s25, v25
	v_mul_hi_u32 v27, v27, v19
	v_cndmask_b32_e32 v29, v30, v32, vcc
	v_cndmask_b32_e32 v26, v26, v28, vcc
	v_add_u32_e32 v28, s20, v31
	v_add_u32_e32 v30, 1, v27
	v_add3_u32 v25, v22, v25, s20
	v_add_u32_e32 v31, 1, v29
	v_cmp_le_u32_e32 vcc, s25, v28
	v_cmp_le_u32_e64 s[0:1], s25, v26
	s_add_i32 s29, s20, 1
	v_cndmask_b32_e32 v30, v27, v30, vcc
	v_cndmask_b32_e64 v31, v29, v31, s[0:1]
	v_cndmask_b32_e32 v25, v28, v25, vcc
	v_add_u32_e32 v28, 1, v30
	v_mul_hi_u32 v32, v31, v20
	v_mad_u64_u32 v[26:27], s[0:1], s28, v31, v[18:19]
	v_cmp_le_u32_e32 vcc, s25, v25
	v_mul_lo_u32 v27, v32, s26
	v_mul_lo_u32 v26, v26, s10
	v_cndmask_b32_e32 v25, v30, v28, vcc
	v_mul_hi_u32 v33, v25, v20
	v_mad_u64_u32 v[28:29], s[0:1], s28, v25, v[18:19]
	v_sub_u32_e32 v18, v31, v27
	v_add_u32_e32 v30, 1, v32
	v_mul_lo_u32 v27, v33, s26
	v_cmp_le_u32_e32 vcc, s26, v18
	v_sub_u32_e32 v27, v25, v27
	v_add_u32_e32 v29, 1, v33
	v_cndmask_b32_e32 v30, v32, v30, vcc
	v_subrev_u32_e32 v32, s26, v18
	v_cndmask_b32_e32 v18, v18, v32, vcc
	v_cmp_le_u32_e32 vcc, s26, v27
	v_add_u32_e32 v32, 1, v30
	v_cmp_le_u32_e64 s[0:1], s26, v18
	v_cndmask_b32_e32 v29, v33, v29, vcc
	v_subrev_u32_e32 v33, s26, v27
	v_cndmask_b32_e64 v18, v30, v32, s[0:1]
	v_cndmask_b32_e32 v27, v27, v33, vcc
	v_add_u32_e32 v30, 1, v29
	v_mul_lo_u32 v32, v18, s26
	v_mul_hi_u32 v33, v18, v21
	v_cmp_le_u32_e32 vcc, s26, v27
	v_sub_u32_e32 v27, v31, v32
	v_mul_lo_u32 v35, v27, s9
	v_cndmask_b32_e32 v29, v29, v30, vcc
	v_mul_lo_u32 v30, v33, s27
	v_sub_u32_e32 v27, v18, v30
	v_add_u32_e32 v31, 1, v33
	v_mul_hi_u32 v34, v29, v21
	v_cmp_le_u32_e32 vcc, s27, v27
	v_mul_lo_u32 v30, v34, s27
	v_mul_lo_u32 v32, v29, s26
	v_cndmask_b32_e32 v31, v33, v31, vcc
	v_subrev_u32_e32 v33, s27, v27
	v_sub_u32_e32 v30, v29, v30
	v_cndmask_b32_e32 v27, v27, v33, vcc
	v_sub_u32_e32 v25, v25, v32
	v_add_u32_e32 v32, 1, v34
	v_add_u32_e32 v33, 1, v31
	v_cmp_le_u32_e32 vcc, s27, v30
	v_cmp_le_u32_e64 s[0:1], s27, v27
	v_mul_lo_u32 v28, s10, v28
	v_cndmask_b32_e32 v32, v34, v32, vcc
	v_subrev_u32_e32 v34, s27, v30
	v_cndmask_b32_e64 v27, v31, v33, s[0:1]
	v_cndmask_b32_e32 v30, v30, v34, vcc
	v_mul_lo_u32 v33, v27, s27
	v_add_u32_e32 v31, 1, v32
	v_mad_u64_u32 v[26:27], s[0:1], v27, s7, v[26:27]
	v_cmp_le_u32_e32 vcc, s27, v30
	v_sub_u32_e32 v18, v18, v33
	v_mul_lo_u32 v18, v18, s8
	v_cndmask_b32_e32 v27, v32, v31, vcc
	v_mul_lo_u32 v30, v27, s27
	v_add3_u32 v18, v26, v35, v18
	s_set_gpr_idx_on s20, gpr_idx(DST)
	v_mov_b32_e32 v0, v18
	s_set_gpr_idx_off
	s_add_u32 s20, s20, 2
	v_mul_lo_u32 v27, v27, s7
	v_sub_u32_e32 v29, v29, v30
	s_addc_u32 s21, s21, 0
	v_add_u32_e32 v24, 2, v24
	v_add_u32_e32 v23, 2, v23
	v_mul_lo_u32 v25, v25, s9
	v_add3_u32 v27, v28, s10, v27
	v_mul_lo_u32 v26, v29, s8
	s_cmp_eq_u32 s20, 16
	v_add3_u32 v18, v27, v25, v26
	s_set_gpr_idx_on s29, gpr_idx(DST)
	v_mov_b32_e32 v0, v18
	s_set_gpr_idx_off
	s_cbranch_scc0 .LBB16_4
; %bb.5:                                ;   in Loop: Header=BB16_3 Depth=1
	global_load_dwordx4 v[24:27], v16, s[12:13]
	v_lshl_add_u64 v[16:17], v[16:17], 0, s[18:19]
	v_add_u32_e32 v42, 16, v16
	v_cmp_lt_u32_e32 vcc, s22, v42
	v_add_u32_e32 v18, s23, v0
	s_or_b64 s[14:15], vcc, s[14:15]
	v_add_u32_e32 v22, s18, v22
	v_add_u32_e32 v23, s23, v1
	;; [unrolled: 1-line block ×16, first 2 shown]
	s_waitcnt vmcnt(0)
	v_lshrrev_b32_e32 v42, 8, v24
	v_lshrrev_b32_e32 v43, 24, v24
	;; [unrolled: 1-line block ×8, first 2 shown]
	global_store_byte v18, v24, s[2:3]
	global_store_byte v23, v42, s[2:3]
	global_store_byte_d16_hi v28, v24, s[2:3]
	global_store_byte v29, v43, s[2:3]
	global_store_byte v30, v25, s[2:3]
	global_store_byte v31, v44, s[2:3]
	global_store_byte_d16_hi v32, v25, s[2:3]
	global_store_byte v33, v45, s[2:3]
	;; [unrolled: 4-line block ×4, first 2 shown]
	s_andn2_b64 exec, exec, s[14:15]
	s_cbranch_execnz .LBB16_3
; %bb.6:
	s_or_b64 exec, exec, s[14:15]
.LBB16_7:
	s_or_b64 exec, exec, s[16:17]
	v_cmp_gt_u32_e32 vcc, s22, v16
	s_and_b64 exec, exec, vcc
	s_cbranch_execz .LBB16_10
; %bb.8:
	s_cmp_eq_u32 s11, 3
	s_cselect_b32 s6, s24, s6
	v_cvt_f32_u32_e32 v0, s6
	s_cmp_eq_u32 s11, 2
	s_cselect_b32 s5, s24, s5
	v_cvt_f32_u32_e32 v1, s5
	v_rcp_iflag_f32_e32 v0, v0
	s_cmp_eq_u32 s11, 1
	s_cselect_b32 s4, s24, s4
	v_cvt_f32_u32_e32 v2, s4
	v_mul_f32_e32 v0, 0x4f7ffffe, v0
	v_cvt_u32_f32_e32 v0, v0
	v_rcp_iflag_f32_e32 v1, v1
	s_sub_i32 s11, 0, s6
	v_rcp_iflag_f32_e32 v2, v2
	v_mul_lo_u32 v3, s11, v0
	v_mul_f32_e32 v1, 0x4f7ffffe, v1
	v_mul_hi_u32 v3, v0, v3
	v_add_u32_e32 v0, v0, v3
	v_cvt_u32_f32_e32 v3, v1
	v_mul_f32_e32 v2, 0x4f7ffffe, v2
	v_cvt_u32_f32_e32 v2, v2
	s_sub_i32 s0, 0, s5
	v_mul_lo_u32 v4, s0, v3
	v_mul_hi_u32 v4, v3, v4
	s_sub_i32 s0, 0, s4
	v_add_u32_e32 v4, v3, v4
	v_mul_lo_u32 v3, s0, v2
	v_mul_hi_u32 v3, v2, v3
	v_mov_b32_e32 v1, 0
	v_add_u32_e32 v5, v2, v3
	v_mad_u64_u32 v[2:3], s[0:1], v16, v0, 0
	v_mov_b32_e32 v17, v1
	s_mov_b64 s[0:1], 0
.LBB16_9:                               ; =>This Inner Loop Header: Depth=1
	v_lshl_add_u64 v[6:7], s[12:13], 0, v[16:17]
	global_load_ubyte v8, v[6:7], off
	v_mul_lo_u32 v6, s6, v3
	v_not_b32_e32 v7, v3
	v_sub_u32_e32 v10, v16, v6
	v_add_u32_e32 v9, 1, v3
	v_mad_u64_u32 v[6:7], s[14:15], s6, v7, v[16:17]
	v_cmp_le_u32_e32 vcc, s6, v10
	s_nop 1
	v_cndmask_b32_e32 v7, v3, v9, vcc
	v_cndmask_b32_e32 v6, v10, v6, vcc
	v_add_u32_e32 v9, 1, v7
	v_cmp_le_u32_e32 vcc, s6, v6
	v_lshl_add_u64 v[2:3], v[2:3], 0, v[0:1]
	s_nop 0
	v_cndmask_b32_e32 v9, v7, v9, vcc
	v_mul_hi_u32 v10, v9, v4
	v_mad_u64_u32 v[6:7], s[14:15], s11, v9, v[16:17]
	v_lshl_add_u64 v[16:17], v[16:17], 0, 1
	v_mul_lo_u32 v7, v10, s5
	v_cmp_le_u32_e32 vcc, s22, v16
	v_sub_u32_e32 v7, v9, v7
	v_add_u32_e32 v11, 1, v10
	s_or_b64 s[0:1], vcc, s[0:1]
	v_cmp_le_u32_e32 vcc, s5, v7
	v_mul_lo_u32 v6, v6, s10
	s_nop 0
	v_cndmask_b32_e32 v10, v10, v11, vcc
	v_subrev_u32_e32 v11, s5, v7
	v_cndmask_b32_e32 v7, v7, v11, vcc
	v_add_u32_e32 v11, 1, v10
	v_cmp_le_u32_e32 vcc, s5, v7
	s_nop 1
	v_cndmask_b32_e32 v7, v10, v11, vcc
	v_mul_hi_u32 v10, v7, v5
	v_mul_lo_u32 v11, v7, s5
	v_mul_lo_u32 v12, v10, s4
	v_sub_u32_e32 v9, v9, v11
	v_sub_u32_e32 v11, v7, v12
	v_add_u32_e32 v13, 1, v10
	v_cmp_le_u32_e32 vcc, s4, v11
	v_subrev_u32_e32 v12, s4, v11
	v_mul_lo_u32 v9, v9, s9
	v_cndmask_b32_e32 v10, v10, v13, vcc
	v_cndmask_b32_e32 v11, v11, v12, vcc
	v_add_u32_e32 v12, 1, v10
	v_cmp_le_u32_e32 vcc, s4, v11
	s_nop 1
	v_cndmask_b32_e32 v10, v10, v12, vcc
	v_mul_lo_u32 v11, v10, s4
	v_mul_lo_u32 v10, v10, s7
	v_sub_u32_e32 v7, v7, v11
	v_add3_u32 v6, v10, v6, v9
	v_mul_lo_u32 v7, v7, s8
	v_add3_u32 v6, v6, v7, s23
	s_waitcnt vmcnt(0)
	global_store_byte v6, v8, s[2:3]
	s_andn2_b64 exec, exec, s[0:1]
	s_cbranch_execnz .LBB16_9
.LBB16_10:
	s_endpgm
	.section	.rodata,"a",@progbits
	.p2align	6, 0x0
	.amdhsa_kernel _ZN2at6native12_GLOBAL__N_135CatArrayBatchedCopy_alignedK_contigINS1_10OpaqueTypeILj1EEEjLi4ELi128ELi1ELi16EEEvPT_NS1_25CatArrInputTensorMetadataIS5_T0_XT2_EXT3_EEENS1_16TensorSizeStrideIS8_Lj4EEEiS8_
		.amdhsa_group_segment_fixed_size 0
		.amdhsa_private_segment_fixed_size 0
		.amdhsa_kernarg_size 3024
		.amdhsa_user_sgpr_count 2
		.amdhsa_user_sgpr_dispatch_ptr 0
		.amdhsa_user_sgpr_queue_ptr 0
		.amdhsa_user_sgpr_kernarg_segment_ptr 1
		.amdhsa_user_sgpr_dispatch_id 0
		.amdhsa_user_sgpr_kernarg_preload_length 0
		.amdhsa_user_sgpr_kernarg_preload_offset 0
		.amdhsa_user_sgpr_private_segment_size 0
		.amdhsa_uses_dynamic_stack 0
		.amdhsa_enable_private_segment 0
		.amdhsa_system_sgpr_workgroup_id_x 1
		.amdhsa_system_sgpr_workgroup_id_y 1
		.amdhsa_system_sgpr_workgroup_id_z 0
		.amdhsa_system_sgpr_workgroup_info 0
		.amdhsa_system_vgpr_workitem_id 0
		.amdhsa_next_free_vgpr 50
		.amdhsa_next_free_sgpr 30
		.amdhsa_accum_offset 52
		.amdhsa_reserve_vcc 1
		.amdhsa_float_round_mode_32 0
		.amdhsa_float_round_mode_16_64 0
		.amdhsa_float_denorm_mode_32 3
		.amdhsa_float_denorm_mode_16_64 3
		.amdhsa_dx10_clamp 1
		.amdhsa_ieee_mode 1
		.amdhsa_fp16_overflow 0
		.amdhsa_tg_split 0
		.amdhsa_exception_fp_ieee_invalid_op 0
		.amdhsa_exception_fp_denorm_src 0
		.amdhsa_exception_fp_ieee_div_zero 0
		.amdhsa_exception_fp_ieee_overflow 0
		.amdhsa_exception_fp_ieee_underflow 0
		.amdhsa_exception_fp_ieee_inexact 0
		.amdhsa_exception_int_div_zero 0
	.end_amdhsa_kernel
	.section	.text._ZN2at6native12_GLOBAL__N_135CatArrayBatchedCopy_alignedK_contigINS1_10OpaqueTypeILj1EEEjLi4ELi128ELi1ELi16EEEvPT_NS1_25CatArrInputTensorMetadataIS5_T0_XT2_EXT3_EEENS1_16TensorSizeStrideIS8_Lj4EEEiS8_,"axG",@progbits,_ZN2at6native12_GLOBAL__N_135CatArrayBatchedCopy_alignedK_contigINS1_10OpaqueTypeILj1EEEjLi4ELi128ELi1ELi16EEEvPT_NS1_25CatArrInputTensorMetadataIS5_T0_XT2_EXT3_EEENS1_16TensorSizeStrideIS8_Lj4EEEiS8_,comdat
.Lfunc_end16:
	.size	_ZN2at6native12_GLOBAL__N_135CatArrayBatchedCopy_alignedK_contigINS1_10OpaqueTypeILj1EEEjLi4ELi128ELi1ELi16EEEvPT_NS1_25CatArrInputTensorMetadataIS5_T0_XT2_EXT3_EEENS1_16TensorSizeStrideIS8_Lj4EEEiS8_, .Lfunc_end16-_ZN2at6native12_GLOBAL__N_135CatArrayBatchedCopy_alignedK_contigINS1_10OpaqueTypeILj1EEEjLi4ELi128ELi1ELi16EEEvPT_NS1_25CatArrInputTensorMetadataIS5_T0_XT2_EXT3_EEENS1_16TensorSizeStrideIS8_Lj4EEEiS8_
                                        ; -- End function
	.set _ZN2at6native12_GLOBAL__N_135CatArrayBatchedCopy_alignedK_contigINS1_10OpaqueTypeILj1EEEjLi4ELi128ELi1ELi16EEEvPT_NS1_25CatArrInputTensorMetadataIS5_T0_XT2_EXT3_EEENS1_16TensorSizeStrideIS8_Lj4EEEiS8_.num_vgpr, 50
	.set _ZN2at6native12_GLOBAL__N_135CatArrayBatchedCopy_alignedK_contigINS1_10OpaqueTypeILj1EEEjLi4ELi128ELi1ELi16EEEvPT_NS1_25CatArrInputTensorMetadataIS5_T0_XT2_EXT3_EEENS1_16TensorSizeStrideIS8_Lj4EEEiS8_.num_agpr, 0
	.set _ZN2at6native12_GLOBAL__N_135CatArrayBatchedCopy_alignedK_contigINS1_10OpaqueTypeILj1EEEjLi4ELi128ELi1ELi16EEEvPT_NS1_25CatArrInputTensorMetadataIS5_T0_XT2_EXT3_EEENS1_16TensorSizeStrideIS8_Lj4EEEiS8_.numbered_sgpr, 30
	.set _ZN2at6native12_GLOBAL__N_135CatArrayBatchedCopy_alignedK_contigINS1_10OpaqueTypeILj1EEEjLi4ELi128ELi1ELi16EEEvPT_NS1_25CatArrInputTensorMetadataIS5_T0_XT2_EXT3_EEENS1_16TensorSizeStrideIS8_Lj4EEEiS8_.num_named_barrier, 0
	.set _ZN2at6native12_GLOBAL__N_135CatArrayBatchedCopy_alignedK_contigINS1_10OpaqueTypeILj1EEEjLi4ELi128ELi1ELi16EEEvPT_NS1_25CatArrInputTensorMetadataIS5_T0_XT2_EXT3_EEENS1_16TensorSizeStrideIS8_Lj4EEEiS8_.private_seg_size, 0
	.set _ZN2at6native12_GLOBAL__N_135CatArrayBatchedCopy_alignedK_contigINS1_10OpaqueTypeILj1EEEjLi4ELi128ELi1ELi16EEEvPT_NS1_25CatArrInputTensorMetadataIS5_T0_XT2_EXT3_EEENS1_16TensorSizeStrideIS8_Lj4EEEiS8_.uses_vcc, 1
	.set _ZN2at6native12_GLOBAL__N_135CatArrayBatchedCopy_alignedK_contigINS1_10OpaqueTypeILj1EEEjLi4ELi128ELi1ELi16EEEvPT_NS1_25CatArrInputTensorMetadataIS5_T0_XT2_EXT3_EEENS1_16TensorSizeStrideIS8_Lj4EEEiS8_.uses_flat_scratch, 0
	.set _ZN2at6native12_GLOBAL__N_135CatArrayBatchedCopy_alignedK_contigINS1_10OpaqueTypeILj1EEEjLi4ELi128ELi1ELi16EEEvPT_NS1_25CatArrInputTensorMetadataIS5_T0_XT2_EXT3_EEENS1_16TensorSizeStrideIS8_Lj4EEEiS8_.has_dyn_sized_stack, 0
	.set _ZN2at6native12_GLOBAL__N_135CatArrayBatchedCopy_alignedK_contigINS1_10OpaqueTypeILj1EEEjLi4ELi128ELi1ELi16EEEvPT_NS1_25CatArrInputTensorMetadataIS5_T0_XT2_EXT3_EEENS1_16TensorSizeStrideIS8_Lj4EEEiS8_.has_recursion, 0
	.set _ZN2at6native12_GLOBAL__N_135CatArrayBatchedCopy_alignedK_contigINS1_10OpaqueTypeILj1EEEjLi4ELi128ELi1ELi16EEEvPT_NS1_25CatArrInputTensorMetadataIS5_T0_XT2_EXT3_EEENS1_16TensorSizeStrideIS8_Lj4EEEiS8_.has_indirect_call, 0
	.section	.AMDGPU.csdata,"",@progbits
; Kernel info:
; codeLenInByte = 1832
; TotalNumSgprs: 36
; NumVgprs: 50
; NumAgprs: 0
; TotalNumVgprs: 50
; ScratchSize: 0
; MemoryBound: 0
; FloatMode: 240
; IeeeMode: 1
; LDSByteSize: 0 bytes/workgroup (compile time only)
; SGPRBlocks: 4
; VGPRBlocks: 6
; NumSGPRsForWavesPerEU: 36
; NumVGPRsForWavesPerEU: 50
; AccumOffset: 52
; Occupancy: 8
; WaveLimiterHint : 1
; COMPUTE_PGM_RSRC2:SCRATCH_EN: 0
; COMPUTE_PGM_RSRC2:USER_SGPR: 2
; COMPUTE_PGM_RSRC2:TRAP_HANDLER: 0
; COMPUTE_PGM_RSRC2:TGID_X_EN: 1
; COMPUTE_PGM_RSRC2:TGID_Y_EN: 1
; COMPUTE_PGM_RSRC2:TGID_Z_EN: 0
; COMPUTE_PGM_RSRC2:TIDIG_COMP_CNT: 0
; COMPUTE_PGM_RSRC3_GFX90A:ACCUM_OFFSET: 12
; COMPUTE_PGM_RSRC3_GFX90A:TG_SPLIT: 0
	.section	.text._ZN2at6native12_GLOBAL__N_135CatArrayBatchedCopy_alignedK_contigINS1_10OpaqueTypeILj1EEEjLi4ELi128ELi1ELi8EEEvPT_NS1_25CatArrInputTensorMetadataIS5_T0_XT2_EXT3_EEENS1_16TensorSizeStrideIS8_Lj4EEEiS8_,"axG",@progbits,_ZN2at6native12_GLOBAL__N_135CatArrayBatchedCopy_alignedK_contigINS1_10OpaqueTypeILj1EEEjLi4ELi128ELi1ELi8EEEvPT_NS1_25CatArrInputTensorMetadataIS5_T0_XT2_EXT3_EEENS1_16TensorSizeStrideIS8_Lj4EEEiS8_,comdat
	.globl	_ZN2at6native12_GLOBAL__N_135CatArrayBatchedCopy_alignedK_contigINS1_10OpaqueTypeILj1EEEjLi4ELi128ELi1ELi8EEEvPT_NS1_25CatArrInputTensorMetadataIS5_T0_XT2_EXT3_EEENS1_16TensorSizeStrideIS8_Lj4EEEiS8_ ; -- Begin function _ZN2at6native12_GLOBAL__N_135CatArrayBatchedCopy_alignedK_contigINS1_10OpaqueTypeILj1EEEjLi4ELi128ELi1ELi8EEEvPT_NS1_25CatArrInputTensorMetadataIS5_T0_XT2_EXT3_EEENS1_16TensorSizeStrideIS8_Lj4EEEiS8_
	.p2align	8
	.type	_ZN2at6native12_GLOBAL__N_135CatArrayBatchedCopy_alignedK_contigINS1_10OpaqueTypeILj1EEEjLi4ELi128ELi1ELi8EEEvPT_NS1_25CatArrInputTensorMetadataIS5_T0_XT2_EXT3_EEENS1_16TensorSizeStrideIS8_Lj4EEEiS8_,@function
_ZN2at6native12_GLOBAL__N_135CatArrayBatchedCopy_alignedK_contigINS1_10OpaqueTypeILj1EEEjLi4ELi128ELi1ELi8EEEvPT_NS1_25CatArrInputTensorMetadataIS5_T0_XT2_EXT3_EEENS1_16TensorSizeStrideIS8_Lj4EEEiS8_: ; @_ZN2at6native12_GLOBAL__N_135CatArrayBatchedCopy_alignedK_contigINS1_10OpaqueTypeILj1EEEjLi4ELi128ELi1ELi8EEEvPT_NS1_25CatArrInputTensorMetadataIS5_T0_XT2_EXT3_EEENS1_16TensorSizeStrideIS8_Lj4EEEiS8_
; %bb.0:
	s_mov_b32 s4, s3
	s_load_dword s3, s[0:1], 0xadc
	s_add_u32 s18, s0, 0xad0
	s_mov_b32 s5, 0
	s_addc_u32 s19, s1, 0
	s_lshl_b64 s[4:5], s[4:5], 2
	s_waitcnt lgkmcnt(0)
	s_and_b32 s20, s3, 0xffff
	s_add_u32 s6, s0, s4
	s_addc_u32 s7, s1, s5
	s_load_dword s22, s[6:7], 0x808
	s_mul_i32 s2, s2, s20
	v_add_lshl_u32 v8, s2, v0, 3
	s_add_u32 s6, s6, 8
	s_addc_u32 s7, s7, 0
	s_waitcnt lgkmcnt(0)
	v_cmp_gt_u32_e32 vcc, s22, v8
	s_and_saveexec_b64 s[2:3], vcc
	s_cbranch_execz .LBB17_10
; %bb.1:
	s_add_u32 s14, s6, s4
	s_addc_u32 s15, s7, s5
	s_sub_u32 s4, 0, s4
	s_load_dwordx2 s[2:3], s[0:1], 0x0
	s_subb_u32 s5, 0, s5
	s_add_u32 s16, s14, s4
	s_addc_u32 s17, s15, s5
	s_load_dword s21, s[0:1], 0xacc
	s_load_dword s23, s[16:17], 0x400
	s_load_dwordx8 s[4:11], s[0:1], 0xaac
	s_load_dwordx2 s[12:13], s[14:15], 0x0
	s_load_dword s24, s[16:17], 0x600
	v_add_u32_e32 v0, 8, v8
	s_mov_b64 s[14:15], 0
	s_waitcnt lgkmcnt(0)
	s_mul_i32 s23, s23, s21
	v_cmp_ge_u32_e32 vcc, s22, v0
	s_and_saveexec_b64 s[16:17], vcc
	s_cbranch_execz .LBB17_7
; %bb.2:
	s_load_dword s0, s[18:19], 0x0
	v_mov_b32_e32 v9, 0
	s_mov_b32 s19, 0
	v_add_u32_e32 v13, 1, v8
	v_mov_b32_e32 v4, v9
	s_waitcnt lgkmcnt(0)
	s_mul_i32 s0, s0, s20
	s_lshl_b32 s18, s0, 3
	s_cmp_eq_u32 s11, 3
	s_cselect_b32 s25, s24, s6
	s_cmp_eq_u32 s11, 2
	v_cvt_f32_u32_e32 v0, s25
	s_cselect_b32 s26, s24, s5
	s_cmp_eq_u32 s11, 1
	v_cvt_f32_u32_e32 v1, s26
	s_cselect_b32 s27, s24, s4
	v_rcp_iflag_f32_e32 v0, v0
	v_cvt_f32_u32_e32 v2, s27
	v_rcp_iflag_f32_e32 v1, v1
	s_sub_i32 s28, 0, s25
	v_mul_f32_e32 v0, 0x4f7ffffe, v0
	v_rcp_iflag_f32_e32 v2, v2
	v_cvt_u32_f32_e32 v0, v0
	v_mul_f32_e32 v1, 0x4f7ffffe, v1
	v_cvt_u32_f32_e32 v1, v1
	v_mul_f32_e32 v2, 0x4f7ffffe, v2
	v_mul_lo_u32 v3, s28, v0
	v_cvt_u32_f32_e32 v2, v2
	v_mul_hi_u32 v3, v0, v3
	s_sub_i32 s0, 0, s26
	v_add_u32_e32 v10, v0, v3
	v_mul_lo_u32 v0, s0, v1
	v_mul_hi_u32 v0, v1, v0
	s_sub_i32 s0, 0, s27
	v_add_u32_e32 v11, v1, v0
	v_mul_lo_u32 v0, s0, v2
	v_mul_hi_u32 v0, v2, v0
	v_add_u32_e32 v12, v2, v0
	v_mov_b32_e32 v0, v9
	v_mov_b32_e32 v1, v9
	;; [unrolled: 1-line block ×7, first 2 shown]
.LBB17_3:                               ; =>This Loop Header: Depth=1
                                        ;     Child Loop BB17_4 Depth 2
	s_mov_b64 s[20:21], 0
	v_mov_b32_e32 v14, v8
	v_mov_b32_e32 v15, v13
.LBB17_4:                               ;   Parent Loop BB17_3 Depth=1
                                        ; =>  This Inner Loop Header: Depth=2
	v_mul_hi_u32 v17, v10, v14
	v_add_u32_e32 v16, s20, v8
	v_mul_hi_u32 v20, v16, v10
	v_mad_u64_u32 v[18:19], s[0:1], s28, v17, v[16:17]
	v_add_u32_e32 v21, 1, v20
	v_cmp_le_u32_e32 vcc, s25, v18
	v_not_b32_e32 v17, v17
	s_cmp_eq_u32 s20, 0
	v_cndmask_b32_e32 v19, v20, v21, vcc
	v_mad_u64_u32 v[20:21], s[0:1], s25, v17, v[16:17]
	v_cndmask_b32_e32 v17, v18, v20, vcc
	v_add_u32_e32 v18, 1, v19
	v_cmp_le_u32_e32 vcc, s25, v17
	v_add_u32_e32 v14, 2, v14
	s_nop 0
	v_cndmask_b32_e32 v17, v19, v18, vcc
	v_mul_hi_u32 v18, v17, v11
	v_mul_lo_u32 v19, v18, s26
	v_sub_u32_e32 v19, v17, v19
	v_add_u32_e32 v20, 1, v18
	v_cmp_le_u32_e32 vcc, s26, v19
	s_nop 1
	v_cndmask_b32_e32 v18, v18, v20, vcc
	v_subrev_u32_e32 v20, s26, v19
	v_cndmask_b32_e32 v19, v19, v20, vcc
	v_add_u32_e32 v20, 1, v18
	v_cmp_le_u32_e32 vcc, s26, v19
	s_nop 1
	v_cndmask_b32_e32 v20, v18, v20, vcc
	v_mul_hi_u32 v18, v20, v12
	v_mul_lo_u32 v19, v18, s27
	v_sub_u32_e32 v19, v20, v19
	v_add_u32_e32 v21, 1, v18
	v_cmp_le_u32_e32 vcc, s27, v19
	s_nop 1
	v_cndmask_b32_e32 v18, v18, v21, vcc
	v_subrev_u32_e32 v21, s27, v19
	v_cndmask_b32_e32 v19, v19, v21, vcc
	v_add_u32_e32 v21, 1, v18
	v_cmp_le_u32_e32 vcc, s27, v19
	s_nop 1
	v_cndmask_b32_e32 v21, v18, v21, vcc
	v_mul_lo_u32 v18, v20, s26
	v_sub_u32_e32 v22, v17, v18
	v_mad_u64_u32 v[18:19], s[0:1], s28, v17, v[16:17]
	v_mul_lo_u32 v18, v18, s10
	v_mul_lo_u32 v17, v21, s27
	v_mad_u64_u32 v[18:19], s[0:1], v21, s7, v[18:19]
	v_sub_u32_e32 v17, v20, v17
	v_mul_lo_u32 v19, v22, s9
	v_mul_lo_u32 v17, v17, s8
	v_add3_u32 v17, v18, v19, v17
	s_cselect_b64 vcc, -1, 0
	s_cmp_eq_u32 s20, 1
	v_cndmask_b32_e32 v18, v0, v17, vcc
	s_cselect_b64 vcc, -1, 0
	v_mul_hi_u32 v0, v10, v15
	v_cndmask_b32_e32 v19, v1, v17, vcc
	v_mul_lo_u32 v1, s25, v0
	v_sub_u32_e32 v1, v13, v1
	v_add_u32_e32 v20, 1, v16
	v_not_b32_e32 v0, v0
	v_mul_hi_u32 v20, v20, v10
	v_add_u32_e32 v1, s20, v1
	v_mul_lo_u32 v0, s25, v0
	v_add_u32_e32 v21, 1, v20
	v_cmp_le_u32_e32 vcc, s25, v1
	v_add3_u32 v0, v13, v0, s20
	s_cmp_eq_u32 s20, 2
	v_cndmask_b32_e32 v20, v20, v21, vcc
	v_cndmask_b32_e32 v0, v1, v0, vcc
	v_add_u32_e32 v1, 1, v20
	v_cmp_le_u32_e32 vcc, s25, v0
	v_add_u32_e32 v15, 2, v15
	s_nop 0
	v_cndmask_b32_e32 v20, v20, v1, vcc
	v_mad_u64_u32 v[0:1], s[0:1], s28, v20, v[16:17]
	v_mul_hi_u32 v1, v20, v11
	v_mul_lo_u32 v16, v1, s26
	v_sub_u32_e32 v16, v20, v16
	v_add_u32_e32 v21, 1, v1
	v_cmp_le_u32_e32 vcc, s26, v16
	v_mul_lo_u32 v0, s10, v0
	s_nop 0
	v_cndmask_b32_e32 v1, v1, v21, vcc
	v_subrev_u32_e32 v21, s26, v16
	v_cndmask_b32_e32 v16, v16, v21, vcc
	v_add_u32_e32 v21, 1, v1
	v_cmp_le_u32_e32 vcc, s26, v16
	s_nop 1
	v_cndmask_b32_e32 v1, v1, v21, vcc
	v_mul_lo_u32 v16, v1, s26
	v_sub_u32_e32 v16, v20, v16
	v_mul_hi_u32 v20, v1, v12
	v_mul_lo_u32 v21, v20, s27
	v_sub_u32_e32 v21, v1, v21
	v_add_u32_e32 v22, 1, v20
	v_cmp_le_u32_e32 vcc, s27, v21
	v_mul_lo_u32 v16, v16, s9
	s_nop 0
	v_cndmask_b32_e32 v20, v20, v22, vcc
	v_subrev_u32_e32 v22, s27, v21
	v_cndmask_b32_e32 v21, v21, v22, vcc
	v_add_u32_e32 v22, 1, v20
	v_cmp_le_u32_e32 vcc, s27, v21
	s_nop 1
	v_cndmask_b32_e32 v20, v20, v22, vcc
	v_mul_lo_u32 v21, v20, s27
	v_sub_u32_e32 v1, v1, v21
	v_mul_lo_u32 v20, v20, s7
	v_add3_u32 v0, v0, s10, v20
	v_mul_lo_u32 v1, v1, s8
	s_cselect_b64 vcc, -1, 0
	s_cmp_eq_u32 s20, 3
	v_add3_u32 v0, v0, v16, v1
	v_cndmask_b32_e32 v1, v2, v17, vcc
	s_cselect_b64 vcc, -1, 0
	s_cmp_eq_u32 s20, 4
	v_cndmask_b32_e32 v2, v3, v17, vcc
	s_cselect_b64 vcc, -1, 0
	s_cmp_eq_u32 s20, 5
	;; [unrolled: 3-line block ×4, first 2 shown]
	v_cndmask_b32_e32 v5, v6, v17, vcc
	s_cselect_b64 vcc, -1, 0
	s_add_i32 s0, s20, 1
	s_cmp_eq_u32 s0, 7
	v_cndmask_b32_e32 v6, v7, v17, vcc
	s_cselect_b64 vcc, -1, 0
	s_cmp_eq_u32 s0, 6
	v_cndmask_b32_e32 v7, v6, v0, vcc
	s_cselect_b64 vcc, -1, 0
	;; [unrolled: 3-line block ×7, first 2 shown]
	s_cmp_eq_u32 s0, 0
	s_cselect_b64 s[0:1], -1, 0
	s_add_u32 s20, s20, 2
	s_addc_u32 s21, s21, 0
	s_cmp_eq_u32 s20, 8
	v_cndmask_b32_e32 v1, v19, v0, vcc
	v_cndmask_b32_e64 v0, v18, v0, s[0:1]
	s_cbranch_scc0 .LBB17_4
; %bb.5:                                ;   in Loop: Header=BB17_3 Depth=1
	global_load_dwordx2 v[14:15], v8, s[12:13]
	v_add_u32_e32 v16, s23, v0
	v_lshl_add_u64 v[8:9], v[8:9], 0, s[18:19]
	v_add_u32_e32 v13, s18, v13
	s_waitcnt vmcnt(0)
	global_store_byte v16, v14, s[2:3]
	v_add_u32_e32 v16, s23, v1
	v_lshrrev_b32_e32 v17, 8, v14
	global_store_byte v16, v17, s[2:3]
	v_add_u32_e32 v16, s23, v2
	global_store_byte_d16_hi v16, v14, s[2:3]
	v_add_u32_e32 v16, s23, v3
	v_lshrrev_b32_e32 v14, 24, v14
	global_store_byte v16, v14, s[2:3]
	v_add_u32_e32 v14, s23, v4
	global_store_byte v14, v15, s[2:3]
	v_add_u32_e32 v14, s23, v5
	v_lshrrev_b32_e32 v16, 8, v15
	global_store_byte v14, v16, s[2:3]
	v_add_u32_e32 v14, s23, v6
	global_store_byte_d16_hi v14, v15, s[2:3]
	v_lshrrev_b32_e32 v14, 24, v15
	v_add_u32_e32 v15, s23, v7
	global_store_byte v15, v14, s[2:3]
	v_add_u32_e32 v14, 8, v8
	v_cmp_lt_u32_e32 vcc, s22, v14
	s_or_b64 s[14:15], vcc, s[14:15]
	s_andn2_b64 exec, exec, s[14:15]
	s_cbranch_execnz .LBB17_3
; %bb.6:
	s_or_b64 exec, exec, s[14:15]
.LBB17_7:
	s_or_b64 exec, exec, s[16:17]
	v_cmp_gt_u32_e32 vcc, s22, v8
	s_and_b64 exec, exec, vcc
	s_cbranch_execz .LBB17_10
; %bb.8:
	s_cmp_eq_u32 s11, 3
	s_cselect_b32 s6, s24, s6
	v_cvt_f32_u32_e32 v0, s6
	s_cmp_eq_u32 s11, 2
	s_cselect_b32 s5, s24, s5
	v_cvt_f32_u32_e32 v1, s5
	v_rcp_iflag_f32_e32 v0, v0
	s_cmp_eq_u32 s11, 1
	s_cselect_b32 s4, s24, s4
	v_cvt_f32_u32_e32 v2, s4
	v_mul_f32_e32 v0, 0x4f7ffffe, v0
	v_cvt_u32_f32_e32 v0, v0
	v_rcp_iflag_f32_e32 v1, v1
	s_sub_i32 s11, 0, s6
	v_rcp_iflag_f32_e32 v2, v2
	v_mul_lo_u32 v3, s11, v0
	v_mul_f32_e32 v1, 0x4f7ffffe, v1
	v_mul_hi_u32 v3, v0, v3
	v_add_u32_e32 v0, v0, v3
	v_cvt_u32_f32_e32 v3, v1
	v_mul_f32_e32 v2, 0x4f7ffffe, v2
	v_cvt_u32_f32_e32 v2, v2
	s_sub_i32 s0, 0, s5
	v_mul_lo_u32 v4, s0, v3
	v_mul_hi_u32 v4, v3, v4
	s_sub_i32 s0, 0, s4
	v_add_u32_e32 v4, v3, v4
	v_mul_lo_u32 v3, s0, v2
	v_mul_hi_u32 v3, v2, v3
	v_mov_b32_e32 v1, 0
	v_add_u32_e32 v5, v2, v3
	v_mad_u64_u32 v[2:3], s[0:1], v8, v0, 0
	v_mov_b32_e32 v9, v1
	s_mov_b64 s[0:1], 0
.LBB17_9:                               ; =>This Inner Loop Header: Depth=1
	v_lshl_add_u64 v[6:7], s[12:13], 0, v[8:9]
	global_load_ubyte v10, v[6:7], off
	v_mul_lo_u32 v6, s6, v3
	v_not_b32_e32 v7, v3
	v_sub_u32_e32 v12, v8, v6
	v_add_u32_e32 v11, 1, v3
	v_mad_u64_u32 v[6:7], s[14:15], s6, v7, v[8:9]
	v_cmp_le_u32_e32 vcc, s6, v12
	s_nop 1
	v_cndmask_b32_e32 v7, v3, v11, vcc
	v_cndmask_b32_e32 v6, v12, v6, vcc
	v_add_u32_e32 v11, 1, v7
	v_cmp_le_u32_e32 vcc, s6, v6
	v_lshl_add_u64 v[2:3], v[2:3], 0, v[0:1]
	s_nop 0
	v_cndmask_b32_e32 v11, v7, v11, vcc
	v_mul_hi_u32 v12, v11, v4
	v_mad_u64_u32 v[6:7], s[14:15], s11, v11, v[8:9]
	v_lshl_add_u64 v[8:9], v[8:9], 0, 1
	v_mul_lo_u32 v7, v12, s5
	v_cmp_le_u32_e32 vcc, s22, v8
	v_sub_u32_e32 v7, v11, v7
	v_add_u32_e32 v13, 1, v12
	s_or_b64 s[0:1], vcc, s[0:1]
	v_cmp_le_u32_e32 vcc, s5, v7
	v_mul_lo_u32 v6, v6, s10
	s_nop 0
	v_cndmask_b32_e32 v12, v12, v13, vcc
	v_subrev_u32_e32 v13, s5, v7
	v_cndmask_b32_e32 v7, v7, v13, vcc
	v_add_u32_e32 v13, 1, v12
	v_cmp_le_u32_e32 vcc, s5, v7
	s_nop 1
	v_cndmask_b32_e32 v7, v12, v13, vcc
	v_mul_hi_u32 v12, v7, v5
	v_mul_lo_u32 v13, v7, s5
	v_mul_lo_u32 v14, v12, s4
	v_sub_u32_e32 v11, v11, v13
	v_sub_u32_e32 v13, v7, v14
	v_add_u32_e32 v15, 1, v12
	v_cmp_le_u32_e32 vcc, s4, v13
	v_subrev_u32_e32 v14, s4, v13
	v_mul_lo_u32 v11, v11, s9
	v_cndmask_b32_e32 v12, v12, v15, vcc
	v_cndmask_b32_e32 v13, v13, v14, vcc
	v_add_u32_e32 v14, 1, v12
	v_cmp_le_u32_e32 vcc, s4, v13
	s_nop 1
	v_cndmask_b32_e32 v12, v12, v14, vcc
	v_mul_lo_u32 v13, v12, s4
	v_mul_lo_u32 v12, v12, s7
	v_sub_u32_e32 v7, v7, v13
	v_add3_u32 v6, v12, v6, v11
	v_mul_lo_u32 v7, v7, s8
	v_add3_u32 v6, v6, v7, s23
	s_waitcnt vmcnt(0)
	global_store_byte v6, v10, s[2:3]
	s_andn2_b64 exec, exec, s[0:1]
	s_cbranch_execnz .LBB17_9
.LBB17_10:
	s_endpgm
	.section	.rodata,"a",@progbits
	.p2align	6, 0x0
	.amdhsa_kernel _ZN2at6native12_GLOBAL__N_135CatArrayBatchedCopy_alignedK_contigINS1_10OpaqueTypeILj1EEEjLi4ELi128ELi1ELi8EEEvPT_NS1_25CatArrInputTensorMetadataIS5_T0_XT2_EXT3_EEENS1_16TensorSizeStrideIS8_Lj4EEEiS8_
		.amdhsa_group_segment_fixed_size 0
		.amdhsa_private_segment_fixed_size 0
		.amdhsa_kernarg_size 3024
		.amdhsa_user_sgpr_count 2
		.amdhsa_user_sgpr_dispatch_ptr 0
		.amdhsa_user_sgpr_queue_ptr 0
		.amdhsa_user_sgpr_kernarg_segment_ptr 1
		.amdhsa_user_sgpr_dispatch_id 0
		.amdhsa_user_sgpr_kernarg_preload_length 0
		.amdhsa_user_sgpr_kernarg_preload_offset 0
		.amdhsa_user_sgpr_private_segment_size 0
		.amdhsa_uses_dynamic_stack 0
		.amdhsa_enable_private_segment 0
		.amdhsa_system_sgpr_workgroup_id_x 1
		.amdhsa_system_sgpr_workgroup_id_y 1
		.amdhsa_system_sgpr_workgroup_id_z 0
		.amdhsa_system_sgpr_workgroup_info 0
		.amdhsa_system_vgpr_workitem_id 0
		.amdhsa_next_free_vgpr 23
		.amdhsa_next_free_sgpr 29
		.amdhsa_accum_offset 24
		.amdhsa_reserve_vcc 1
		.amdhsa_float_round_mode_32 0
		.amdhsa_float_round_mode_16_64 0
		.amdhsa_float_denorm_mode_32 3
		.amdhsa_float_denorm_mode_16_64 3
		.amdhsa_dx10_clamp 1
		.amdhsa_ieee_mode 1
		.amdhsa_fp16_overflow 0
		.amdhsa_tg_split 0
		.amdhsa_exception_fp_ieee_invalid_op 0
		.amdhsa_exception_fp_denorm_src 0
		.amdhsa_exception_fp_ieee_div_zero 0
		.amdhsa_exception_fp_ieee_overflow 0
		.amdhsa_exception_fp_ieee_underflow 0
		.amdhsa_exception_fp_ieee_inexact 0
		.amdhsa_exception_int_div_zero 0
	.end_amdhsa_kernel
	.section	.text._ZN2at6native12_GLOBAL__N_135CatArrayBatchedCopy_alignedK_contigINS1_10OpaqueTypeILj1EEEjLi4ELi128ELi1ELi8EEEvPT_NS1_25CatArrInputTensorMetadataIS5_T0_XT2_EXT3_EEENS1_16TensorSizeStrideIS8_Lj4EEEiS8_,"axG",@progbits,_ZN2at6native12_GLOBAL__N_135CatArrayBatchedCopy_alignedK_contigINS1_10OpaqueTypeILj1EEEjLi4ELi128ELi1ELi8EEEvPT_NS1_25CatArrInputTensorMetadataIS5_T0_XT2_EXT3_EEENS1_16TensorSizeStrideIS8_Lj4EEEiS8_,comdat
.Lfunc_end17:
	.size	_ZN2at6native12_GLOBAL__N_135CatArrayBatchedCopy_alignedK_contigINS1_10OpaqueTypeILj1EEEjLi4ELi128ELi1ELi8EEEvPT_NS1_25CatArrInputTensorMetadataIS5_T0_XT2_EXT3_EEENS1_16TensorSizeStrideIS8_Lj4EEEiS8_, .Lfunc_end17-_ZN2at6native12_GLOBAL__N_135CatArrayBatchedCopy_alignedK_contigINS1_10OpaqueTypeILj1EEEjLi4ELi128ELi1ELi8EEEvPT_NS1_25CatArrInputTensorMetadataIS5_T0_XT2_EXT3_EEENS1_16TensorSizeStrideIS8_Lj4EEEiS8_
                                        ; -- End function
	.set _ZN2at6native12_GLOBAL__N_135CatArrayBatchedCopy_alignedK_contigINS1_10OpaqueTypeILj1EEEjLi4ELi128ELi1ELi8EEEvPT_NS1_25CatArrInputTensorMetadataIS5_T0_XT2_EXT3_EEENS1_16TensorSizeStrideIS8_Lj4EEEiS8_.num_vgpr, 23
	.set _ZN2at6native12_GLOBAL__N_135CatArrayBatchedCopy_alignedK_contigINS1_10OpaqueTypeILj1EEEjLi4ELi128ELi1ELi8EEEvPT_NS1_25CatArrInputTensorMetadataIS5_T0_XT2_EXT3_EEENS1_16TensorSizeStrideIS8_Lj4EEEiS8_.num_agpr, 0
	.set _ZN2at6native12_GLOBAL__N_135CatArrayBatchedCopy_alignedK_contigINS1_10OpaqueTypeILj1EEEjLi4ELi128ELi1ELi8EEEvPT_NS1_25CatArrInputTensorMetadataIS5_T0_XT2_EXT3_EEENS1_16TensorSizeStrideIS8_Lj4EEEiS8_.numbered_sgpr, 29
	.set _ZN2at6native12_GLOBAL__N_135CatArrayBatchedCopy_alignedK_contigINS1_10OpaqueTypeILj1EEEjLi4ELi128ELi1ELi8EEEvPT_NS1_25CatArrInputTensorMetadataIS5_T0_XT2_EXT3_EEENS1_16TensorSizeStrideIS8_Lj4EEEiS8_.num_named_barrier, 0
	.set _ZN2at6native12_GLOBAL__N_135CatArrayBatchedCopy_alignedK_contigINS1_10OpaqueTypeILj1EEEjLi4ELi128ELi1ELi8EEEvPT_NS1_25CatArrInputTensorMetadataIS5_T0_XT2_EXT3_EEENS1_16TensorSizeStrideIS8_Lj4EEEiS8_.private_seg_size, 0
	.set _ZN2at6native12_GLOBAL__N_135CatArrayBatchedCopy_alignedK_contigINS1_10OpaqueTypeILj1EEEjLi4ELi128ELi1ELi8EEEvPT_NS1_25CatArrInputTensorMetadataIS5_T0_XT2_EXT3_EEENS1_16TensorSizeStrideIS8_Lj4EEEiS8_.uses_vcc, 1
	.set _ZN2at6native12_GLOBAL__N_135CatArrayBatchedCopy_alignedK_contigINS1_10OpaqueTypeILj1EEEjLi4ELi128ELi1ELi8EEEvPT_NS1_25CatArrInputTensorMetadataIS5_T0_XT2_EXT3_EEENS1_16TensorSizeStrideIS8_Lj4EEEiS8_.uses_flat_scratch, 0
	.set _ZN2at6native12_GLOBAL__N_135CatArrayBatchedCopy_alignedK_contigINS1_10OpaqueTypeILj1EEEjLi4ELi128ELi1ELi8EEEvPT_NS1_25CatArrInputTensorMetadataIS5_T0_XT2_EXT3_EEENS1_16TensorSizeStrideIS8_Lj4EEEiS8_.has_dyn_sized_stack, 0
	.set _ZN2at6native12_GLOBAL__N_135CatArrayBatchedCopy_alignedK_contigINS1_10OpaqueTypeILj1EEEjLi4ELi128ELi1ELi8EEEvPT_NS1_25CatArrInputTensorMetadataIS5_T0_XT2_EXT3_EEENS1_16TensorSizeStrideIS8_Lj4EEEiS8_.has_recursion, 0
	.set _ZN2at6native12_GLOBAL__N_135CatArrayBatchedCopy_alignedK_contigINS1_10OpaqueTypeILj1EEEjLi4ELi128ELi1ELi8EEEvPT_NS1_25CatArrInputTensorMetadataIS5_T0_XT2_EXT3_EEENS1_16TensorSizeStrideIS8_Lj4EEEiS8_.has_indirect_call, 0
	.section	.AMDGPU.csdata,"",@progbits
; Kernel info:
; codeLenInByte = 1876
; TotalNumSgprs: 35
; NumVgprs: 23
; NumAgprs: 0
; TotalNumVgprs: 23
; ScratchSize: 0
; MemoryBound: 0
; FloatMode: 240
; IeeeMode: 1
; LDSByteSize: 0 bytes/workgroup (compile time only)
; SGPRBlocks: 4
; VGPRBlocks: 2
; NumSGPRsForWavesPerEU: 35
; NumVGPRsForWavesPerEU: 23
; AccumOffset: 24
; Occupancy: 8
; WaveLimiterHint : 1
; COMPUTE_PGM_RSRC2:SCRATCH_EN: 0
; COMPUTE_PGM_RSRC2:USER_SGPR: 2
; COMPUTE_PGM_RSRC2:TRAP_HANDLER: 0
; COMPUTE_PGM_RSRC2:TGID_X_EN: 1
; COMPUTE_PGM_RSRC2:TGID_Y_EN: 1
; COMPUTE_PGM_RSRC2:TGID_Z_EN: 0
; COMPUTE_PGM_RSRC2:TIDIG_COMP_CNT: 0
; COMPUTE_PGM_RSRC3_GFX90A:ACCUM_OFFSET: 5
; COMPUTE_PGM_RSRC3_GFX90A:TG_SPLIT: 0
	.section	.text._ZN2at6native12_GLOBAL__N_126CatArrayBatchedCopy_contigINS1_10OpaqueTypeILj1EEEjLi4ELi128ELi1EEEvPT_NS1_25CatArrInputTensorMetadataIS5_T0_XT2_EXT3_EEENS1_16TensorSizeStrideIS8_Lj4EEEiS8_,"axG",@progbits,_ZN2at6native12_GLOBAL__N_126CatArrayBatchedCopy_contigINS1_10OpaqueTypeILj1EEEjLi4ELi128ELi1EEEvPT_NS1_25CatArrInputTensorMetadataIS5_T0_XT2_EXT3_EEENS1_16TensorSizeStrideIS8_Lj4EEEiS8_,comdat
	.globl	_ZN2at6native12_GLOBAL__N_126CatArrayBatchedCopy_contigINS1_10OpaqueTypeILj1EEEjLi4ELi128ELi1EEEvPT_NS1_25CatArrInputTensorMetadataIS5_T0_XT2_EXT3_EEENS1_16TensorSizeStrideIS8_Lj4EEEiS8_ ; -- Begin function _ZN2at6native12_GLOBAL__N_126CatArrayBatchedCopy_contigINS1_10OpaqueTypeILj1EEEjLi4ELi128ELi1EEEvPT_NS1_25CatArrInputTensorMetadataIS5_T0_XT2_EXT3_EEENS1_16TensorSizeStrideIS8_Lj4EEEiS8_
	.p2align	8
	.type	_ZN2at6native12_GLOBAL__N_126CatArrayBatchedCopy_contigINS1_10OpaqueTypeILj1EEEjLi4ELi128ELi1EEEvPT_NS1_25CatArrInputTensorMetadataIS5_T0_XT2_EXT3_EEENS1_16TensorSizeStrideIS8_Lj4EEEiS8_,@function
_ZN2at6native12_GLOBAL__N_126CatArrayBatchedCopy_contigINS1_10OpaqueTypeILj1EEEjLi4ELi128ELi1EEEvPT_NS1_25CatArrInputTensorMetadataIS5_T0_XT2_EXT3_EEENS1_16TensorSizeStrideIS8_Lj4EEEiS8_: ; @_ZN2at6native12_GLOBAL__N_126CatArrayBatchedCopy_contigINS1_10OpaqueTypeILj1EEEjLi4ELi128ELi1EEEvPT_NS1_25CatArrInputTensorMetadataIS5_T0_XT2_EXT3_EEENS1_16TensorSizeStrideIS8_Lj4EEEiS8_
; %bb.0:
	s_mov_b32 s4, s3
	s_load_dword s3, s[0:1], 0xadc
	s_add_u32 s16, s0, 0xad0
	s_mov_b32 s5, 0
	s_addc_u32 s17, s1, 0
	s_lshl_b64 s[14:15], s[4:5], 2
	s_waitcnt lgkmcnt(0)
	s_and_b32 s19, s3, 0xffff
	s_add_u32 s4, s0, s14
	s_addc_u32 s5, s1, s15
	s_load_dword s18, s[4:5], 0x808
	s_mul_i32 s2, s2, s19
	v_add_u32_e32 v0, s2, v0
	s_add_u32 s20, s4, 8
	s_addc_u32 s21, s5, 0
	s_waitcnt lgkmcnt(0)
	v_cmp_gt_u32_e32 vcc, s18, v0
	s_and_saveexec_b64 s[2:3], vcc
	s_cbranch_execz .LBB18_3
; %bb.1:
	s_add_u32 s20, s20, s14
	s_load_dwordx2 s[2:3], s[0:1], 0xabc
	s_load_dwordx4 s[4:7], s[0:1], 0xab8
	s_load_dwordx2 s[12:13], s[0:1], 0x0
	s_load_dwordx4 s[8:11], s[0:1], 0xaac
	s_addc_u32 s21, s21, s15
	s_waitcnt lgkmcnt(0)
	s_sub_u32 s5, 0, s14
	s_subb_u32 s6, 0, s15
	s_add_u32 s22, s20, s5
	s_addc_u32 s23, s21, s6
	s_load_dwordx2 s[24:25], s[0:1], 0xac8
	s_load_dwordx2 s[14:15], s[20:21], 0x0
	s_load_dword s11, s[22:23], 0x600
	s_load_dword s26, s[22:23], 0x400
	s_mov_b32 s5, s7
	s_waitcnt lgkmcnt(0)
	s_cmp_eq_u32 s24, 3
	s_load_dword s16, s[16:17], 0x0
	s_cselect_b32 s6, s11, s10
	v_cvt_f32_u32_e32 v1, s6
	s_cmp_eq_u32 s24, 2
	s_cselect_b32 s9, s11, s9
	s_cmp_eq_u32 s24, 1
	v_cvt_f32_u32_e32 v2, s9
	s_cselect_b32 s8, s11, s8
	v_rcp_iflag_f32_e32 v1, v1
	v_cvt_f32_u32_e32 v4, s8
	v_rcp_iflag_f32_e32 v2, v2
	s_sub_i32 s11, 0, s6
	v_mul_f32_e32 v1, 0x4f7ffffe, v1
	v_rcp_iflag_f32_e32 v4, v4
	v_cvt_u32_f32_e32 v1, v1
	v_mul_f32_e32 v2, 0x4f7ffffe, v2
	v_cvt_u32_f32_e32 v2, v2
	v_mul_f32_e32 v4, 0x4f7ffffe, v4
	v_mul_lo_u32 v3, s11, v1
	v_cvt_u32_f32_e32 v4, v4
	s_waitcnt lgkmcnt(0)
	s_mul_i32 s10, s16, s19
	v_mul_hi_u32 v3, v1, v3
	s_sub_i32 s16, 0, s9
	v_add_u32_e32 v1, v1, v3
	v_mul_lo_u32 v3, s16, v2
	v_mul_hi_u32 v3, v2, v3
	s_sub_i32 s16, 0, s8
	v_add_u32_e32 v2, v2, v3
	v_mul_lo_u32 v3, s16, v4
	v_mul_hi_u32 v3, v4, v3
	s_mov_b64 s[0:1], 0
	s_mul_i32 s7, s26, s25
	v_add_u32_e32 v3, v4, v3
.LBB18_2:                               ; =>This Inner Loop Header: Depth=1
	global_load_ubyte v6, v0, s[14:15]
	v_mul_hi_u32 v7, v1, v0
	v_mul_lo_u32 v4, s6, v7
	v_not_b32_e32 v5, v7
	v_sub_u32_e32 v9, v0, v4
	v_add_u32_e32 v8, 1, v7
	v_mad_u64_u32 v[4:5], s[16:17], s6, v5, v[0:1]
	v_cmp_le_u32_e32 vcc, s6, v9
	s_nop 1
	v_cndmask_b32_e32 v5, v7, v8, vcc
	v_cndmask_b32_e32 v4, v9, v4, vcc
	v_add_u32_e32 v7, 1, v5
	v_cmp_le_u32_e32 vcc, s6, v4
	s_nop 1
	v_cndmask_b32_e32 v7, v5, v7, vcc
	v_mul_hi_u32 v8, v7, v2
	v_mad_u64_u32 v[4:5], s[16:17], s11, v7, v[0:1]
	v_add_u32_e32 v0, s10, v0
	v_mul_lo_u32 v5, v8, s9
	v_cmp_le_u32_e32 vcc, s18, v0
	v_sub_u32_e32 v5, v7, v5
	v_add_u32_e32 v9, 1, v8
	s_or_b64 s[0:1], vcc, s[0:1]
	v_cmp_le_u32_e32 vcc, s9, v5
	v_mul_lo_u32 v4, v4, s5
	s_nop 0
	v_cndmask_b32_e32 v8, v8, v9, vcc
	v_subrev_u32_e32 v9, s9, v5
	v_cndmask_b32_e32 v5, v5, v9, vcc
	v_add_u32_e32 v9, 1, v8
	v_cmp_le_u32_e32 vcc, s9, v5
	s_nop 1
	v_cndmask_b32_e32 v5, v8, v9, vcc
	v_mul_hi_u32 v8, v5, v3
	v_mul_lo_u32 v9, v5, s9
	v_mul_lo_u32 v10, v8, s8
	v_sub_u32_e32 v7, v7, v9
	v_sub_u32_e32 v9, v5, v10
	v_add_u32_e32 v11, 1, v8
	v_cmp_le_u32_e32 vcc, s8, v9
	v_subrev_u32_e32 v10, s8, v9
	v_mul_lo_u32 v7, v7, s3
	v_cndmask_b32_e32 v8, v8, v11, vcc
	v_cndmask_b32_e32 v9, v9, v10, vcc
	v_add_u32_e32 v10, 1, v8
	v_cmp_le_u32_e32 vcc, s8, v9
	s_nop 1
	v_cndmask_b32_e32 v8, v8, v10, vcc
	v_mul_lo_u32 v9, v8, s8
	v_mul_lo_u32 v8, v8, s4
	v_sub_u32_e32 v5, v5, v9
	v_add3_u32 v4, v4, s7, v8
	v_mul_lo_u32 v5, v5, s2
	v_add3_u32 v4, v4, v7, v5
	s_waitcnt vmcnt(0)
	global_store_byte v4, v6, s[12:13]
	s_andn2_b64 exec, exec, s[0:1]
	s_cbranch_execnz .LBB18_2
.LBB18_3:
	s_endpgm
	.section	.rodata,"a",@progbits
	.p2align	6, 0x0
	.amdhsa_kernel _ZN2at6native12_GLOBAL__N_126CatArrayBatchedCopy_contigINS1_10OpaqueTypeILj1EEEjLi4ELi128ELi1EEEvPT_NS1_25CatArrInputTensorMetadataIS5_T0_XT2_EXT3_EEENS1_16TensorSizeStrideIS8_Lj4EEEiS8_
		.amdhsa_group_segment_fixed_size 0
		.amdhsa_private_segment_fixed_size 0
		.amdhsa_kernarg_size 3024
		.amdhsa_user_sgpr_count 2
		.amdhsa_user_sgpr_dispatch_ptr 0
		.amdhsa_user_sgpr_queue_ptr 0
		.amdhsa_user_sgpr_kernarg_segment_ptr 1
		.amdhsa_user_sgpr_dispatch_id 0
		.amdhsa_user_sgpr_kernarg_preload_length 0
		.amdhsa_user_sgpr_kernarg_preload_offset 0
		.amdhsa_user_sgpr_private_segment_size 0
		.amdhsa_uses_dynamic_stack 0
		.amdhsa_enable_private_segment 0
		.amdhsa_system_sgpr_workgroup_id_x 1
		.amdhsa_system_sgpr_workgroup_id_y 1
		.amdhsa_system_sgpr_workgroup_id_z 0
		.amdhsa_system_sgpr_workgroup_info 0
		.amdhsa_system_vgpr_workitem_id 0
		.amdhsa_next_free_vgpr 12
		.amdhsa_next_free_sgpr 27
		.amdhsa_accum_offset 12
		.amdhsa_reserve_vcc 1
		.amdhsa_float_round_mode_32 0
		.amdhsa_float_round_mode_16_64 0
		.amdhsa_float_denorm_mode_32 3
		.amdhsa_float_denorm_mode_16_64 3
		.amdhsa_dx10_clamp 1
		.amdhsa_ieee_mode 1
		.amdhsa_fp16_overflow 0
		.amdhsa_tg_split 0
		.amdhsa_exception_fp_ieee_invalid_op 0
		.amdhsa_exception_fp_denorm_src 0
		.amdhsa_exception_fp_ieee_div_zero 0
		.amdhsa_exception_fp_ieee_overflow 0
		.amdhsa_exception_fp_ieee_underflow 0
		.amdhsa_exception_fp_ieee_inexact 0
		.amdhsa_exception_int_div_zero 0
	.end_amdhsa_kernel
	.section	.text._ZN2at6native12_GLOBAL__N_126CatArrayBatchedCopy_contigINS1_10OpaqueTypeILj1EEEjLi4ELi128ELi1EEEvPT_NS1_25CatArrInputTensorMetadataIS5_T0_XT2_EXT3_EEENS1_16TensorSizeStrideIS8_Lj4EEEiS8_,"axG",@progbits,_ZN2at6native12_GLOBAL__N_126CatArrayBatchedCopy_contigINS1_10OpaqueTypeILj1EEEjLi4ELi128ELi1EEEvPT_NS1_25CatArrInputTensorMetadataIS5_T0_XT2_EXT3_EEENS1_16TensorSizeStrideIS8_Lj4EEEiS8_,comdat
.Lfunc_end18:
	.size	_ZN2at6native12_GLOBAL__N_126CatArrayBatchedCopy_contigINS1_10OpaqueTypeILj1EEEjLi4ELi128ELi1EEEvPT_NS1_25CatArrInputTensorMetadataIS5_T0_XT2_EXT3_EEENS1_16TensorSizeStrideIS8_Lj4EEEiS8_, .Lfunc_end18-_ZN2at6native12_GLOBAL__N_126CatArrayBatchedCopy_contigINS1_10OpaqueTypeILj1EEEjLi4ELi128ELi1EEEvPT_NS1_25CatArrInputTensorMetadataIS5_T0_XT2_EXT3_EEENS1_16TensorSizeStrideIS8_Lj4EEEiS8_
                                        ; -- End function
	.set _ZN2at6native12_GLOBAL__N_126CatArrayBatchedCopy_contigINS1_10OpaqueTypeILj1EEEjLi4ELi128ELi1EEEvPT_NS1_25CatArrInputTensorMetadataIS5_T0_XT2_EXT3_EEENS1_16TensorSizeStrideIS8_Lj4EEEiS8_.num_vgpr, 12
	.set _ZN2at6native12_GLOBAL__N_126CatArrayBatchedCopy_contigINS1_10OpaqueTypeILj1EEEjLi4ELi128ELi1EEEvPT_NS1_25CatArrInputTensorMetadataIS5_T0_XT2_EXT3_EEENS1_16TensorSizeStrideIS8_Lj4EEEiS8_.num_agpr, 0
	.set _ZN2at6native12_GLOBAL__N_126CatArrayBatchedCopy_contigINS1_10OpaqueTypeILj1EEEjLi4ELi128ELi1EEEvPT_NS1_25CatArrInputTensorMetadataIS5_T0_XT2_EXT3_EEENS1_16TensorSizeStrideIS8_Lj4EEEiS8_.numbered_sgpr, 27
	.set _ZN2at6native12_GLOBAL__N_126CatArrayBatchedCopy_contigINS1_10OpaqueTypeILj1EEEjLi4ELi128ELi1EEEvPT_NS1_25CatArrInputTensorMetadataIS5_T0_XT2_EXT3_EEENS1_16TensorSizeStrideIS8_Lj4EEEiS8_.num_named_barrier, 0
	.set _ZN2at6native12_GLOBAL__N_126CatArrayBatchedCopy_contigINS1_10OpaqueTypeILj1EEEjLi4ELi128ELi1EEEvPT_NS1_25CatArrInputTensorMetadataIS5_T0_XT2_EXT3_EEENS1_16TensorSizeStrideIS8_Lj4EEEiS8_.private_seg_size, 0
	.set _ZN2at6native12_GLOBAL__N_126CatArrayBatchedCopy_contigINS1_10OpaqueTypeILj1EEEjLi4ELi128ELi1EEEvPT_NS1_25CatArrInputTensorMetadataIS5_T0_XT2_EXT3_EEENS1_16TensorSizeStrideIS8_Lj4EEEiS8_.uses_vcc, 1
	.set _ZN2at6native12_GLOBAL__N_126CatArrayBatchedCopy_contigINS1_10OpaqueTypeILj1EEEjLi4ELi128ELi1EEEvPT_NS1_25CatArrInputTensorMetadataIS5_T0_XT2_EXT3_EEENS1_16TensorSizeStrideIS8_Lj4EEEiS8_.uses_flat_scratch, 0
	.set _ZN2at6native12_GLOBAL__N_126CatArrayBatchedCopy_contigINS1_10OpaqueTypeILj1EEEjLi4ELi128ELi1EEEvPT_NS1_25CatArrInputTensorMetadataIS5_T0_XT2_EXT3_EEENS1_16TensorSizeStrideIS8_Lj4EEEiS8_.has_dyn_sized_stack, 0
	.set _ZN2at6native12_GLOBAL__N_126CatArrayBatchedCopy_contigINS1_10OpaqueTypeILj1EEEjLi4ELi128ELi1EEEvPT_NS1_25CatArrInputTensorMetadataIS5_T0_XT2_EXT3_EEENS1_16TensorSizeStrideIS8_Lj4EEEiS8_.has_recursion, 0
	.set _ZN2at6native12_GLOBAL__N_126CatArrayBatchedCopy_contigINS1_10OpaqueTypeILj1EEEjLi4ELi128ELi1EEEvPT_NS1_25CatArrInputTensorMetadataIS5_T0_XT2_EXT3_EEENS1_16TensorSizeStrideIS8_Lj4EEEiS8_.has_indirect_call, 0
	.section	.AMDGPU.csdata,"",@progbits
; Kernel info:
; codeLenInByte = 680
; TotalNumSgprs: 33
; NumVgprs: 12
; NumAgprs: 0
; TotalNumVgprs: 12
; ScratchSize: 0
; MemoryBound: 0
; FloatMode: 240
; IeeeMode: 1
; LDSByteSize: 0 bytes/workgroup (compile time only)
; SGPRBlocks: 4
; VGPRBlocks: 1
; NumSGPRsForWavesPerEU: 33
; NumVGPRsForWavesPerEU: 12
; AccumOffset: 12
; Occupancy: 8
; WaveLimiterHint : 1
; COMPUTE_PGM_RSRC2:SCRATCH_EN: 0
; COMPUTE_PGM_RSRC2:USER_SGPR: 2
; COMPUTE_PGM_RSRC2:TRAP_HANDLER: 0
; COMPUTE_PGM_RSRC2:TGID_X_EN: 1
; COMPUTE_PGM_RSRC2:TGID_Y_EN: 1
; COMPUTE_PGM_RSRC2:TGID_Z_EN: 0
; COMPUTE_PGM_RSRC2:TIDIG_COMP_CNT: 0
; COMPUTE_PGM_RSRC3_GFX90A:ACCUM_OFFSET: 2
; COMPUTE_PGM_RSRC3_GFX90A:TG_SPLIT: 0
	.section	.text._ZN2at6native12_GLOBAL__N_119CatArrayBatchedCopyINS1_10OpaqueTypeILj1EEEjLi4ELi128ELi1EEEvPT_NS1_25CatArrInputTensorMetadataIS5_T0_XT2_EXT3_EEENS1_16TensorSizeStrideIS8_Lj4EEEiS8_,"axG",@progbits,_ZN2at6native12_GLOBAL__N_119CatArrayBatchedCopyINS1_10OpaqueTypeILj1EEEjLi4ELi128ELi1EEEvPT_NS1_25CatArrInputTensorMetadataIS5_T0_XT2_EXT3_EEENS1_16TensorSizeStrideIS8_Lj4EEEiS8_,comdat
	.globl	_ZN2at6native12_GLOBAL__N_119CatArrayBatchedCopyINS1_10OpaqueTypeILj1EEEjLi4ELi128ELi1EEEvPT_NS1_25CatArrInputTensorMetadataIS5_T0_XT2_EXT3_EEENS1_16TensorSizeStrideIS8_Lj4EEEiS8_ ; -- Begin function _ZN2at6native12_GLOBAL__N_119CatArrayBatchedCopyINS1_10OpaqueTypeILj1EEEjLi4ELi128ELi1EEEvPT_NS1_25CatArrInputTensorMetadataIS5_T0_XT2_EXT3_EEENS1_16TensorSizeStrideIS8_Lj4EEEiS8_
	.p2align	8
	.type	_ZN2at6native12_GLOBAL__N_119CatArrayBatchedCopyINS1_10OpaqueTypeILj1EEEjLi4ELi128ELi1EEEvPT_NS1_25CatArrInputTensorMetadataIS5_T0_XT2_EXT3_EEENS1_16TensorSizeStrideIS8_Lj4EEEiS8_,@function
_ZN2at6native12_GLOBAL__N_119CatArrayBatchedCopyINS1_10OpaqueTypeILj1EEEjLi4ELi128ELi1EEEvPT_NS1_25CatArrInputTensorMetadataIS5_T0_XT2_EXT3_EEENS1_16TensorSizeStrideIS8_Lj4EEEiS8_: ; @_ZN2at6native12_GLOBAL__N_119CatArrayBatchedCopyINS1_10OpaqueTypeILj1EEEjLi4ELi128ELi1EEEvPT_NS1_25CatArrInputTensorMetadataIS5_T0_XT2_EXT3_EEENS1_16TensorSizeStrideIS8_Lj4EEEiS8_
; %bb.0:
	s_mov_b32 s20, s3
	s_load_dword s3, s[0:1], 0xadc
	s_or_b32 s26, s0, 8
	s_add_u32 s28, s0, 0xad0
	s_mov_b32 s21, 0
	s_addc_u32 s29, s1, 0
	s_waitcnt lgkmcnt(0)
	s_and_b32 s31, s3, 0xffff
	s_lshl_b64 s[22:23], s[20:21], 2
	s_add_u32 s4, s26, s22
	s_addc_u32 s5, s1, s23
	s_load_dword s30, s[4:5], 0x800
	s_mul_i32 s2, s2, s31
	v_add_u32_e32 v0, s2, v0
	s_waitcnt lgkmcnt(0)
	v_cmp_gt_u32_e32 vcc, s30, v0
	s_and_saveexec_b64 s[2:3], vcc
	s_cbranch_execz .LBB19_5
; %bb.1:
	s_add_u32 s34, s26, s20
	s_addc_u32 s35, s1, 0
	v_mov_b32_e32 v1, 0
	global_load_ubyte v2, v1, s[34:35] offset:2560
	s_mov_b32 s27, s1
	s_load_dwordx2 s[24:25], s[0:1], 0xac8
	s_load_dwordx4 s[4:7], s[26:27], 0xa90
	s_load_dwordx2 s[2:3], s[0:1], 0x0
	s_load_dwordx4 s[12:15], s[0:1], 0xa8c
	s_load_dwordx4 s[8:11], s[0:1], 0xab8
	;; [unrolled: 1-line block ×3, first 2 shown]
                                        ; kill: killed $sgpr0 killed $sgpr1
	s_waitcnt lgkmcnt(0)
	s_mul_i32 s19, s20, 7
	s_load_dword s15, s[28:29], 0x0
                                        ; kill: killed $sgpr28 killed $sgpr29
	s_mul_hi_u32 s6, s20, 7
	s_mov_b32 s5, s7
	s_mov_b64 s[20:21], 0
	s_waitcnt lgkmcnt(0)
	s_mul_i32 s15, s15, s31
	s_waitcnt vmcnt(0)
	v_and_b32_e32 v2, 1, v2
	v_cmp_eq_u32_e32 vcc, 1, v2
	s_xor_b64 s[0:1], vcc, -1
	s_add_u32 s28, s34, s19
	s_addc_u32 s29, s35, s6
	s_sub_u32 s6, 0, s22
	s_subb_u32 s7, 0, s23
	s_add_u32 s34, s28, s6
	s_addc_u32 s35, s29, s7
	s_load_dwordx2 s[6:7], s[26:27], 0xa94
	s_load_dwordx2 s[22:23], s[28:29], 0x0
	s_load_dword s19, s[34:35], 0x400
	s_load_dword s33, s[34:35], 0x600
	s_cmp_eq_u32 s24, 3
	v_cndmask_b32_e64 v2, 0, 1, s[0:1]
	s_waitcnt lgkmcnt(0)
	s_mul_i32 s19, s19, s25
	s_cselect_b32 s18, s33, s18
	s_cselect_b32 s14, s33, s14
	s_cmp_eq_u32 s24, 2
	s_cselect_b32 s17, s33, s17
	s_cselect_b32 s13, s33, s13
	s_cmp_eq_u32 s24, 1
	v_cvt_f32_u32_e32 v3, s18
	v_cvt_f32_u32_e32 v4, s14
	s_cselect_b32 s16, s33, s16
	s_cselect_b32 s12, s33, s12
	v_cvt_f32_u32_e32 v5, s17
	v_cvt_f32_u32_e32 v6, s13
	;; [unrolled: 1-line block ×4, first 2 shown]
	v_rcp_iflag_f32_e32 v3, v3
	v_rcp_iflag_f32_e32 v4, v4
	;; [unrolled: 1-line block ×6, first 2 shown]
	v_mul_f32_e32 v3, 0x4f7ffffe, v3
	v_mul_f32_e32 v4, 0x4f7ffffe, v4
	v_cvt_u32_f32_e32 v3, v3
	v_mul_f32_e32 v5, 0x4f7ffffe, v5
	v_cvt_u32_f32_e32 v9, v4
	;; [unrolled: 2-line block ×5, first 2 shown]
	v_cvt_u32_f32_e32 v10, v4
	s_sub_i32 s24, 0, s18
	s_sub_i32 s25, 0, s14
	s_sub_i32 s0, 0, s17
	s_sub_i32 s1, 0, s13
	v_mul_lo_u32 v4, s24, v3
	v_mul_lo_u32 v5, s25, v9
	s_sub_i32 s26, 0, s16
	s_sub_i32 s27, 0, s12
	v_mul_hi_u32 v4, v3, v4
	v_mul_lo_u32 v11, s0, v6
	v_mul_hi_u32 v5, v9, v5
	v_mul_lo_u32 v12, s1, v7
	v_add_u32_e32 v4, v3, v4
	v_mul_hi_u32 v3, v6, v11
	v_mul_lo_u32 v11, s26, v8
	v_add_u32_e32 v5, v9, v5
	;; [unrolled: 3-line block ×3, first 2 shown]
	v_mul_hi_u32 v3, v8, v11
	v_add_u32_e32 v7, v7, v9
	v_mul_hi_u32 v9, v10, v12
	v_add_u32_e32 v8, v8, v3
	v_add_u32_e32 v9, v10, v9
	v_cmp_ne_u32_e64 s[0:1], 1, v2
	s_branch .LBB19_3
.LBB19_2:                               ;   in Loop: Header=BB19_3 Depth=1
	v_lshl_add_u64 v[2:3], s[22:23], 0, v[2:3]
	global_load_ubyte v12, v[2:3], off
	v_mul_hi_u32 v10, v4, v0
	v_mad_u64_u32 v[2:3], s[26:27], s24, v10, v[0:1]
	v_not_b32_e32 v11, v10
	v_add_u32_e32 v3, 1, v10
	v_cmp_le_u32_e32 vcc, s18, v2
	s_nop 1
	v_cndmask_b32_e32 v3, v10, v3, vcc
	v_mad_u64_u32 v[10:11], s[26:27], s18, v11, v[0:1]
	v_cndmask_b32_e32 v2, v2, v10, vcc
	v_add_u32_e32 v10, 1, v3
	v_cmp_le_u32_e32 vcc, s18, v2
	s_nop 1
	v_cndmask_b32_e32 v2, v3, v10, vcc
	v_mul_hi_u32 v3, v2, v6
	v_mul_lo_u32 v10, v3, s17
	v_sub_u32_e32 v10, v2, v10
	v_add_u32_e32 v11, 1, v3
	v_cmp_le_u32_e32 vcc, s17, v10
	s_nop 1
	v_cndmask_b32_e32 v3, v3, v11, vcc
	v_subrev_u32_e32 v11, s17, v10
	v_cndmask_b32_e32 v10, v10, v11, vcc
	v_add_u32_e32 v11, 1, v3
	v_cmp_le_u32_e32 vcc, s17, v10
	s_nop 1
	v_cndmask_b32_e32 v10, v3, v11, vcc
	v_mul_lo_u32 v3, v10, s17
	v_sub_u32_e32 v3, v2, v3
	v_mul_lo_u32 v11, v3, s10
	v_mad_u64_u32 v[2:3], s[26:27], s24, v2, v[0:1]
	v_mul_hi_u32 v3, v10, v8
	v_mul_lo_u32 v13, v3, s16
	v_sub_u32_e32 v13, v10, v13
	v_add_u32_e32 v14, 1, v3
	v_cmp_le_u32_e32 vcc, s16, v13
	v_mul_lo_u32 v2, v2, s11
	v_add_u32_e32 v0, s15, v0
	v_cndmask_b32_e32 v3, v3, v14, vcc
	v_subrev_u32_e32 v14, s16, v13
	v_cndmask_b32_e32 v13, v13, v14, vcc
	v_add_u32_e32 v14, 1, v3
	v_cmp_le_u32_e32 vcc, s16, v13
	s_nop 1
	v_cndmask_b32_e32 v3, v3, v14, vcc
	v_mul_lo_u32 v13, v3, s16
	v_sub_u32_e32 v10, v10, v13
	v_mul_lo_u32 v3, v3, s8
	v_mul_lo_u32 v10, v10, s9
	v_add3_u32 v2, v3, v2, v11
	v_cmp_le_u32_e32 vcc, s30, v0
	v_add3_u32 v2, v2, v10, s19
	s_or_b64 s[20:21], vcc, s[20:21]
	s_waitcnt vmcnt(0)
	global_store_byte v2, v12, s[2:3]
	s_andn2_b64 exec, exec, s[20:21]
	s_cbranch_execz .LBB19_5
.LBB19_3:                               ; =>This Inner Loop Header: Depth=1
	s_and_b64 vcc, exec, s[0:1]
	v_mov_b64_e32 v[2:3], v[0:1]
	s_cbranch_vccnz .LBB19_2
; %bb.4:                                ;   in Loop: Header=BB19_3 Depth=1
	v_mul_hi_u32 v10, v5, v0
	v_mad_u64_u32 v[2:3], s[26:27], s25, v10, v[0:1]
	v_not_b32_e32 v11, v10
	v_add_u32_e32 v3, 1, v10
	v_cmp_le_u32_e32 vcc, s14, v2
	s_nop 1
	v_cndmask_b32_e32 v3, v10, v3, vcc
	v_mad_u64_u32 v[10:11], s[26:27], s14, v11, v[0:1]
	v_cndmask_b32_e32 v2, v2, v10, vcc
	v_add_u32_e32 v10, 1, v3
	v_cmp_le_u32_e32 vcc, s14, v2
	s_nop 1
	v_cndmask_b32_e32 v2, v3, v10, vcc
	v_mul_hi_u32 v3, v2, v7
	v_mul_lo_u32 v10, v3, s13
	v_sub_u32_e32 v10, v2, v10
	v_add_u32_e32 v11, 1, v3
	v_cmp_le_u32_e32 vcc, s13, v10
	s_nop 1
	v_cndmask_b32_e32 v3, v3, v11, vcc
	v_subrev_u32_e32 v11, s13, v10
	v_cndmask_b32_e32 v10, v10, v11, vcc
	v_add_u32_e32 v11, 1, v3
	v_cmp_le_u32_e32 vcc, s13, v10
	s_nop 1
	v_cndmask_b32_e32 v10, v3, v11, vcc
	v_mul_lo_u32 v3, v10, s13
	v_sub_u32_e32 v3, v2, v3
	v_mul_lo_u32 v11, v3, s7
	v_mad_u64_u32 v[2:3], s[26:27], s25, v2, v[0:1]
	v_mul_hi_u32 v3, v10, v9
	v_mul_lo_u32 v12, v3, s12
	v_sub_u32_e32 v12, v10, v12
	v_add_u32_e32 v13, 1, v3
	v_cmp_le_u32_e32 vcc, s12, v12
	v_mul_lo_u32 v2, v2, s5
	s_nop 0
	v_cndmask_b32_e32 v3, v3, v13, vcc
	v_subrev_u32_e32 v13, s12, v12
	v_cndmask_b32_e32 v12, v12, v13, vcc
	v_add_u32_e32 v13, 1, v3
	v_cmp_le_u32_e32 vcc, s12, v12
	s_nop 1
	v_cndmask_b32_e32 v3, v3, v13, vcc
	v_mul_lo_u32 v12, v3, s12
	v_sub_u32_e32 v10, v10, v12
	v_mul_lo_u32 v10, v10, s6
	v_mad_u64_u32 v[2:3], s[26:27], v3, s4, v[2:3]
	v_add3_u32 v2, v2, v11, v10
	v_mov_b32_e32 v3, v1
	s_branch .LBB19_2
.LBB19_5:
	s_endpgm
	.section	.rodata,"a",@progbits
	.p2align	6, 0x0
	.amdhsa_kernel _ZN2at6native12_GLOBAL__N_119CatArrayBatchedCopyINS1_10OpaqueTypeILj1EEEjLi4ELi128ELi1EEEvPT_NS1_25CatArrInputTensorMetadataIS5_T0_XT2_EXT3_EEENS1_16TensorSizeStrideIS8_Lj4EEEiS8_
		.amdhsa_group_segment_fixed_size 0
		.amdhsa_private_segment_fixed_size 0
		.amdhsa_kernarg_size 3024
		.amdhsa_user_sgpr_count 2
		.amdhsa_user_sgpr_dispatch_ptr 0
		.amdhsa_user_sgpr_queue_ptr 0
		.amdhsa_user_sgpr_kernarg_segment_ptr 1
		.amdhsa_user_sgpr_dispatch_id 0
		.amdhsa_user_sgpr_kernarg_preload_length 0
		.amdhsa_user_sgpr_kernarg_preload_offset 0
		.amdhsa_user_sgpr_private_segment_size 0
		.amdhsa_uses_dynamic_stack 0
		.amdhsa_enable_private_segment 0
		.amdhsa_system_sgpr_workgroup_id_x 1
		.amdhsa_system_sgpr_workgroup_id_y 1
		.amdhsa_system_sgpr_workgroup_id_z 0
		.amdhsa_system_sgpr_workgroup_info 0
		.amdhsa_system_vgpr_workitem_id 0
		.amdhsa_next_free_vgpr 15
		.amdhsa_next_free_sgpr 36
		.amdhsa_accum_offset 16
		.amdhsa_reserve_vcc 1
		.amdhsa_float_round_mode_32 0
		.amdhsa_float_round_mode_16_64 0
		.amdhsa_float_denorm_mode_32 3
		.amdhsa_float_denorm_mode_16_64 3
		.amdhsa_dx10_clamp 1
		.amdhsa_ieee_mode 1
		.amdhsa_fp16_overflow 0
		.amdhsa_tg_split 0
		.amdhsa_exception_fp_ieee_invalid_op 0
		.amdhsa_exception_fp_denorm_src 0
		.amdhsa_exception_fp_ieee_div_zero 0
		.amdhsa_exception_fp_ieee_overflow 0
		.amdhsa_exception_fp_ieee_underflow 0
		.amdhsa_exception_fp_ieee_inexact 0
		.amdhsa_exception_int_div_zero 0
	.end_amdhsa_kernel
	.section	.text._ZN2at6native12_GLOBAL__N_119CatArrayBatchedCopyINS1_10OpaqueTypeILj1EEEjLi4ELi128ELi1EEEvPT_NS1_25CatArrInputTensorMetadataIS5_T0_XT2_EXT3_EEENS1_16TensorSizeStrideIS8_Lj4EEEiS8_,"axG",@progbits,_ZN2at6native12_GLOBAL__N_119CatArrayBatchedCopyINS1_10OpaqueTypeILj1EEEjLi4ELi128ELi1EEEvPT_NS1_25CatArrInputTensorMetadataIS5_T0_XT2_EXT3_EEENS1_16TensorSizeStrideIS8_Lj4EEEiS8_,comdat
.Lfunc_end19:
	.size	_ZN2at6native12_GLOBAL__N_119CatArrayBatchedCopyINS1_10OpaqueTypeILj1EEEjLi4ELi128ELi1EEEvPT_NS1_25CatArrInputTensorMetadataIS5_T0_XT2_EXT3_EEENS1_16TensorSizeStrideIS8_Lj4EEEiS8_, .Lfunc_end19-_ZN2at6native12_GLOBAL__N_119CatArrayBatchedCopyINS1_10OpaqueTypeILj1EEEjLi4ELi128ELi1EEEvPT_NS1_25CatArrInputTensorMetadataIS5_T0_XT2_EXT3_EEENS1_16TensorSizeStrideIS8_Lj4EEEiS8_
                                        ; -- End function
	.set _ZN2at6native12_GLOBAL__N_119CatArrayBatchedCopyINS1_10OpaqueTypeILj1EEEjLi4ELi128ELi1EEEvPT_NS1_25CatArrInputTensorMetadataIS5_T0_XT2_EXT3_EEENS1_16TensorSizeStrideIS8_Lj4EEEiS8_.num_vgpr, 15
	.set _ZN2at6native12_GLOBAL__N_119CatArrayBatchedCopyINS1_10OpaqueTypeILj1EEEjLi4ELi128ELi1EEEvPT_NS1_25CatArrInputTensorMetadataIS5_T0_XT2_EXT3_EEENS1_16TensorSizeStrideIS8_Lj4EEEiS8_.num_agpr, 0
	.set _ZN2at6native12_GLOBAL__N_119CatArrayBatchedCopyINS1_10OpaqueTypeILj1EEEjLi4ELi128ELi1EEEvPT_NS1_25CatArrInputTensorMetadataIS5_T0_XT2_EXT3_EEENS1_16TensorSizeStrideIS8_Lj4EEEiS8_.numbered_sgpr, 36
	.set _ZN2at6native12_GLOBAL__N_119CatArrayBatchedCopyINS1_10OpaqueTypeILj1EEEjLi4ELi128ELi1EEEvPT_NS1_25CatArrInputTensorMetadataIS5_T0_XT2_EXT3_EEENS1_16TensorSizeStrideIS8_Lj4EEEiS8_.num_named_barrier, 0
	.set _ZN2at6native12_GLOBAL__N_119CatArrayBatchedCopyINS1_10OpaqueTypeILj1EEEjLi4ELi128ELi1EEEvPT_NS1_25CatArrInputTensorMetadataIS5_T0_XT2_EXT3_EEENS1_16TensorSizeStrideIS8_Lj4EEEiS8_.private_seg_size, 0
	.set _ZN2at6native12_GLOBAL__N_119CatArrayBatchedCopyINS1_10OpaqueTypeILj1EEEjLi4ELi128ELi1EEEvPT_NS1_25CatArrInputTensorMetadataIS5_T0_XT2_EXT3_EEENS1_16TensorSizeStrideIS8_Lj4EEEiS8_.uses_vcc, 1
	.set _ZN2at6native12_GLOBAL__N_119CatArrayBatchedCopyINS1_10OpaqueTypeILj1EEEjLi4ELi128ELi1EEEvPT_NS1_25CatArrInputTensorMetadataIS5_T0_XT2_EXT3_EEENS1_16TensorSizeStrideIS8_Lj4EEEiS8_.uses_flat_scratch, 0
	.set _ZN2at6native12_GLOBAL__N_119CatArrayBatchedCopyINS1_10OpaqueTypeILj1EEEjLi4ELi128ELi1EEEvPT_NS1_25CatArrInputTensorMetadataIS5_T0_XT2_EXT3_EEENS1_16TensorSizeStrideIS8_Lj4EEEiS8_.has_dyn_sized_stack, 0
	.set _ZN2at6native12_GLOBAL__N_119CatArrayBatchedCopyINS1_10OpaqueTypeILj1EEEjLi4ELi128ELi1EEEvPT_NS1_25CatArrInputTensorMetadataIS5_T0_XT2_EXT3_EEENS1_16TensorSizeStrideIS8_Lj4EEEiS8_.has_recursion, 0
	.set _ZN2at6native12_GLOBAL__N_119CatArrayBatchedCopyINS1_10OpaqueTypeILj1EEEjLi4ELi128ELi1EEEvPT_NS1_25CatArrInputTensorMetadataIS5_T0_XT2_EXT3_EEENS1_16TensorSizeStrideIS8_Lj4EEEiS8_.has_indirect_call, 0
	.section	.AMDGPU.csdata,"",@progbits
; Kernel info:
; codeLenInByte = 1184
; TotalNumSgprs: 42
; NumVgprs: 15
; NumAgprs: 0
; TotalNumVgprs: 15
; ScratchSize: 0
; MemoryBound: 0
; FloatMode: 240
; IeeeMode: 1
; LDSByteSize: 0 bytes/workgroup (compile time only)
; SGPRBlocks: 5
; VGPRBlocks: 1
; NumSGPRsForWavesPerEU: 42
; NumVGPRsForWavesPerEU: 15
; AccumOffset: 16
; Occupancy: 8
; WaveLimiterHint : 1
; COMPUTE_PGM_RSRC2:SCRATCH_EN: 0
; COMPUTE_PGM_RSRC2:USER_SGPR: 2
; COMPUTE_PGM_RSRC2:TRAP_HANDLER: 0
; COMPUTE_PGM_RSRC2:TGID_X_EN: 1
; COMPUTE_PGM_RSRC2:TGID_Y_EN: 1
; COMPUTE_PGM_RSRC2:TGID_Z_EN: 0
; COMPUTE_PGM_RSRC2:TIDIG_COMP_CNT: 0
; COMPUTE_PGM_RSRC3_GFX90A:ACCUM_OFFSET: 3
; COMPUTE_PGM_RSRC3_GFX90A:TG_SPLIT: 0
	.section	.text._ZN2at6native12_GLOBAL__N_130CatArrayBatchedCopy_vectorizedINS1_10OpaqueTypeILj2EEEjLi1ELi128ELi1ELi16ELi8EEEvPcNS1_25CatArrInputTensorMetadataIT_T0_XT2_EXT3_EEENS1_16TensorSizeStrideIS8_Lj4EEEiS8_,"axG",@progbits,_ZN2at6native12_GLOBAL__N_130CatArrayBatchedCopy_vectorizedINS1_10OpaqueTypeILj2EEEjLi1ELi128ELi1ELi16ELi8EEEvPcNS1_25CatArrInputTensorMetadataIT_T0_XT2_EXT3_EEENS1_16TensorSizeStrideIS8_Lj4EEEiS8_,comdat
	.globl	_ZN2at6native12_GLOBAL__N_130CatArrayBatchedCopy_vectorizedINS1_10OpaqueTypeILj2EEEjLi1ELi128ELi1ELi16ELi8EEEvPcNS1_25CatArrInputTensorMetadataIT_T0_XT2_EXT3_EEENS1_16TensorSizeStrideIS8_Lj4EEEiS8_ ; -- Begin function _ZN2at6native12_GLOBAL__N_130CatArrayBatchedCopy_vectorizedINS1_10OpaqueTypeILj2EEEjLi1ELi128ELi1ELi16ELi8EEEvPcNS1_25CatArrInputTensorMetadataIT_T0_XT2_EXT3_EEENS1_16TensorSizeStrideIS8_Lj4EEEiS8_
	.p2align	8
	.type	_ZN2at6native12_GLOBAL__N_130CatArrayBatchedCopy_vectorizedINS1_10OpaqueTypeILj2EEEjLi1ELi128ELi1ELi16ELi8EEEvPcNS1_25CatArrInputTensorMetadataIT_T0_XT2_EXT3_EEENS1_16TensorSizeStrideIS8_Lj4EEEiS8_,@function
_ZN2at6native12_GLOBAL__N_130CatArrayBatchedCopy_vectorizedINS1_10OpaqueTypeILj2EEEjLi1ELi128ELi1ELi16ELi8EEEvPcNS1_25CatArrInputTensorMetadataIT_T0_XT2_EXT3_EEENS1_16TensorSizeStrideIS8_Lj4EEEiS8_: ; @_ZN2at6native12_GLOBAL__N_130CatArrayBatchedCopy_vectorizedINS1_10OpaqueTypeILj2EEEjLi1ELi128ELi1ELi16ELi8EEEvPcNS1_25CatArrInputTensorMetadataIT_T0_XT2_EXT3_EEENS1_16TensorSizeStrideIS8_Lj4EEEiS8_
; %bb.0:
	s_mov_b32 s4, s3
	s_load_dword s3, s[0:1], 0xadc
	s_add_u32 s6, s0, 0xad0
	s_mov_b32 s5, 0
	s_addc_u32 s7, s1, 0
	s_lshl_b64 s[8:9], s[4:5], 2
	s_waitcnt lgkmcnt(0)
	s_and_b32 s11, s3, 0xffff
	s_add_u32 s12, s0, s8
	s_addc_u32 s13, s1, s9
	s_load_dword s4, s[12:13], 0x808
	s_mul_i32 s2, s2, s11
	v_add_u32_e32 v0, s2, v0
	s_add_u32 s2, s12, 8
	s_addc_u32 s3, s13, 0
	s_waitcnt lgkmcnt(0)
	s_lshr_b32 s10, s4, 3
	v_cmp_gt_u32_e32 vcc, s10, v0
	s_and_saveexec_b64 s[12:13], vcc
	s_cbranch_execz .LBB20_3
; %bb.1:
	s_add_u32 s12, s2, s8
	s_addc_u32 s13, s3, s9
	s_sub_u32 s2, 0, s8
	s_subb_u32 s3, 0, s9
	s_add_u32 s8, s12, s2
	s_addc_u32 s9, s13, s3
	s_load_dword s4, s[8:9], 0x400
	s_load_dwordx2 s[14:15], s[0:1], 0x0
	s_load_dword s16, s[0:1], 0xacc
	s_load_dwordx2 s[2:3], s[12:13], 0x0
	s_load_dword s17, s[0:1], 0xab8
	s_load_dword s18, s[6:7], 0x0
	s_mov_b64 s[0:1], 0
	s_waitcnt lgkmcnt(0)
	s_mul_i32 s4, s4, s16
	s_lshr_b32 s4, s4, 3
	s_lshl_b64 s[4:5], s[4:5], 4
	s_mul_i32 s6, s18, s11
	s_add_u32 s4, s14, s4
	s_addc_u32 s5, s15, s5
	v_mul_lo_u32 v2, s17, v0
	s_mul_i32 s7, s6, s17
	v_mov_b32_e32 v3, 0
.LBB20_2:                               ; =>This Inner Loop Header: Depth=1
	v_mov_b32_e32 v1, v3
	v_lshl_add_u64 v[4:5], v[0:1], 4, s[2:3]
	global_load_dwordx4 v[4:7], v[4:5], off
	v_add_u32_e32 v0, s6, v0
	v_cmp_le_u32_e32 vcc, s10, v0
	v_lshl_add_u64 v[8:9], v[2:3], 4, s[4:5]
	v_add_u32_e32 v2, s7, v2
	s_or_b64 s[0:1], vcc, s[0:1]
	s_waitcnt vmcnt(0)
	global_store_dwordx4 v[8:9], v[4:7], off
	s_andn2_b64 exec, exec, s[0:1]
	s_cbranch_execnz .LBB20_2
.LBB20_3:
	s_endpgm
	.section	.rodata,"a",@progbits
	.p2align	6, 0x0
	.amdhsa_kernel _ZN2at6native12_GLOBAL__N_130CatArrayBatchedCopy_vectorizedINS1_10OpaqueTypeILj2EEEjLi1ELi128ELi1ELi16ELi8EEEvPcNS1_25CatArrInputTensorMetadataIT_T0_XT2_EXT3_EEENS1_16TensorSizeStrideIS8_Lj4EEEiS8_
		.amdhsa_group_segment_fixed_size 0
		.amdhsa_private_segment_fixed_size 0
		.amdhsa_kernarg_size 3024
		.amdhsa_user_sgpr_count 2
		.amdhsa_user_sgpr_dispatch_ptr 0
		.amdhsa_user_sgpr_queue_ptr 0
		.amdhsa_user_sgpr_kernarg_segment_ptr 1
		.amdhsa_user_sgpr_dispatch_id 0
		.amdhsa_user_sgpr_kernarg_preload_length 0
		.amdhsa_user_sgpr_kernarg_preload_offset 0
		.amdhsa_user_sgpr_private_segment_size 0
		.amdhsa_uses_dynamic_stack 0
		.amdhsa_enable_private_segment 0
		.amdhsa_system_sgpr_workgroup_id_x 1
		.amdhsa_system_sgpr_workgroup_id_y 1
		.amdhsa_system_sgpr_workgroup_id_z 0
		.amdhsa_system_sgpr_workgroup_info 0
		.amdhsa_system_vgpr_workitem_id 0
		.amdhsa_next_free_vgpr 10
		.amdhsa_next_free_sgpr 19
		.amdhsa_accum_offset 12
		.amdhsa_reserve_vcc 1
		.amdhsa_float_round_mode_32 0
		.amdhsa_float_round_mode_16_64 0
		.amdhsa_float_denorm_mode_32 3
		.amdhsa_float_denorm_mode_16_64 3
		.amdhsa_dx10_clamp 1
		.amdhsa_ieee_mode 1
		.amdhsa_fp16_overflow 0
		.amdhsa_tg_split 0
		.amdhsa_exception_fp_ieee_invalid_op 0
		.amdhsa_exception_fp_denorm_src 0
		.amdhsa_exception_fp_ieee_div_zero 0
		.amdhsa_exception_fp_ieee_overflow 0
		.amdhsa_exception_fp_ieee_underflow 0
		.amdhsa_exception_fp_ieee_inexact 0
		.amdhsa_exception_int_div_zero 0
	.end_amdhsa_kernel
	.section	.text._ZN2at6native12_GLOBAL__N_130CatArrayBatchedCopy_vectorizedINS1_10OpaqueTypeILj2EEEjLi1ELi128ELi1ELi16ELi8EEEvPcNS1_25CatArrInputTensorMetadataIT_T0_XT2_EXT3_EEENS1_16TensorSizeStrideIS8_Lj4EEEiS8_,"axG",@progbits,_ZN2at6native12_GLOBAL__N_130CatArrayBatchedCopy_vectorizedINS1_10OpaqueTypeILj2EEEjLi1ELi128ELi1ELi16ELi8EEEvPcNS1_25CatArrInputTensorMetadataIT_T0_XT2_EXT3_EEENS1_16TensorSizeStrideIS8_Lj4EEEiS8_,comdat
.Lfunc_end20:
	.size	_ZN2at6native12_GLOBAL__N_130CatArrayBatchedCopy_vectorizedINS1_10OpaqueTypeILj2EEEjLi1ELi128ELi1ELi16ELi8EEEvPcNS1_25CatArrInputTensorMetadataIT_T0_XT2_EXT3_EEENS1_16TensorSizeStrideIS8_Lj4EEEiS8_, .Lfunc_end20-_ZN2at6native12_GLOBAL__N_130CatArrayBatchedCopy_vectorizedINS1_10OpaqueTypeILj2EEEjLi1ELi128ELi1ELi16ELi8EEEvPcNS1_25CatArrInputTensorMetadataIT_T0_XT2_EXT3_EEENS1_16TensorSizeStrideIS8_Lj4EEEiS8_
                                        ; -- End function
	.set _ZN2at6native12_GLOBAL__N_130CatArrayBatchedCopy_vectorizedINS1_10OpaqueTypeILj2EEEjLi1ELi128ELi1ELi16ELi8EEEvPcNS1_25CatArrInputTensorMetadataIT_T0_XT2_EXT3_EEENS1_16TensorSizeStrideIS8_Lj4EEEiS8_.num_vgpr, 10
	.set _ZN2at6native12_GLOBAL__N_130CatArrayBatchedCopy_vectorizedINS1_10OpaqueTypeILj2EEEjLi1ELi128ELi1ELi16ELi8EEEvPcNS1_25CatArrInputTensorMetadataIT_T0_XT2_EXT3_EEENS1_16TensorSizeStrideIS8_Lj4EEEiS8_.num_agpr, 0
	.set _ZN2at6native12_GLOBAL__N_130CatArrayBatchedCopy_vectorizedINS1_10OpaqueTypeILj2EEEjLi1ELi128ELi1ELi16ELi8EEEvPcNS1_25CatArrInputTensorMetadataIT_T0_XT2_EXT3_EEENS1_16TensorSizeStrideIS8_Lj4EEEiS8_.numbered_sgpr, 19
	.set _ZN2at6native12_GLOBAL__N_130CatArrayBatchedCopy_vectorizedINS1_10OpaqueTypeILj2EEEjLi1ELi128ELi1ELi16ELi8EEEvPcNS1_25CatArrInputTensorMetadataIT_T0_XT2_EXT3_EEENS1_16TensorSizeStrideIS8_Lj4EEEiS8_.num_named_barrier, 0
	.set _ZN2at6native12_GLOBAL__N_130CatArrayBatchedCopy_vectorizedINS1_10OpaqueTypeILj2EEEjLi1ELi128ELi1ELi16ELi8EEEvPcNS1_25CatArrInputTensorMetadataIT_T0_XT2_EXT3_EEENS1_16TensorSizeStrideIS8_Lj4EEEiS8_.private_seg_size, 0
	.set _ZN2at6native12_GLOBAL__N_130CatArrayBatchedCopy_vectorizedINS1_10OpaqueTypeILj2EEEjLi1ELi128ELi1ELi16ELi8EEEvPcNS1_25CatArrInputTensorMetadataIT_T0_XT2_EXT3_EEENS1_16TensorSizeStrideIS8_Lj4EEEiS8_.uses_vcc, 1
	.set _ZN2at6native12_GLOBAL__N_130CatArrayBatchedCopy_vectorizedINS1_10OpaqueTypeILj2EEEjLi1ELi128ELi1ELi16ELi8EEEvPcNS1_25CatArrInputTensorMetadataIT_T0_XT2_EXT3_EEENS1_16TensorSizeStrideIS8_Lj4EEEiS8_.uses_flat_scratch, 0
	.set _ZN2at6native12_GLOBAL__N_130CatArrayBatchedCopy_vectorizedINS1_10OpaqueTypeILj2EEEjLi1ELi128ELi1ELi16ELi8EEEvPcNS1_25CatArrInputTensorMetadataIT_T0_XT2_EXT3_EEENS1_16TensorSizeStrideIS8_Lj4EEEiS8_.has_dyn_sized_stack, 0
	.set _ZN2at6native12_GLOBAL__N_130CatArrayBatchedCopy_vectorizedINS1_10OpaqueTypeILj2EEEjLi1ELi128ELi1ELi16ELi8EEEvPcNS1_25CatArrInputTensorMetadataIT_T0_XT2_EXT3_EEENS1_16TensorSizeStrideIS8_Lj4EEEiS8_.has_recursion, 0
	.set _ZN2at6native12_GLOBAL__N_130CatArrayBatchedCopy_vectorizedINS1_10OpaqueTypeILj2EEEjLi1ELi128ELi1ELi16ELi8EEEvPcNS1_25CatArrInputTensorMetadataIT_T0_XT2_EXT3_EEENS1_16TensorSizeStrideIS8_Lj4EEEiS8_.has_indirect_call, 0
	.section	.AMDGPU.csdata,"",@progbits
; Kernel info:
; codeLenInByte = 284
; TotalNumSgprs: 25
; NumVgprs: 10
; NumAgprs: 0
; TotalNumVgprs: 10
; ScratchSize: 0
; MemoryBound: 0
; FloatMode: 240
; IeeeMode: 1
; LDSByteSize: 0 bytes/workgroup (compile time only)
; SGPRBlocks: 3
; VGPRBlocks: 1
; NumSGPRsForWavesPerEU: 25
; NumVGPRsForWavesPerEU: 10
; AccumOffset: 12
; Occupancy: 8
; WaveLimiterHint : 1
; COMPUTE_PGM_RSRC2:SCRATCH_EN: 0
; COMPUTE_PGM_RSRC2:USER_SGPR: 2
; COMPUTE_PGM_RSRC2:TRAP_HANDLER: 0
; COMPUTE_PGM_RSRC2:TGID_X_EN: 1
; COMPUTE_PGM_RSRC2:TGID_Y_EN: 1
; COMPUTE_PGM_RSRC2:TGID_Z_EN: 0
; COMPUTE_PGM_RSRC2:TIDIG_COMP_CNT: 0
; COMPUTE_PGM_RSRC3_GFX90A:ACCUM_OFFSET: 2
; COMPUTE_PGM_RSRC3_GFX90A:TG_SPLIT: 0
	.section	.text._ZN2at6native12_GLOBAL__N_135CatArrayBatchedCopy_alignedK_contigINS1_10OpaqueTypeILj2EEEjLi1ELi128ELi1ELi16EEEvPT_NS1_25CatArrInputTensorMetadataIS5_T0_XT2_EXT3_EEENS1_16TensorSizeStrideIS8_Lj4EEEiS8_,"axG",@progbits,_ZN2at6native12_GLOBAL__N_135CatArrayBatchedCopy_alignedK_contigINS1_10OpaqueTypeILj2EEEjLi1ELi128ELi1ELi16EEEvPT_NS1_25CatArrInputTensorMetadataIS5_T0_XT2_EXT3_EEENS1_16TensorSizeStrideIS8_Lj4EEEiS8_,comdat
	.globl	_ZN2at6native12_GLOBAL__N_135CatArrayBatchedCopy_alignedK_contigINS1_10OpaqueTypeILj2EEEjLi1ELi128ELi1ELi16EEEvPT_NS1_25CatArrInputTensorMetadataIS5_T0_XT2_EXT3_EEENS1_16TensorSizeStrideIS8_Lj4EEEiS8_ ; -- Begin function _ZN2at6native12_GLOBAL__N_135CatArrayBatchedCopy_alignedK_contigINS1_10OpaqueTypeILj2EEEjLi1ELi128ELi1ELi16EEEvPT_NS1_25CatArrInputTensorMetadataIS5_T0_XT2_EXT3_EEENS1_16TensorSizeStrideIS8_Lj4EEEiS8_
	.p2align	8
	.type	_ZN2at6native12_GLOBAL__N_135CatArrayBatchedCopy_alignedK_contigINS1_10OpaqueTypeILj2EEEjLi1ELi128ELi1ELi16EEEvPT_NS1_25CatArrInputTensorMetadataIS5_T0_XT2_EXT3_EEENS1_16TensorSizeStrideIS8_Lj4EEEiS8_,@function
_ZN2at6native12_GLOBAL__N_135CatArrayBatchedCopy_alignedK_contigINS1_10OpaqueTypeILj2EEEjLi1ELi128ELi1ELi16EEEvPT_NS1_25CatArrInputTensorMetadataIS5_T0_XT2_EXT3_EEENS1_16TensorSizeStrideIS8_Lj4EEEiS8_: ; @_ZN2at6native12_GLOBAL__N_135CatArrayBatchedCopy_alignedK_contigINS1_10OpaqueTypeILj2EEEjLi1ELi128ELi1ELi16EEEvPT_NS1_25CatArrInputTensorMetadataIS5_T0_XT2_EXT3_EEENS1_16TensorSizeStrideIS8_Lj4EEEiS8_
; %bb.0:
	s_mov_b32 s4, s3
	s_load_dword s3, s[0:1], 0xadc
	s_add_u32 s8, s0, 0xad0
	s_addc_u32 s9, s1, 0
	s_mov_b32 s5, 0
	s_waitcnt lgkmcnt(0)
	s_and_b32 s13, s3, 0xffff
	s_mul_i32 s6, s2, s13
	s_lshl_b64 s[2:3], s[4:5], 2
	s_add_u32 s4, s0, s2
	s_addc_u32 s5, s1, s3
	s_load_dword s10, s[4:5], 0x808
	v_add_u32_e32 v1, s6, v0
	v_lshlrev_b32_e32 v0, 3, v1
	s_add_u32 s4, s4, 8
	s_addc_u32 s5, s5, 0
	s_waitcnt lgkmcnt(0)
	v_cmp_gt_u32_e32 vcc, s10, v0
	s_and_saveexec_b64 s[6:7], vcc
	s_cbranch_execz .LBB21_8
; %bb.1:
	s_add_u32 s6, s4, s2
	s_addc_u32 s7, s5, s3
	s_sub_u32 s2, 0, s2
	s_subb_u32 s3, 0, s3
	s_add_u32 s14, s6, s2
	s_addc_u32 s15, s7, s3
	s_load_dword s12, s[14:15], 0x400
	s_load_dword s16, s[0:1], 0xacc
	s_load_dwordx2 s[2:3], s[0:1], 0x0
	s_load_dwordx2 s[4:5], s[6:7], 0x0
	s_load_dword s11, s[0:1], 0xab8
	v_add_u32_e32 v2, 8, v0
	s_mov_b64 s[0:1], 0
	s_waitcnt lgkmcnt(0)
	s_mul_i32 s12, s12, s16
	v_cmp_ge_u32_e32 vcc, s10, v2
	s_and_saveexec_b64 s[6:7], vcc
	s_cbranch_execz .LBB21_5
; %bb.2:
	s_load_dword s8, s[8:9], 0x0
	v_mul_lo_u32 v2, s11, v0
	v_add_u32_e32 v3, 2, v0
	v_add_u32_e32 v4, 3, v0
	;; [unrolled: 1-line block ×3, first 2 shown]
	s_waitcnt lgkmcnt(0)
	s_mul_i32 s9, s8, s13
	s_lshl_b32 s8, s9, 3
	s_mul_i32 s9, s9, s11
	v_add_u32_e32 v6, 5, v0
	v_add_u32_e32 v7, 6, v0
	;; [unrolled: 1-line block ×3, first 2 shown]
	v_mul_lo_u32 v1, s11, v1
	v_add_u32_e32 v2, s11, v2
	s_lshl_b32 s9, s9, 3
	v_mul_lo_u32 v3, s11, v3
	v_mul_lo_u32 v4, s11, v4
	;; [unrolled: 1-line block ×6, first 2 shown]
	v_lshlrev_b32_e32 v9, 3, v1
	v_mov_b32_e32 v1, 0
	s_mov_b32 s13, s12
.LBB21_3:                               ; =>This Inner Loop Header: Depth=1
	v_lshl_add_u64 v[10:11], v[0:1], 1, s[4:5]
	global_load_dwordx4 v[10:13], v[10:11], off
	v_add_u32_e32 v0, s8, v0
	v_add_u32_e32 v30, 8, v0
	;; [unrolled: 1-line block ×3, first 2 shown]
	v_mov_b32_e32 v15, v1
	v_add_u32_e32 v16, s13, v2
	v_add_u32_e32 v18, s13, v3
	;; [unrolled: 1-line block ×7, first 2 shown]
	s_add_i32 s13, s13, s9
	v_cmp_lt_u32_e32 vcc, s10, v30
	v_mov_b32_e32 v17, v1
	v_mov_b32_e32 v19, v1
	;; [unrolled: 1-line block ×7, first 2 shown]
	v_lshl_add_u64 v[14:15], v[14:15], 1, s[2:3]
	s_or_b64 s[0:1], vcc, s[0:1]
	v_lshl_add_u64 v[16:17], v[16:17], 1, s[2:3]
	v_lshl_add_u64 v[18:19], v[18:19], 1, s[2:3]
	;; [unrolled: 1-line block ×7, first 2 shown]
	s_waitcnt vmcnt(0)
	global_store_short v[14:15], v10, off
	global_store_short_d16_hi v[16:17], v10, off
	global_store_short v[18:19], v11, off
	global_store_short_d16_hi v[20:21], v11, off
	;; [unrolled: 2-line block ×4, first 2 shown]
	s_andn2_b64 exec, exec, s[0:1]
	s_cbranch_execnz .LBB21_3
; %bb.4:
	s_or_b64 exec, exec, s[0:1]
.LBB21_5:
	s_or_b64 exec, exec, s[6:7]
	v_cmp_gt_u32_e32 vcc, s10, v0
	s_and_b64 exec, exec, vcc
	s_cbranch_execz .LBB21_8
; %bb.6:
	v_mov_b32_e32 v3, 0
	v_mov_b32_e32 v1, v3
	v_lshl_add_u64 v[4:5], v[0:1], 1, s[4:5]
	v_mul_lo_u32 v1, v0, s11
	v_add_u32_e32 v2, s12, v1
	s_mov_b64 s[0:1], 0
.LBB21_7:                               ; =>This Inner Loop Header: Depth=1
	global_load_ushort v1, v[4:5], off
	v_add_u32_e32 v0, 1, v0
	v_cmp_le_u32_e32 vcc, s10, v0
	v_lshl_add_u64 v[6:7], v[2:3], 1, s[2:3]
	v_lshl_add_u64 v[4:5], v[4:5], 0, 2
	v_add_u32_e32 v2, s11, v2
	s_or_b64 s[0:1], vcc, s[0:1]
	s_waitcnt vmcnt(0)
	global_store_short v[6:7], v1, off
	s_andn2_b64 exec, exec, s[0:1]
	s_cbranch_execnz .LBB21_7
.LBB21_8:
	s_endpgm
	.section	.rodata,"a",@progbits
	.p2align	6, 0x0
	.amdhsa_kernel _ZN2at6native12_GLOBAL__N_135CatArrayBatchedCopy_alignedK_contigINS1_10OpaqueTypeILj2EEEjLi1ELi128ELi1ELi16EEEvPT_NS1_25CatArrInputTensorMetadataIS5_T0_XT2_EXT3_EEENS1_16TensorSizeStrideIS8_Lj4EEEiS8_
		.amdhsa_group_segment_fixed_size 0
		.amdhsa_private_segment_fixed_size 0
		.amdhsa_kernarg_size 3024
		.amdhsa_user_sgpr_count 2
		.amdhsa_user_sgpr_dispatch_ptr 0
		.amdhsa_user_sgpr_queue_ptr 0
		.amdhsa_user_sgpr_kernarg_segment_ptr 1
		.amdhsa_user_sgpr_dispatch_id 0
		.amdhsa_user_sgpr_kernarg_preload_length 0
		.amdhsa_user_sgpr_kernarg_preload_offset 0
		.amdhsa_user_sgpr_private_segment_size 0
		.amdhsa_uses_dynamic_stack 0
		.amdhsa_enable_private_segment 0
		.amdhsa_system_sgpr_workgroup_id_x 1
		.amdhsa_system_sgpr_workgroup_id_y 1
		.amdhsa_system_sgpr_workgroup_id_z 0
		.amdhsa_system_sgpr_workgroup_info 0
		.amdhsa_system_vgpr_workitem_id 0
		.amdhsa_next_free_vgpr 31
		.amdhsa_next_free_sgpr 17
		.amdhsa_accum_offset 32
		.amdhsa_reserve_vcc 1
		.amdhsa_float_round_mode_32 0
		.amdhsa_float_round_mode_16_64 0
		.amdhsa_float_denorm_mode_32 3
		.amdhsa_float_denorm_mode_16_64 3
		.amdhsa_dx10_clamp 1
		.amdhsa_ieee_mode 1
		.amdhsa_fp16_overflow 0
		.amdhsa_tg_split 0
		.amdhsa_exception_fp_ieee_invalid_op 0
		.amdhsa_exception_fp_denorm_src 0
		.amdhsa_exception_fp_ieee_div_zero 0
		.amdhsa_exception_fp_ieee_overflow 0
		.amdhsa_exception_fp_ieee_underflow 0
		.amdhsa_exception_fp_ieee_inexact 0
		.amdhsa_exception_int_div_zero 0
	.end_amdhsa_kernel
	.section	.text._ZN2at6native12_GLOBAL__N_135CatArrayBatchedCopy_alignedK_contigINS1_10OpaqueTypeILj2EEEjLi1ELi128ELi1ELi16EEEvPT_NS1_25CatArrInputTensorMetadataIS5_T0_XT2_EXT3_EEENS1_16TensorSizeStrideIS8_Lj4EEEiS8_,"axG",@progbits,_ZN2at6native12_GLOBAL__N_135CatArrayBatchedCopy_alignedK_contigINS1_10OpaqueTypeILj2EEEjLi1ELi128ELi1ELi16EEEvPT_NS1_25CatArrInputTensorMetadataIS5_T0_XT2_EXT3_EEENS1_16TensorSizeStrideIS8_Lj4EEEiS8_,comdat
.Lfunc_end21:
	.size	_ZN2at6native12_GLOBAL__N_135CatArrayBatchedCopy_alignedK_contigINS1_10OpaqueTypeILj2EEEjLi1ELi128ELi1ELi16EEEvPT_NS1_25CatArrInputTensorMetadataIS5_T0_XT2_EXT3_EEENS1_16TensorSizeStrideIS8_Lj4EEEiS8_, .Lfunc_end21-_ZN2at6native12_GLOBAL__N_135CatArrayBatchedCopy_alignedK_contigINS1_10OpaqueTypeILj2EEEjLi1ELi128ELi1ELi16EEEvPT_NS1_25CatArrInputTensorMetadataIS5_T0_XT2_EXT3_EEENS1_16TensorSizeStrideIS8_Lj4EEEiS8_
                                        ; -- End function
	.set _ZN2at6native12_GLOBAL__N_135CatArrayBatchedCopy_alignedK_contigINS1_10OpaqueTypeILj2EEEjLi1ELi128ELi1ELi16EEEvPT_NS1_25CatArrInputTensorMetadataIS5_T0_XT2_EXT3_EEENS1_16TensorSizeStrideIS8_Lj4EEEiS8_.num_vgpr, 31
	.set _ZN2at6native12_GLOBAL__N_135CatArrayBatchedCopy_alignedK_contigINS1_10OpaqueTypeILj2EEEjLi1ELi128ELi1ELi16EEEvPT_NS1_25CatArrInputTensorMetadataIS5_T0_XT2_EXT3_EEENS1_16TensorSizeStrideIS8_Lj4EEEiS8_.num_agpr, 0
	.set _ZN2at6native12_GLOBAL__N_135CatArrayBatchedCopy_alignedK_contigINS1_10OpaqueTypeILj2EEEjLi1ELi128ELi1ELi16EEEvPT_NS1_25CatArrInputTensorMetadataIS5_T0_XT2_EXT3_EEENS1_16TensorSizeStrideIS8_Lj4EEEiS8_.numbered_sgpr, 17
	.set _ZN2at6native12_GLOBAL__N_135CatArrayBatchedCopy_alignedK_contigINS1_10OpaqueTypeILj2EEEjLi1ELi128ELi1ELi16EEEvPT_NS1_25CatArrInputTensorMetadataIS5_T0_XT2_EXT3_EEENS1_16TensorSizeStrideIS8_Lj4EEEiS8_.num_named_barrier, 0
	.set _ZN2at6native12_GLOBAL__N_135CatArrayBatchedCopy_alignedK_contigINS1_10OpaqueTypeILj2EEEjLi1ELi128ELi1ELi16EEEvPT_NS1_25CatArrInputTensorMetadataIS5_T0_XT2_EXT3_EEENS1_16TensorSizeStrideIS8_Lj4EEEiS8_.private_seg_size, 0
	.set _ZN2at6native12_GLOBAL__N_135CatArrayBatchedCopy_alignedK_contigINS1_10OpaqueTypeILj2EEEjLi1ELi128ELi1ELi16EEEvPT_NS1_25CatArrInputTensorMetadataIS5_T0_XT2_EXT3_EEENS1_16TensorSizeStrideIS8_Lj4EEEiS8_.uses_vcc, 1
	.set _ZN2at6native12_GLOBAL__N_135CatArrayBatchedCopy_alignedK_contigINS1_10OpaqueTypeILj2EEEjLi1ELi128ELi1ELi16EEEvPT_NS1_25CatArrInputTensorMetadataIS5_T0_XT2_EXT3_EEENS1_16TensorSizeStrideIS8_Lj4EEEiS8_.uses_flat_scratch, 0
	.set _ZN2at6native12_GLOBAL__N_135CatArrayBatchedCopy_alignedK_contigINS1_10OpaqueTypeILj2EEEjLi1ELi128ELi1ELi16EEEvPT_NS1_25CatArrInputTensorMetadataIS5_T0_XT2_EXT3_EEENS1_16TensorSizeStrideIS8_Lj4EEEiS8_.has_dyn_sized_stack, 0
	.set _ZN2at6native12_GLOBAL__N_135CatArrayBatchedCopy_alignedK_contigINS1_10OpaqueTypeILj2EEEjLi1ELi128ELi1ELi16EEEvPT_NS1_25CatArrInputTensorMetadataIS5_T0_XT2_EXT3_EEENS1_16TensorSizeStrideIS8_Lj4EEEiS8_.has_recursion, 0
	.set _ZN2at6native12_GLOBAL__N_135CatArrayBatchedCopy_alignedK_contigINS1_10OpaqueTypeILj2EEEjLi1ELi128ELi1ELi16EEEvPT_NS1_25CatArrInputTensorMetadataIS5_T0_XT2_EXT3_EEENS1_16TensorSizeStrideIS8_Lj4EEEiS8_.has_indirect_call, 0
	.section	.AMDGPU.csdata,"",@progbits
; Kernel info:
; codeLenInByte = 676
; TotalNumSgprs: 23
; NumVgprs: 31
; NumAgprs: 0
; TotalNumVgprs: 31
; ScratchSize: 0
; MemoryBound: 0
; FloatMode: 240
; IeeeMode: 1
; LDSByteSize: 0 bytes/workgroup (compile time only)
; SGPRBlocks: 2
; VGPRBlocks: 3
; NumSGPRsForWavesPerEU: 23
; NumVGPRsForWavesPerEU: 31
; AccumOffset: 32
; Occupancy: 8
; WaveLimiterHint : 1
; COMPUTE_PGM_RSRC2:SCRATCH_EN: 0
; COMPUTE_PGM_RSRC2:USER_SGPR: 2
; COMPUTE_PGM_RSRC2:TRAP_HANDLER: 0
; COMPUTE_PGM_RSRC2:TGID_X_EN: 1
; COMPUTE_PGM_RSRC2:TGID_Y_EN: 1
; COMPUTE_PGM_RSRC2:TGID_Z_EN: 0
; COMPUTE_PGM_RSRC2:TIDIG_COMP_CNT: 0
; COMPUTE_PGM_RSRC3_GFX90A:ACCUM_OFFSET: 7
; COMPUTE_PGM_RSRC3_GFX90A:TG_SPLIT: 0
	.section	.text._ZN2at6native12_GLOBAL__N_135CatArrayBatchedCopy_alignedK_contigINS1_10OpaqueTypeILj2EEEjLi1ELi128ELi1ELi8EEEvPT_NS1_25CatArrInputTensorMetadataIS5_T0_XT2_EXT3_EEENS1_16TensorSizeStrideIS8_Lj4EEEiS8_,"axG",@progbits,_ZN2at6native12_GLOBAL__N_135CatArrayBatchedCopy_alignedK_contigINS1_10OpaqueTypeILj2EEEjLi1ELi128ELi1ELi8EEEvPT_NS1_25CatArrInputTensorMetadataIS5_T0_XT2_EXT3_EEENS1_16TensorSizeStrideIS8_Lj4EEEiS8_,comdat
	.globl	_ZN2at6native12_GLOBAL__N_135CatArrayBatchedCopy_alignedK_contigINS1_10OpaqueTypeILj2EEEjLi1ELi128ELi1ELi8EEEvPT_NS1_25CatArrInputTensorMetadataIS5_T0_XT2_EXT3_EEENS1_16TensorSizeStrideIS8_Lj4EEEiS8_ ; -- Begin function _ZN2at6native12_GLOBAL__N_135CatArrayBatchedCopy_alignedK_contigINS1_10OpaqueTypeILj2EEEjLi1ELi128ELi1ELi8EEEvPT_NS1_25CatArrInputTensorMetadataIS5_T0_XT2_EXT3_EEENS1_16TensorSizeStrideIS8_Lj4EEEiS8_
	.p2align	8
	.type	_ZN2at6native12_GLOBAL__N_135CatArrayBatchedCopy_alignedK_contigINS1_10OpaqueTypeILj2EEEjLi1ELi128ELi1ELi8EEEvPT_NS1_25CatArrInputTensorMetadataIS5_T0_XT2_EXT3_EEENS1_16TensorSizeStrideIS8_Lj4EEEiS8_,@function
_ZN2at6native12_GLOBAL__N_135CatArrayBatchedCopy_alignedK_contigINS1_10OpaqueTypeILj2EEEjLi1ELi128ELi1ELi8EEEvPT_NS1_25CatArrInputTensorMetadataIS5_T0_XT2_EXT3_EEENS1_16TensorSizeStrideIS8_Lj4EEEiS8_: ; @_ZN2at6native12_GLOBAL__N_135CatArrayBatchedCopy_alignedK_contigINS1_10OpaqueTypeILj2EEEjLi1ELi128ELi1ELi8EEEvPT_NS1_25CatArrInputTensorMetadataIS5_T0_XT2_EXT3_EEENS1_16TensorSizeStrideIS8_Lj4EEEiS8_
; %bb.0:
	s_mov_b32 s4, s3
	s_load_dword s3, s[0:1], 0xadc
	s_add_u32 s8, s0, 0xad0
	s_addc_u32 s9, s1, 0
	s_mov_b32 s5, 0
	s_waitcnt lgkmcnt(0)
	s_and_b32 s13, s3, 0xffff
	s_mul_i32 s6, s2, s13
	s_lshl_b64 s[2:3], s[4:5], 2
	s_add_u32 s4, s0, s2
	s_addc_u32 s5, s1, s3
	s_load_dword s10, s[4:5], 0x808
	v_add_u32_e32 v1, s6, v0
	v_lshlrev_b32_e32 v0, 2, v1
	s_add_u32 s4, s4, 8
	s_addc_u32 s5, s5, 0
	s_waitcnt lgkmcnt(0)
	v_cmp_gt_u32_e32 vcc, s10, v0
	s_and_saveexec_b64 s[6:7], vcc
	s_cbranch_execz .LBB22_8
; %bb.1:
	s_add_u32 s6, s4, s2
	s_addc_u32 s7, s5, s3
	s_sub_u32 s2, 0, s2
	s_subb_u32 s3, 0, s3
	s_add_u32 s14, s6, s2
	s_addc_u32 s15, s7, s3
	s_load_dword s12, s[14:15], 0x400
	s_load_dword s16, s[0:1], 0xacc
	s_load_dwordx2 s[2:3], s[0:1], 0x0
	s_load_dwordx2 s[4:5], s[6:7], 0x0
	s_load_dword s11, s[0:1], 0xab8
	v_add_u32_e32 v2, 4, v0
	s_mov_b64 s[0:1], 0
	s_waitcnt lgkmcnt(0)
	s_mul_i32 s12, s12, s16
	v_cmp_ge_u32_e32 vcc, s10, v2
	s_and_saveexec_b64 s[6:7], vcc
	s_cbranch_execz .LBB22_5
; %bb.2:
	s_load_dword s8, s[8:9], 0x0
	v_mul_lo_u32 v2, s11, v0
	v_add_u32_e32 v3, 2, v0
	v_add_u32_e32 v4, 3, v0
	v_mul_lo_u32 v1, s11, v1
	s_waitcnt lgkmcnt(0)
	s_mul_i32 s9, s8, s13
	s_lshl_b32 s8, s9, 2
	s_mul_i32 s9, s9, s11
	v_add_u32_e32 v2, s11, v2
	s_lshl_b32 s9, s9, 2
	v_mul_lo_u32 v3, s11, v3
	v_mul_lo_u32 v4, s11, v4
	v_lshlrev_b32_e32 v5, 2, v1
	v_mov_b32_e32 v1, 0
	s_mov_b32 s13, s12
.LBB22_3:                               ; =>This Inner Loop Header: Depth=1
	v_lshl_add_u64 v[6:7], v[0:1], 1, s[4:5]
	global_load_dwordx2 v[6:7], v[6:7], off
	v_add_u32_e32 v0, s8, v0
	v_add_u32_e32 v16, 4, v0
	;; [unrolled: 1-line block ×3, first 2 shown]
	v_mov_b32_e32 v9, v1
	v_add_u32_e32 v10, s13, v2
	v_add_u32_e32 v12, s13, v3
	;; [unrolled: 1-line block ×3, first 2 shown]
	s_add_i32 s13, s13, s9
	v_cmp_lt_u32_e32 vcc, s10, v16
	v_mov_b32_e32 v11, v1
	v_mov_b32_e32 v13, v1
	;; [unrolled: 1-line block ×3, first 2 shown]
	v_lshl_add_u64 v[8:9], v[8:9], 1, s[2:3]
	s_or_b64 s[0:1], vcc, s[0:1]
	v_lshl_add_u64 v[10:11], v[10:11], 1, s[2:3]
	v_lshl_add_u64 v[12:13], v[12:13], 1, s[2:3]
	v_lshl_add_u64 v[14:15], v[14:15], 1, s[2:3]
	s_waitcnt vmcnt(0)
	global_store_short v[8:9], v6, off
	global_store_short_d16_hi v[10:11], v6, off
	global_store_short v[12:13], v7, off
	global_store_short_d16_hi v[14:15], v7, off
	s_andn2_b64 exec, exec, s[0:1]
	s_cbranch_execnz .LBB22_3
; %bb.4:
	s_or_b64 exec, exec, s[0:1]
.LBB22_5:
	s_or_b64 exec, exec, s[6:7]
	v_cmp_gt_u32_e32 vcc, s10, v0
	s_and_b64 exec, exec, vcc
	s_cbranch_execz .LBB22_8
; %bb.6:
	v_mov_b32_e32 v3, 0
	v_mov_b32_e32 v1, v3
	v_lshl_add_u64 v[4:5], v[0:1], 1, s[4:5]
	v_mul_lo_u32 v1, v0, s11
	v_add_u32_e32 v2, s12, v1
	s_mov_b64 s[0:1], 0
.LBB22_7:                               ; =>This Inner Loop Header: Depth=1
	global_load_ushort v1, v[4:5], off
	v_add_u32_e32 v0, 1, v0
	v_cmp_le_u32_e32 vcc, s10, v0
	v_lshl_add_u64 v[6:7], v[2:3], 1, s[2:3]
	v_lshl_add_u64 v[4:5], v[4:5], 0, 2
	v_add_u32_e32 v2, s11, v2
	s_or_b64 s[0:1], vcc, s[0:1]
	s_waitcnt vmcnt(0)
	global_store_short v[6:7], v1, off
	s_andn2_b64 exec, exec, s[0:1]
	s_cbranch_execnz .LBB22_7
.LBB22_8:
	s_endpgm
	.section	.rodata,"a",@progbits
	.p2align	6, 0x0
	.amdhsa_kernel _ZN2at6native12_GLOBAL__N_135CatArrayBatchedCopy_alignedK_contigINS1_10OpaqueTypeILj2EEEjLi1ELi128ELi1ELi8EEEvPT_NS1_25CatArrInputTensorMetadataIS5_T0_XT2_EXT3_EEENS1_16TensorSizeStrideIS8_Lj4EEEiS8_
		.amdhsa_group_segment_fixed_size 0
		.amdhsa_private_segment_fixed_size 0
		.amdhsa_kernarg_size 3024
		.amdhsa_user_sgpr_count 2
		.amdhsa_user_sgpr_dispatch_ptr 0
		.amdhsa_user_sgpr_queue_ptr 0
		.amdhsa_user_sgpr_kernarg_segment_ptr 1
		.amdhsa_user_sgpr_dispatch_id 0
		.amdhsa_user_sgpr_kernarg_preload_length 0
		.amdhsa_user_sgpr_kernarg_preload_offset 0
		.amdhsa_user_sgpr_private_segment_size 0
		.amdhsa_uses_dynamic_stack 0
		.amdhsa_enable_private_segment 0
		.amdhsa_system_sgpr_workgroup_id_x 1
		.amdhsa_system_sgpr_workgroup_id_y 1
		.amdhsa_system_sgpr_workgroup_id_z 0
		.amdhsa_system_sgpr_workgroup_info 0
		.amdhsa_system_vgpr_workitem_id 0
		.amdhsa_next_free_vgpr 17
		.amdhsa_next_free_sgpr 17
		.amdhsa_accum_offset 20
		.amdhsa_reserve_vcc 1
		.amdhsa_float_round_mode_32 0
		.amdhsa_float_round_mode_16_64 0
		.amdhsa_float_denorm_mode_32 3
		.amdhsa_float_denorm_mode_16_64 3
		.amdhsa_dx10_clamp 1
		.amdhsa_ieee_mode 1
		.amdhsa_fp16_overflow 0
		.amdhsa_tg_split 0
		.amdhsa_exception_fp_ieee_invalid_op 0
		.amdhsa_exception_fp_denorm_src 0
		.amdhsa_exception_fp_ieee_div_zero 0
		.amdhsa_exception_fp_ieee_overflow 0
		.amdhsa_exception_fp_ieee_underflow 0
		.amdhsa_exception_fp_ieee_inexact 0
		.amdhsa_exception_int_div_zero 0
	.end_amdhsa_kernel
	.section	.text._ZN2at6native12_GLOBAL__N_135CatArrayBatchedCopy_alignedK_contigINS1_10OpaqueTypeILj2EEEjLi1ELi128ELi1ELi8EEEvPT_NS1_25CatArrInputTensorMetadataIS5_T0_XT2_EXT3_EEENS1_16TensorSizeStrideIS8_Lj4EEEiS8_,"axG",@progbits,_ZN2at6native12_GLOBAL__N_135CatArrayBatchedCopy_alignedK_contigINS1_10OpaqueTypeILj2EEEjLi1ELi128ELi1ELi8EEEvPT_NS1_25CatArrInputTensorMetadataIS5_T0_XT2_EXT3_EEENS1_16TensorSizeStrideIS8_Lj4EEEiS8_,comdat
.Lfunc_end22:
	.size	_ZN2at6native12_GLOBAL__N_135CatArrayBatchedCopy_alignedK_contigINS1_10OpaqueTypeILj2EEEjLi1ELi128ELi1ELi8EEEvPT_NS1_25CatArrInputTensorMetadataIS5_T0_XT2_EXT3_EEENS1_16TensorSizeStrideIS8_Lj4EEEiS8_, .Lfunc_end22-_ZN2at6native12_GLOBAL__N_135CatArrayBatchedCopy_alignedK_contigINS1_10OpaqueTypeILj2EEEjLi1ELi128ELi1ELi8EEEvPT_NS1_25CatArrInputTensorMetadataIS5_T0_XT2_EXT3_EEENS1_16TensorSizeStrideIS8_Lj4EEEiS8_
                                        ; -- End function
	.set _ZN2at6native12_GLOBAL__N_135CatArrayBatchedCopy_alignedK_contigINS1_10OpaqueTypeILj2EEEjLi1ELi128ELi1ELi8EEEvPT_NS1_25CatArrInputTensorMetadataIS5_T0_XT2_EXT3_EEENS1_16TensorSizeStrideIS8_Lj4EEEiS8_.num_vgpr, 17
	.set _ZN2at6native12_GLOBAL__N_135CatArrayBatchedCopy_alignedK_contigINS1_10OpaqueTypeILj2EEEjLi1ELi128ELi1ELi8EEEvPT_NS1_25CatArrInputTensorMetadataIS5_T0_XT2_EXT3_EEENS1_16TensorSizeStrideIS8_Lj4EEEiS8_.num_agpr, 0
	.set _ZN2at6native12_GLOBAL__N_135CatArrayBatchedCopy_alignedK_contigINS1_10OpaqueTypeILj2EEEjLi1ELi128ELi1ELi8EEEvPT_NS1_25CatArrInputTensorMetadataIS5_T0_XT2_EXT3_EEENS1_16TensorSizeStrideIS8_Lj4EEEiS8_.numbered_sgpr, 17
	.set _ZN2at6native12_GLOBAL__N_135CatArrayBatchedCopy_alignedK_contigINS1_10OpaqueTypeILj2EEEjLi1ELi128ELi1ELi8EEEvPT_NS1_25CatArrInputTensorMetadataIS5_T0_XT2_EXT3_EEENS1_16TensorSizeStrideIS8_Lj4EEEiS8_.num_named_barrier, 0
	.set _ZN2at6native12_GLOBAL__N_135CatArrayBatchedCopy_alignedK_contigINS1_10OpaqueTypeILj2EEEjLi1ELi128ELi1ELi8EEEvPT_NS1_25CatArrInputTensorMetadataIS5_T0_XT2_EXT3_EEENS1_16TensorSizeStrideIS8_Lj4EEEiS8_.private_seg_size, 0
	.set _ZN2at6native12_GLOBAL__N_135CatArrayBatchedCopy_alignedK_contigINS1_10OpaqueTypeILj2EEEjLi1ELi128ELi1ELi8EEEvPT_NS1_25CatArrInputTensorMetadataIS5_T0_XT2_EXT3_EEENS1_16TensorSizeStrideIS8_Lj4EEEiS8_.uses_vcc, 1
	.set _ZN2at6native12_GLOBAL__N_135CatArrayBatchedCopy_alignedK_contigINS1_10OpaqueTypeILj2EEEjLi1ELi128ELi1ELi8EEEvPT_NS1_25CatArrInputTensorMetadataIS5_T0_XT2_EXT3_EEENS1_16TensorSizeStrideIS8_Lj4EEEiS8_.uses_flat_scratch, 0
	.set _ZN2at6native12_GLOBAL__N_135CatArrayBatchedCopy_alignedK_contigINS1_10OpaqueTypeILj2EEEjLi1ELi128ELi1ELi8EEEvPT_NS1_25CatArrInputTensorMetadataIS5_T0_XT2_EXT3_EEENS1_16TensorSizeStrideIS8_Lj4EEEiS8_.has_dyn_sized_stack, 0
	.set _ZN2at6native12_GLOBAL__N_135CatArrayBatchedCopy_alignedK_contigINS1_10OpaqueTypeILj2EEEjLi1ELi128ELi1ELi8EEEvPT_NS1_25CatArrInputTensorMetadataIS5_T0_XT2_EXT3_EEENS1_16TensorSizeStrideIS8_Lj4EEEiS8_.has_recursion, 0
	.set _ZN2at6native12_GLOBAL__N_135CatArrayBatchedCopy_alignedK_contigINS1_10OpaqueTypeILj2EEEjLi1ELi128ELi1ELi8EEEvPT_NS1_25CatArrInputTensorMetadataIS5_T0_XT2_EXT3_EEENS1_16TensorSizeStrideIS8_Lj4EEEiS8_.has_indirect_call, 0
	.section	.AMDGPU.csdata,"",@progbits
; Kernel info:
; codeLenInByte = 532
; TotalNumSgprs: 23
; NumVgprs: 17
; NumAgprs: 0
; TotalNumVgprs: 17
; ScratchSize: 0
; MemoryBound: 0
; FloatMode: 240
; IeeeMode: 1
; LDSByteSize: 0 bytes/workgroup (compile time only)
; SGPRBlocks: 2
; VGPRBlocks: 2
; NumSGPRsForWavesPerEU: 23
; NumVGPRsForWavesPerEU: 17
; AccumOffset: 20
; Occupancy: 8
; WaveLimiterHint : 1
; COMPUTE_PGM_RSRC2:SCRATCH_EN: 0
; COMPUTE_PGM_RSRC2:USER_SGPR: 2
; COMPUTE_PGM_RSRC2:TRAP_HANDLER: 0
; COMPUTE_PGM_RSRC2:TGID_X_EN: 1
; COMPUTE_PGM_RSRC2:TGID_Y_EN: 1
; COMPUTE_PGM_RSRC2:TGID_Z_EN: 0
; COMPUTE_PGM_RSRC2:TIDIG_COMP_CNT: 0
; COMPUTE_PGM_RSRC3_GFX90A:ACCUM_OFFSET: 4
; COMPUTE_PGM_RSRC3_GFX90A:TG_SPLIT: 0
	.section	.text._ZN2at6native12_GLOBAL__N_126CatArrayBatchedCopy_contigINS1_10OpaqueTypeILj2EEEjLi1ELi128ELi1EEEvPT_NS1_25CatArrInputTensorMetadataIS5_T0_XT2_EXT3_EEENS1_16TensorSizeStrideIS8_Lj4EEEiS8_,"axG",@progbits,_ZN2at6native12_GLOBAL__N_126CatArrayBatchedCopy_contigINS1_10OpaqueTypeILj2EEEjLi1ELi128ELi1EEEvPT_NS1_25CatArrInputTensorMetadataIS5_T0_XT2_EXT3_EEENS1_16TensorSizeStrideIS8_Lj4EEEiS8_,comdat
	.globl	_ZN2at6native12_GLOBAL__N_126CatArrayBatchedCopy_contigINS1_10OpaqueTypeILj2EEEjLi1ELi128ELi1EEEvPT_NS1_25CatArrInputTensorMetadataIS5_T0_XT2_EXT3_EEENS1_16TensorSizeStrideIS8_Lj4EEEiS8_ ; -- Begin function _ZN2at6native12_GLOBAL__N_126CatArrayBatchedCopy_contigINS1_10OpaqueTypeILj2EEEjLi1ELi128ELi1EEEvPT_NS1_25CatArrInputTensorMetadataIS5_T0_XT2_EXT3_EEENS1_16TensorSizeStrideIS8_Lj4EEEiS8_
	.p2align	8
	.type	_ZN2at6native12_GLOBAL__N_126CatArrayBatchedCopy_contigINS1_10OpaqueTypeILj2EEEjLi1ELi128ELi1EEEvPT_NS1_25CatArrInputTensorMetadataIS5_T0_XT2_EXT3_EEENS1_16TensorSizeStrideIS8_Lj4EEEiS8_,@function
_ZN2at6native12_GLOBAL__N_126CatArrayBatchedCopy_contigINS1_10OpaqueTypeILj2EEEjLi1ELi128ELi1EEEvPT_NS1_25CatArrInputTensorMetadataIS5_T0_XT2_EXT3_EEENS1_16TensorSizeStrideIS8_Lj4EEEiS8_: ; @_ZN2at6native12_GLOBAL__N_126CatArrayBatchedCopy_contigINS1_10OpaqueTypeILj2EEEjLi1ELi128ELi1EEEvPT_NS1_25CatArrInputTensorMetadataIS5_T0_XT2_EXT3_EEENS1_16TensorSizeStrideIS8_Lj4EEEiS8_
; %bb.0:
	s_mov_b32 s6, s3
	s_load_dword s3, s[0:1], 0xadc
	s_add_u32 s4, s0, 0xad0
	s_mov_b32 s7, 0
	s_addc_u32 s5, s1, 0
	s_lshl_b64 s[6:7], s[6:7], 2
	s_waitcnt lgkmcnt(0)
	s_and_b32 s9, s3, 0xffff
	s_add_u32 s10, s0, s6
	s_addc_u32 s11, s1, s7
	s_load_dword s8, s[10:11], 0x808
	s_mul_i32 s2, s2, s9
	v_add_u32_e32 v0, s2, v0
	s_add_u32 s2, s10, 8
	s_addc_u32 s3, s11, 0
	s_waitcnt lgkmcnt(0)
	v_cmp_gt_u32_e32 vcc, s8, v0
	s_and_saveexec_b64 s[10:11], vcc
	s_cbranch_execz .LBB23_3
; %bb.1:
	s_add_u32 s10, s2, s6
	s_addc_u32 s11, s3, s7
	s_sub_u32 s2, 0, s6
	s_subb_u32 s3, 0, s7
	s_add_u32 s6, s10, s2
	s_load_dword s12, s[4:5], 0x0
	s_addc_u32 s7, s11, s3
	s_load_dword s13, s[6:7], 0x400
	s_load_dword s14, s[0:1], 0xacc
	s_load_dwordx2 s[2:3], s[10:11], 0x0
	s_load_dword s15, s[0:1], 0xab8
	s_load_dwordx2 s[4:5], s[0:1], 0x0
	s_mov_b64 s[0:1], 0
	s_waitcnt lgkmcnt(0)
	s_mul_i32 s13, s13, s14
	s_mul_i32 s6, s12, s9
	v_mul_lo_u32 v1, s15, v0
	v_add_u32_e32 v2, s13, v1
	s_mul_i32 s7, s6, s15
	v_mov_b32_e32 v1, 0
.LBB23_2:                               ; =>This Inner Loop Header: Depth=1
	v_lshl_add_u64 v[4:5], v[0:1], 1, s[2:3]
	global_load_ushort v6, v[4:5], off
	v_add_u32_e32 v0, s6, v0
	v_mov_b32_e32 v3, v1
	v_cmp_le_u32_e32 vcc, s8, v0
	v_lshl_add_u64 v[4:5], v[2:3], 1, s[4:5]
	v_add_u32_e32 v2, s7, v2
	s_or_b64 s[0:1], vcc, s[0:1]
	s_waitcnt vmcnt(0)
	global_store_short v[4:5], v6, off
	s_andn2_b64 exec, exec, s[0:1]
	s_cbranch_execnz .LBB23_2
.LBB23_3:
	s_endpgm
	.section	.rodata,"a",@progbits
	.p2align	6, 0x0
	.amdhsa_kernel _ZN2at6native12_GLOBAL__N_126CatArrayBatchedCopy_contigINS1_10OpaqueTypeILj2EEEjLi1ELi128ELi1EEEvPT_NS1_25CatArrInputTensorMetadataIS5_T0_XT2_EXT3_EEENS1_16TensorSizeStrideIS8_Lj4EEEiS8_
		.amdhsa_group_segment_fixed_size 0
		.amdhsa_private_segment_fixed_size 0
		.amdhsa_kernarg_size 3024
		.amdhsa_user_sgpr_count 2
		.amdhsa_user_sgpr_dispatch_ptr 0
		.amdhsa_user_sgpr_queue_ptr 0
		.amdhsa_user_sgpr_kernarg_segment_ptr 1
		.amdhsa_user_sgpr_dispatch_id 0
		.amdhsa_user_sgpr_kernarg_preload_length 0
		.amdhsa_user_sgpr_kernarg_preload_offset 0
		.amdhsa_user_sgpr_private_segment_size 0
		.amdhsa_uses_dynamic_stack 0
		.amdhsa_enable_private_segment 0
		.amdhsa_system_sgpr_workgroup_id_x 1
		.amdhsa_system_sgpr_workgroup_id_y 1
		.amdhsa_system_sgpr_workgroup_id_z 0
		.amdhsa_system_sgpr_workgroup_info 0
		.amdhsa_system_vgpr_workitem_id 0
		.amdhsa_next_free_vgpr 7
		.amdhsa_next_free_sgpr 16
		.amdhsa_accum_offset 8
		.amdhsa_reserve_vcc 1
		.amdhsa_float_round_mode_32 0
		.amdhsa_float_round_mode_16_64 0
		.amdhsa_float_denorm_mode_32 3
		.amdhsa_float_denorm_mode_16_64 3
		.amdhsa_dx10_clamp 1
		.amdhsa_ieee_mode 1
		.amdhsa_fp16_overflow 0
		.amdhsa_tg_split 0
		.amdhsa_exception_fp_ieee_invalid_op 0
		.amdhsa_exception_fp_denorm_src 0
		.amdhsa_exception_fp_ieee_div_zero 0
		.amdhsa_exception_fp_ieee_overflow 0
		.amdhsa_exception_fp_ieee_underflow 0
		.amdhsa_exception_fp_ieee_inexact 0
		.amdhsa_exception_int_div_zero 0
	.end_amdhsa_kernel
	.section	.text._ZN2at6native12_GLOBAL__N_126CatArrayBatchedCopy_contigINS1_10OpaqueTypeILj2EEEjLi1ELi128ELi1EEEvPT_NS1_25CatArrInputTensorMetadataIS5_T0_XT2_EXT3_EEENS1_16TensorSizeStrideIS8_Lj4EEEiS8_,"axG",@progbits,_ZN2at6native12_GLOBAL__N_126CatArrayBatchedCopy_contigINS1_10OpaqueTypeILj2EEEjLi1ELi128ELi1EEEvPT_NS1_25CatArrInputTensorMetadataIS5_T0_XT2_EXT3_EEENS1_16TensorSizeStrideIS8_Lj4EEEiS8_,comdat
.Lfunc_end23:
	.size	_ZN2at6native12_GLOBAL__N_126CatArrayBatchedCopy_contigINS1_10OpaqueTypeILj2EEEjLi1ELi128ELi1EEEvPT_NS1_25CatArrInputTensorMetadataIS5_T0_XT2_EXT3_EEENS1_16TensorSizeStrideIS8_Lj4EEEiS8_, .Lfunc_end23-_ZN2at6native12_GLOBAL__N_126CatArrayBatchedCopy_contigINS1_10OpaqueTypeILj2EEEjLi1ELi128ELi1EEEvPT_NS1_25CatArrInputTensorMetadataIS5_T0_XT2_EXT3_EEENS1_16TensorSizeStrideIS8_Lj4EEEiS8_
                                        ; -- End function
	.set _ZN2at6native12_GLOBAL__N_126CatArrayBatchedCopy_contigINS1_10OpaqueTypeILj2EEEjLi1ELi128ELi1EEEvPT_NS1_25CatArrInputTensorMetadataIS5_T0_XT2_EXT3_EEENS1_16TensorSizeStrideIS8_Lj4EEEiS8_.num_vgpr, 7
	.set _ZN2at6native12_GLOBAL__N_126CatArrayBatchedCopy_contigINS1_10OpaqueTypeILj2EEEjLi1ELi128ELi1EEEvPT_NS1_25CatArrInputTensorMetadataIS5_T0_XT2_EXT3_EEENS1_16TensorSizeStrideIS8_Lj4EEEiS8_.num_agpr, 0
	.set _ZN2at6native12_GLOBAL__N_126CatArrayBatchedCopy_contigINS1_10OpaqueTypeILj2EEEjLi1ELi128ELi1EEEvPT_NS1_25CatArrInputTensorMetadataIS5_T0_XT2_EXT3_EEENS1_16TensorSizeStrideIS8_Lj4EEEiS8_.numbered_sgpr, 16
	.set _ZN2at6native12_GLOBAL__N_126CatArrayBatchedCopy_contigINS1_10OpaqueTypeILj2EEEjLi1ELi128ELi1EEEvPT_NS1_25CatArrInputTensorMetadataIS5_T0_XT2_EXT3_EEENS1_16TensorSizeStrideIS8_Lj4EEEiS8_.num_named_barrier, 0
	.set _ZN2at6native12_GLOBAL__N_126CatArrayBatchedCopy_contigINS1_10OpaqueTypeILj2EEEjLi1ELi128ELi1EEEvPT_NS1_25CatArrInputTensorMetadataIS5_T0_XT2_EXT3_EEENS1_16TensorSizeStrideIS8_Lj4EEEiS8_.private_seg_size, 0
	.set _ZN2at6native12_GLOBAL__N_126CatArrayBatchedCopy_contigINS1_10OpaqueTypeILj2EEEjLi1ELi128ELi1EEEvPT_NS1_25CatArrInputTensorMetadataIS5_T0_XT2_EXT3_EEENS1_16TensorSizeStrideIS8_Lj4EEEiS8_.uses_vcc, 1
	.set _ZN2at6native12_GLOBAL__N_126CatArrayBatchedCopy_contigINS1_10OpaqueTypeILj2EEEjLi1ELi128ELi1EEEvPT_NS1_25CatArrInputTensorMetadataIS5_T0_XT2_EXT3_EEENS1_16TensorSizeStrideIS8_Lj4EEEiS8_.uses_flat_scratch, 0
	.set _ZN2at6native12_GLOBAL__N_126CatArrayBatchedCopy_contigINS1_10OpaqueTypeILj2EEEjLi1ELi128ELi1EEEvPT_NS1_25CatArrInputTensorMetadataIS5_T0_XT2_EXT3_EEENS1_16TensorSizeStrideIS8_Lj4EEEiS8_.has_dyn_sized_stack, 0
	.set _ZN2at6native12_GLOBAL__N_126CatArrayBatchedCopy_contigINS1_10OpaqueTypeILj2EEEjLi1ELi128ELi1EEEvPT_NS1_25CatArrInputTensorMetadataIS5_T0_XT2_EXT3_EEENS1_16TensorSizeStrideIS8_Lj4EEEiS8_.has_recursion, 0
	.set _ZN2at6native12_GLOBAL__N_126CatArrayBatchedCopy_contigINS1_10OpaqueTypeILj2EEEjLi1ELi128ELi1EEEvPT_NS1_25CatArrInputTensorMetadataIS5_T0_XT2_EXT3_EEENS1_16TensorSizeStrideIS8_Lj4EEEiS8_.has_indirect_call, 0
	.section	.AMDGPU.csdata,"",@progbits
; Kernel info:
; codeLenInByte = 268
; TotalNumSgprs: 22
; NumVgprs: 7
; NumAgprs: 0
; TotalNumVgprs: 7
; ScratchSize: 0
; MemoryBound: 0
; FloatMode: 240
; IeeeMode: 1
; LDSByteSize: 0 bytes/workgroup (compile time only)
; SGPRBlocks: 2
; VGPRBlocks: 0
; NumSGPRsForWavesPerEU: 22
; NumVGPRsForWavesPerEU: 7
; AccumOffset: 8
; Occupancy: 8
; WaveLimiterHint : 1
; COMPUTE_PGM_RSRC2:SCRATCH_EN: 0
; COMPUTE_PGM_RSRC2:USER_SGPR: 2
; COMPUTE_PGM_RSRC2:TRAP_HANDLER: 0
; COMPUTE_PGM_RSRC2:TGID_X_EN: 1
; COMPUTE_PGM_RSRC2:TGID_Y_EN: 1
; COMPUTE_PGM_RSRC2:TGID_Z_EN: 0
; COMPUTE_PGM_RSRC2:TIDIG_COMP_CNT: 0
; COMPUTE_PGM_RSRC3_GFX90A:ACCUM_OFFSET: 1
; COMPUTE_PGM_RSRC3_GFX90A:TG_SPLIT: 0
	.section	.text._ZN2at6native12_GLOBAL__N_119CatArrayBatchedCopyINS1_10OpaqueTypeILj2EEEjLi1ELi128ELi1EEEvPT_NS1_25CatArrInputTensorMetadataIS5_T0_XT2_EXT3_EEENS1_16TensorSizeStrideIS8_Lj4EEEiS8_,"axG",@progbits,_ZN2at6native12_GLOBAL__N_119CatArrayBatchedCopyINS1_10OpaqueTypeILj2EEEjLi1ELi128ELi1EEEvPT_NS1_25CatArrInputTensorMetadataIS5_T0_XT2_EXT3_EEENS1_16TensorSizeStrideIS8_Lj4EEEiS8_,comdat
	.globl	_ZN2at6native12_GLOBAL__N_119CatArrayBatchedCopyINS1_10OpaqueTypeILj2EEEjLi1ELi128ELi1EEEvPT_NS1_25CatArrInputTensorMetadataIS5_T0_XT2_EXT3_EEENS1_16TensorSizeStrideIS8_Lj4EEEiS8_ ; -- Begin function _ZN2at6native12_GLOBAL__N_119CatArrayBatchedCopyINS1_10OpaqueTypeILj2EEEjLi1ELi128ELi1EEEvPT_NS1_25CatArrInputTensorMetadataIS5_T0_XT2_EXT3_EEENS1_16TensorSizeStrideIS8_Lj4EEEiS8_
	.p2align	8
	.type	_ZN2at6native12_GLOBAL__N_119CatArrayBatchedCopyINS1_10OpaqueTypeILj2EEEjLi1ELi128ELi1EEEvPT_NS1_25CatArrInputTensorMetadataIS5_T0_XT2_EXT3_EEENS1_16TensorSizeStrideIS8_Lj4EEEiS8_,@function
_ZN2at6native12_GLOBAL__N_119CatArrayBatchedCopyINS1_10OpaqueTypeILj2EEEjLi1ELi128ELi1EEEvPT_NS1_25CatArrInputTensorMetadataIS5_T0_XT2_EXT3_EEENS1_16TensorSizeStrideIS8_Lj4EEEiS8_: ; @_ZN2at6native12_GLOBAL__N_119CatArrayBatchedCopyINS1_10OpaqueTypeILj2EEEjLi1ELi128ELi1EEEvPT_NS1_25CatArrInputTensorMetadataIS5_T0_XT2_EXT3_EEENS1_16TensorSizeStrideIS8_Lj4EEEiS8_
; %bb.0:
	s_mov_b32 s4, s3
	s_load_dword s3, s[0:1], 0xadc
	s_or_b32 s10, s0, 8
	s_add_u32 s8, s0, 0xad0
	s_mov_b32 s5, 0
	s_addc_u32 s9, s1, 0
	s_waitcnt lgkmcnt(0)
	s_and_b32 s13, s3, 0xffff
	s_lshl_b64 s[6:7], s[4:5], 2
	s_add_u32 s14, s10, s6
	s_addc_u32 s15, s1, s7
	s_load_dword s12, s[14:15], 0x800
	s_mul_i32 s2, s2, s13
	v_add_u32_e32 v4, s2, v0
	s_waitcnt lgkmcnt(0)
	v_cmp_gt_u32_e32 vcc, s12, v4
	s_and_saveexec_b64 s[2:3], vcc
	s_cbranch_execz .LBB24_3
; %bb.1:
	s_add_u32 s14, s10, s4
	s_addc_u32 s15, s1, 0
	v_mov_b32_e32 v1, 0
	global_load_ubyte v0, v1, s[14:15] offset:2560
	s_mov_b32 s11, s1
	s_load_dword s5, s[8:9], 0x0
	s_load_dwordx2 s[2:3], s[0:1], 0x0
	s_load_dword s16, s[0:1], 0xacc
	s_load_dword s17, s[10:11], 0xa90
	;; [unrolled: 1-line block ×3, first 2 shown]
	s_waitcnt lgkmcnt(0)
	s_mul_i32 s8, s5, s13
	s_mul_hi_u32 s9, s4, 7
	s_mul_i32 s4, s4, 7
	s_mov_b64 s[0:1], 0
	v_mul_lo_u32 v2, s18, v4
	s_waitcnt vmcnt(0)
	v_readfirstlane_b32 s5, v0
	s_and_b32 s13, 1, s5
	s_add_u32 s10, s14, s4
	s_addc_u32 s11, s15, s9
	s_sub_u32 s4, 0, s6
	s_subb_u32 s5, 0, s7
	s_add_u32 s6, s10, s4
	s_addc_u32 s7, s11, s5
	s_load_dwordx2 s[4:5], s[10:11], 0x0
	s_load_dword s9, s[6:7], 0x400
	s_cmp_eq_u32 s13, 1
	s_cselect_b32 s6, 1, s17
	v_mul_lo_u32 v0, s6, v4
	s_mul_i32 s6, s8, s6
	s_waitcnt lgkmcnt(0)
	s_mul_i32 s9, s9, s16
	v_add_u32_e32 v2, s9, v2
	s_mul_i32 s7, s8, s18
.LBB24_2:                               ; =>This Inner Loop Header: Depth=1
	v_lshl_add_u64 v[6:7], v[0:1], 1, s[4:5]
	global_load_ushort v5, v[6:7], off
	v_add_u32_e32 v4, s8, v4
	v_mov_b32_e32 v3, v1
	v_cmp_le_u32_e32 vcc, s12, v4
	v_add_u32_e32 v0, s6, v0
	v_lshl_add_u64 v[6:7], v[2:3], 1, s[2:3]
	v_add_u32_e32 v2, s7, v2
	s_or_b64 s[0:1], vcc, s[0:1]
	s_waitcnt vmcnt(0)
	global_store_short v[6:7], v5, off
	s_andn2_b64 exec, exec, s[0:1]
	s_cbranch_execnz .LBB24_2
.LBB24_3:
	s_endpgm
	.section	.rodata,"a",@progbits
	.p2align	6, 0x0
	.amdhsa_kernel _ZN2at6native12_GLOBAL__N_119CatArrayBatchedCopyINS1_10OpaqueTypeILj2EEEjLi1ELi128ELi1EEEvPT_NS1_25CatArrInputTensorMetadataIS5_T0_XT2_EXT3_EEENS1_16TensorSizeStrideIS8_Lj4EEEiS8_
		.amdhsa_group_segment_fixed_size 0
		.amdhsa_private_segment_fixed_size 0
		.amdhsa_kernarg_size 3024
		.amdhsa_user_sgpr_count 2
		.amdhsa_user_sgpr_dispatch_ptr 0
		.amdhsa_user_sgpr_queue_ptr 0
		.amdhsa_user_sgpr_kernarg_segment_ptr 1
		.amdhsa_user_sgpr_dispatch_id 0
		.amdhsa_user_sgpr_kernarg_preload_length 0
		.amdhsa_user_sgpr_kernarg_preload_offset 0
		.amdhsa_user_sgpr_private_segment_size 0
		.amdhsa_uses_dynamic_stack 0
		.amdhsa_enable_private_segment 0
		.amdhsa_system_sgpr_workgroup_id_x 1
		.amdhsa_system_sgpr_workgroup_id_y 1
		.amdhsa_system_sgpr_workgroup_id_z 0
		.amdhsa_system_sgpr_workgroup_info 0
		.amdhsa_system_vgpr_workitem_id 0
		.amdhsa_next_free_vgpr 8
		.amdhsa_next_free_sgpr 19
		.amdhsa_accum_offset 8
		.amdhsa_reserve_vcc 1
		.amdhsa_float_round_mode_32 0
		.amdhsa_float_round_mode_16_64 0
		.amdhsa_float_denorm_mode_32 3
		.amdhsa_float_denorm_mode_16_64 3
		.amdhsa_dx10_clamp 1
		.amdhsa_ieee_mode 1
		.amdhsa_fp16_overflow 0
		.amdhsa_tg_split 0
		.amdhsa_exception_fp_ieee_invalid_op 0
		.amdhsa_exception_fp_denorm_src 0
		.amdhsa_exception_fp_ieee_div_zero 0
		.amdhsa_exception_fp_ieee_overflow 0
		.amdhsa_exception_fp_ieee_underflow 0
		.amdhsa_exception_fp_ieee_inexact 0
		.amdhsa_exception_int_div_zero 0
	.end_amdhsa_kernel
	.section	.text._ZN2at6native12_GLOBAL__N_119CatArrayBatchedCopyINS1_10OpaqueTypeILj2EEEjLi1ELi128ELi1EEEvPT_NS1_25CatArrInputTensorMetadataIS5_T0_XT2_EXT3_EEENS1_16TensorSizeStrideIS8_Lj4EEEiS8_,"axG",@progbits,_ZN2at6native12_GLOBAL__N_119CatArrayBatchedCopyINS1_10OpaqueTypeILj2EEEjLi1ELi128ELi1EEEvPT_NS1_25CatArrInputTensorMetadataIS5_T0_XT2_EXT3_EEENS1_16TensorSizeStrideIS8_Lj4EEEiS8_,comdat
.Lfunc_end24:
	.size	_ZN2at6native12_GLOBAL__N_119CatArrayBatchedCopyINS1_10OpaqueTypeILj2EEEjLi1ELi128ELi1EEEvPT_NS1_25CatArrInputTensorMetadataIS5_T0_XT2_EXT3_EEENS1_16TensorSizeStrideIS8_Lj4EEEiS8_, .Lfunc_end24-_ZN2at6native12_GLOBAL__N_119CatArrayBatchedCopyINS1_10OpaqueTypeILj2EEEjLi1ELi128ELi1EEEvPT_NS1_25CatArrInputTensorMetadataIS5_T0_XT2_EXT3_EEENS1_16TensorSizeStrideIS8_Lj4EEEiS8_
                                        ; -- End function
	.set _ZN2at6native12_GLOBAL__N_119CatArrayBatchedCopyINS1_10OpaqueTypeILj2EEEjLi1ELi128ELi1EEEvPT_NS1_25CatArrInputTensorMetadataIS5_T0_XT2_EXT3_EEENS1_16TensorSizeStrideIS8_Lj4EEEiS8_.num_vgpr, 8
	.set _ZN2at6native12_GLOBAL__N_119CatArrayBatchedCopyINS1_10OpaqueTypeILj2EEEjLi1ELi128ELi1EEEvPT_NS1_25CatArrInputTensorMetadataIS5_T0_XT2_EXT3_EEENS1_16TensorSizeStrideIS8_Lj4EEEiS8_.num_agpr, 0
	.set _ZN2at6native12_GLOBAL__N_119CatArrayBatchedCopyINS1_10OpaqueTypeILj2EEEjLi1ELi128ELi1EEEvPT_NS1_25CatArrInputTensorMetadataIS5_T0_XT2_EXT3_EEENS1_16TensorSizeStrideIS8_Lj4EEEiS8_.numbered_sgpr, 19
	.set _ZN2at6native12_GLOBAL__N_119CatArrayBatchedCopyINS1_10OpaqueTypeILj2EEEjLi1ELi128ELi1EEEvPT_NS1_25CatArrInputTensorMetadataIS5_T0_XT2_EXT3_EEENS1_16TensorSizeStrideIS8_Lj4EEEiS8_.num_named_barrier, 0
	.set _ZN2at6native12_GLOBAL__N_119CatArrayBatchedCopyINS1_10OpaqueTypeILj2EEEjLi1ELi128ELi1EEEvPT_NS1_25CatArrInputTensorMetadataIS5_T0_XT2_EXT3_EEENS1_16TensorSizeStrideIS8_Lj4EEEiS8_.private_seg_size, 0
	.set _ZN2at6native12_GLOBAL__N_119CatArrayBatchedCopyINS1_10OpaqueTypeILj2EEEjLi1ELi128ELi1EEEvPT_NS1_25CatArrInputTensorMetadataIS5_T0_XT2_EXT3_EEENS1_16TensorSizeStrideIS8_Lj4EEEiS8_.uses_vcc, 1
	.set _ZN2at6native12_GLOBAL__N_119CatArrayBatchedCopyINS1_10OpaqueTypeILj2EEEjLi1ELi128ELi1EEEvPT_NS1_25CatArrInputTensorMetadataIS5_T0_XT2_EXT3_EEENS1_16TensorSizeStrideIS8_Lj4EEEiS8_.uses_flat_scratch, 0
	.set _ZN2at6native12_GLOBAL__N_119CatArrayBatchedCopyINS1_10OpaqueTypeILj2EEEjLi1ELi128ELi1EEEvPT_NS1_25CatArrInputTensorMetadataIS5_T0_XT2_EXT3_EEENS1_16TensorSizeStrideIS8_Lj4EEEiS8_.has_dyn_sized_stack, 0
	.set _ZN2at6native12_GLOBAL__N_119CatArrayBatchedCopyINS1_10OpaqueTypeILj2EEEjLi1ELi128ELi1EEEvPT_NS1_25CatArrInputTensorMetadataIS5_T0_XT2_EXT3_EEENS1_16TensorSizeStrideIS8_Lj4EEEiS8_.has_recursion, 0
	.set _ZN2at6native12_GLOBAL__N_119CatArrayBatchedCopyINS1_10OpaqueTypeILj2EEEjLi1ELi128ELi1EEEvPT_NS1_25CatArrInputTensorMetadataIS5_T0_XT2_EXT3_EEENS1_16TensorSizeStrideIS8_Lj4EEEiS8_.has_indirect_call, 0
	.section	.AMDGPU.csdata,"",@progbits
; Kernel info:
; codeLenInByte = 340
; TotalNumSgprs: 25
; NumVgprs: 8
; NumAgprs: 0
; TotalNumVgprs: 8
; ScratchSize: 0
; MemoryBound: 0
; FloatMode: 240
; IeeeMode: 1
; LDSByteSize: 0 bytes/workgroup (compile time only)
; SGPRBlocks: 3
; VGPRBlocks: 0
; NumSGPRsForWavesPerEU: 25
; NumVGPRsForWavesPerEU: 8
; AccumOffset: 8
; Occupancy: 8
; WaveLimiterHint : 1
; COMPUTE_PGM_RSRC2:SCRATCH_EN: 0
; COMPUTE_PGM_RSRC2:USER_SGPR: 2
; COMPUTE_PGM_RSRC2:TRAP_HANDLER: 0
; COMPUTE_PGM_RSRC2:TGID_X_EN: 1
; COMPUTE_PGM_RSRC2:TGID_Y_EN: 1
; COMPUTE_PGM_RSRC2:TGID_Z_EN: 0
; COMPUTE_PGM_RSRC2:TIDIG_COMP_CNT: 0
; COMPUTE_PGM_RSRC3_GFX90A:ACCUM_OFFSET: 1
; COMPUTE_PGM_RSRC3_GFX90A:TG_SPLIT: 0
	.section	.text._ZN2at6native12_GLOBAL__N_130CatArrayBatchedCopy_vectorizedINS1_10OpaqueTypeILj2EEEjLi2ELi128ELi1ELi16ELi8EEEvPcNS1_25CatArrInputTensorMetadataIT_T0_XT2_EXT3_EEENS1_16TensorSizeStrideIS8_Lj4EEEiS8_,"axG",@progbits,_ZN2at6native12_GLOBAL__N_130CatArrayBatchedCopy_vectorizedINS1_10OpaqueTypeILj2EEEjLi2ELi128ELi1ELi16ELi8EEEvPcNS1_25CatArrInputTensorMetadataIT_T0_XT2_EXT3_EEENS1_16TensorSizeStrideIS8_Lj4EEEiS8_,comdat
	.globl	_ZN2at6native12_GLOBAL__N_130CatArrayBatchedCopy_vectorizedINS1_10OpaqueTypeILj2EEEjLi2ELi128ELi1ELi16ELi8EEEvPcNS1_25CatArrInputTensorMetadataIT_T0_XT2_EXT3_EEENS1_16TensorSizeStrideIS8_Lj4EEEiS8_ ; -- Begin function _ZN2at6native12_GLOBAL__N_130CatArrayBatchedCopy_vectorizedINS1_10OpaqueTypeILj2EEEjLi2ELi128ELi1ELi16ELi8EEEvPcNS1_25CatArrInputTensorMetadataIT_T0_XT2_EXT3_EEENS1_16TensorSizeStrideIS8_Lj4EEEiS8_
	.p2align	8
	.type	_ZN2at6native12_GLOBAL__N_130CatArrayBatchedCopy_vectorizedINS1_10OpaqueTypeILj2EEEjLi2ELi128ELi1ELi16ELi8EEEvPcNS1_25CatArrInputTensorMetadataIT_T0_XT2_EXT3_EEENS1_16TensorSizeStrideIS8_Lj4EEEiS8_,@function
_ZN2at6native12_GLOBAL__N_130CatArrayBatchedCopy_vectorizedINS1_10OpaqueTypeILj2EEEjLi2ELi128ELi1ELi16ELi8EEEvPcNS1_25CatArrInputTensorMetadataIT_T0_XT2_EXT3_EEENS1_16TensorSizeStrideIS8_Lj4EEEiS8_: ; @_ZN2at6native12_GLOBAL__N_130CatArrayBatchedCopy_vectorizedINS1_10OpaqueTypeILj2EEEjLi2ELi128ELi1ELi16ELi8EEEvPcNS1_25CatArrInputTensorMetadataIT_T0_XT2_EXT3_EEENS1_16TensorSizeStrideIS8_Lj4EEEiS8_
; %bb.0:
	s_mov_b32 s6, s3
	s_load_dword s3, s[0:1], 0xadc
	s_add_u32 s4, s0, 0xad0
	s_mov_b32 s7, 0
	s_addc_u32 s5, s1, 0
	s_lshl_b64 s[8:9], s[6:7], 2
	s_waitcnt lgkmcnt(0)
	s_and_b32 s11, s3, 0xffff
	s_add_u32 s12, s0, s8
	s_addc_u32 s13, s1, s9
	s_load_dword s6, s[12:13], 0x808
	s_mul_i32 s2, s2, s11
	v_add_u32_e32 v0, s2, v0
	s_add_u32 s2, s12, 8
	s_addc_u32 s3, s13, 0
	s_waitcnt lgkmcnt(0)
	s_lshr_b32 s10, s6, 3
	v_cmp_gt_u32_e32 vcc, s10, v0
	s_and_saveexec_b64 s[12:13], vcc
	s_cbranch_execz .LBB25_3
; %bb.1:
	s_add_u32 s14, s2, s8
	s_addc_u32 s15, s3, s9
	s_sub_u32 s2, 0, s8
	s_load_dwordx2 s[12:13], s[0:1], 0xac8
	s_subb_u32 s3, 0, s9
	s_add_u32 s8, s14, s2
	s_addc_u32 s9, s15, s3
	s_load_dword s6, s[8:9], 0x400
	s_load_dword s16, s[8:9], 0x600
	s_load_dwordx2 s[2:3], s[0:1], 0xab8
	s_load_dword s17, s[0:1], 0xaac
	s_waitcnt lgkmcnt(0)
	s_mul_i32 s6, s6, s13
	s_lshr_b32 s6, s6, 3
	s_mul_i32 s16, s16, s13
	s_lshr_b32 s8, s16, 3
	s_lshl_b64 s[6:7], s[6:7], 4
	s_cmp_eq_u32 s12, 1
	s_cselect_b32 s8, s8, s17
	v_cvt_f32_u32_e32 v1, s8
	s_load_dword s9, s[4:5], 0x0
	s_load_dwordx2 s[12:13], s[0:1], 0x0
	s_mov_b64 s[4:5], 0
	s_load_dwordx2 s[0:1], s[14:15], 0x0
	v_rcp_iflag_f32_e32 v1, v1
	s_waitcnt lgkmcnt(0)
	s_mul_i32 s9, s9, s11
	s_add_u32 s6, s12, s6
	s_addc_u32 s7, s13, s7
	v_mul_f32_e32 v1, 0x4f7ffffe, v1
	v_cvt_u32_f32_e32 v1, v1
	s_sub_i32 s11, 0, s8
	v_mul_lo_u32 v2, s11, v1
	v_mul_hi_u32 v2, v1, v2
	v_add_u32_e32 v2, v1, v2
	v_mov_b32_e32 v1, 0
.LBB25_2:                               ; =>This Inner Loop Header: Depth=1
	v_lshl_add_u64 v[4:5], v[0:1], 4, s[0:1]
	global_load_dwordx4 v[4:7], v[4:5], off
	v_mul_hi_u32 v3, v2, v0
	v_mul_lo_u32 v8, s8, v3
	v_not_b32_e32 v9, v3
	v_sub_u32_e32 v11, v0, v8
	v_add_u32_e32 v10, 1, v3
	v_mad_u64_u32 v[8:9], s[12:13], s8, v9, v[0:1]
	v_cmp_le_u32_e32 vcc, s8, v11
	s_nop 1
	v_cndmask_b32_e32 v3, v3, v10, vcc
	v_cndmask_b32_e32 v8, v11, v8, vcc
	v_add_u32_e32 v9, 1, v3
	v_cmp_le_u32_e32 vcc, s8, v8
	s_nop 1
	v_cndmask_b32_e32 v3, v3, v9, vcc
	v_mad_u64_u32 v[8:9], s[12:13], s11, v3, v[0:1]
	v_mul_lo_u32 v10, v3, s2
	v_add_u32_e32 v0, s9, v0
	v_mad_u64_u32 v[8:9], s[12:13], v8, s3, v[10:11]
	v_cmp_le_u32_e32 vcc, s10, v0
	v_mov_b32_e32 v9, v1
	s_or_b64 s[4:5], vcc, s[4:5]
	v_lshl_add_u64 v[8:9], v[8:9], 4, s[6:7]
	s_waitcnt vmcnt(0)
	global_store_dwordx4 v[8:9], v[4:7], off
	s_andn2_b64 exec, exec, s[4:5]
	s_cbranch_execnz .LBB25_2
.LBB25_3:
	s_endpgm
	.section	.rodata,"a",@progbits
	.p2align	6, 0x0
	.amdhsa_kernel _ZN2at6native12_GLOBAL__N_130CatArrayBatchedCopy_vectorizedINS1_10OpaqueTypeILj2EEEjLi2ELi128ELi1ELi16ELi8EEEvPcNS1_25CatArrInputTensorMetadataIT_T0_XT2_EXT3_EEENS1_16TensorSizeStrideIS8_Lj4EEEiS8_
		.amdhsa_group_segment_fixed_size 0
		.amdhsa_private_segment_fixed_size 0
		.amdhsa_kernarg_size 3024
		.amdhsa_user_sgpr_count 2
		.amdhsa_user_sgpr_dispatch_ptr 0
		.amdhsa_user_sgpr_queue_ptr 0
		.amdhsa_user_sgpr_kernarg_segment_ptr 1
		.amdhsa_user_sgpr_dispatch_id 0
		.amdhsa_user_sgpr_kernarg_preload_length 0
		.amdhsa_user_sgpr_kernarg_preload_offset 0
		.amdhsa_user_sgpr_private_segment_size 0
		.amdhsa_uses_dynamic_stack 0
		.amdhsa_enable_private_segment 0
		.amdhsa_system_sgpr_workgroup_id_x 1
		.amdhsa_system_sgpr_workgroup_id_y 1
		.amdhsa_system_sgpr_workgroup_id_z 0
		.amdhsa_system_sgpr_workgroup_info 0
		.amdhsa_system_vgpr_workitem_id 0
		.amdhsa_next_free_vgpr 12
		.amdhsa_next_free_sgpr 18
		.amdhsa_accum_offset 12
		.amdhsa_reserve_vcc 1
		.amdhsa_float_round_mode_32 0
		.amdhsa_float_round_mode_16_64 0
		.amdhsa_float_denorm_mode_32 3
		.amdhsa_float_denorm_mode_16_64 3
		.amdhsa_dx10_clamp 1
		.amdhsa_ieee_mode 1
		.amdhsa_fp16_overflow 0
		.amdhsa_tg_split 0
		.amdhsa_exception_fp_ieee_invalid_op 0
		.amdhsa_exception_fp_denorm_src 0
		.amdhsa_exception_fp_ieee_div_zero 0
		.amdhsa_exception_fp_ieee_overflow 0
		.amdhsa_exception_fp_ieee_underflow 0
		.amdhsa_exception_fp_ieee_inexact 0
		.amdhsa_exception_int_div_zero 0
	.end_amdhsa_kernel
	.section	.text._ZN2at6native12_GLOBAL__N_130CatArrayBatchedCopy_vectorizedINS1_10OpaqueTypeILj2EEEjLi2ELi128ELi1ELi16ELi8EEEvPcNS1_25CatArrInputTensorMetadataIT_T0_XT2_EXT3_EEENS1_16TensorSizeStrideIS8_Lj4EEEiS8_,"axG",@progbits,_ZN2at6native12_GLOBAL__N_130CatArrayBatchedCopy_vectorizedINS1_10OpaqueTypeILj2EEEjLi2ELi128ELi1ELi16ELi8EEEvPcNS1_25CatArrInputTensorMetadataIT_T0_XT2_EXT3_EEENS1_16TensorSizeStrideIS8_Lj4EEEiS8_,comdat
.Lfunc_end25:
	.size	_ZN2at6native12_GLOBAL__N_130CatArrayBatchedCopy_vectorizedINS1_10OpaqueTypeILj2EEEjLi2ELi128ELi1ELi16ELi8EEEvPcNS1_25CatArrInputTensorMetadataIT_T0_XT2_EXT3_EEENS1_16TensorSizeStrideIS8_Lj4EEEiS8_, .Lfunc_end25-_ZN2at6native12_GLOBAL__N_130CatArrayBatchedCopy_vectorizedINS1_10OpaqueTypeILj2EEEjLi2ELi128ELi1ELi16ELi8EEEvPcNS1_25CatArrInputTensorMetadataIT_T0_XT2_EXT3_EEENS1_16TensorSizeStrideIS8_Lj4EEEiS8_
                                        ; -- End function
	.set _ZN2at6native12_GLOBAL__N_130CatArrayBatchedCopy_vectorizedINS1_10OpaqueTypeILj2EEEjLi2ELi128ELi1ELi16ELi8EEEvPcNS1_25CatArrInputTensorMetadataIT_T0_XT2_EXT3_EEENS1_16TensorSizeStrideIS8_Lj4EEEiS8_.num_vgpr, 12
	.set _ZN2at6native12_GLOBAL__N_130CatArrayBatchedCopy_vectorizedINS1_10OpaqueTypeILj2EEEjLi2ELi128ELi1ELi16ELi8EEEvPcNS1_25CatArrInputTensorMetadataIT_T0_XT2_EXT3_EEENS1_16TensorSizeStrideIS8_Lj4EEEiS8_.num_agpr, 0
	.set _ZN2at6native12_GLOBAL__N_130CatArrayBatchedCopy_vectorizedINS1_10OpaqueTypeILj2EEEjLi2ELi128ELi1ELi16ELi8EEEvPcNS1_25CatArrInputTensorMetadataIT_T0_XT2_EXT3_EEENS1_16TensorSizeStrideIS8_Lj4EEEiS8_.numbered_sgpr, 18
	.set _ZN2at6native12_GLOBAL__N_130CatArrayBatchedCopy_vectorizedINS1_10OpaqueTypeILj2EEEjLi2ELi128ELi1ELi16ELi8EEEvPcNS1_25CatArrInputTensorMetadataIT_T0_XT2_EXT3_EEENS1_16TensorSizeStrideIS8_Lj4EEEiS8_.num_named_barrier, 0
	.set _ZN2at6native12_GLOBAL__N_130CatArrayBatchedCopy_vectorizedINS1_10OpaqueTypeILj2EEEjLi2ELi128ELi1ELi16ELi8EEEvPcNS1_25CatArrInputTensorMetadataIT_T0_XT2_EXT3_EEENS1_16TensorSizeStrideIS8_Lj4EEEiS8_.private_seg_size, 0
	.set _ZN2at6native12_GLOBAL__N_130CatArrayBatchedCopy_vectorizedINS1_10OpaqueTypeILj2EEEjLi2ELi128ELi1ELi16ELi8EEEvPcNS1_25CatArrInputTensorMetadataIT_T0_XT2_EXT3_EEENS1_16TensorSizeStrideIS8_Lj4EEEiS8_.uses_vcc, 1
	.set _ZN2at6native12_GLOBAL__N_130CatArrayBatchedCopy_vectorizedINS1_10OpaqueTypeILj2EEEjLi2ELi128ELi1ELi16ELi8EEEvPcNS1_25CatArrInputTensorMetadataIT_T0_XT2_EXT3_EEENS1_16TensorSizeStrideIS8_Lj4EEEiS8_.uses_flat_scratch, 0
	.set _ZN2at6native12_GLOBAL__N_130CatArrayBatchedCopy_vectorizedINS1_10OpaqueTypeILj2EEEjLi2ELi128ELi1ELi16ELi8EEEvPcNS1_25CatArrInputTensorMetadataIT_T0_XT2_EXT3_EEENS1_16TensorSizeStrideIS8_Lj4EEEiS8_.has_dyn_sized_stack, 0
	.set _ZN2at6native12_GLOBAL__N_130CatArrayBatchedCopy_vectorizedINS1_10OpaqueTypeILj2EEEjLi2ELi128ELi1ELi16ELi8EEEvPcNS1_25CatArrInputTensorMetadataIT_T0_XT2_EXT3_EEENS1_16TensorSizeStrideIS8_Lj4EEEiS8_.has_recursion, 0
	.set _ZN2at6native12_GLOBAL__N_130CatArrayBatchedCopy_vectorizedINS1_10OpaqueTypeILj2EEEjLi2ELi128ELi1ELi16ELi8EEEvPcNS1_25CatArrInputTensorMetadataIT_T0_XT2_EXT3_EEENS1_16TensorSizeStrideIS8_Lj4EEEiS8_.has_indirect_call, 0
	.section	.AMDGPU.csdata,"",@progbits
; Kernel info:
; codeLenInByte = 440
; TotalNumSgprs: 24
; NumVgprs: 12
; NumAgprs: 0
; TotalNumVgprs: 12
; ScratchSize: 0
; MemoryBound: 0
; FloatMode: 240
; IeeeMode: 1
; LDSByteSize: 0 bytes/workgroup (compile time only)
; SGPRBlocks: 2
; VGPRBlocks: 1
; NumSGPRsForWavesPerEU: 24
; NumVGPRsForWavesPerEU: 12
; AccumOffset: 12
; Occupancy: 8
; WaveLimiterHint : 1
; COMPUTE_PGM_RSRC2:SCRATCH_EN: 0
; COMPUTE_PGM_RSRC2:USER_SGPR: 2
; COMPUTE_PGM_RSRC2:TRAP_HANDLER: 0
; COMPUTE_PGM_RSRC2:TGID_X_EN: 1
; COMPUTE_PGM_RSRC2:TGID_Y_EN: 1
; COMPUTE_PGM_RSRC2:TGID_Z_EN: 0
; COMPUTE_PGM_RSRC2:TIDIG_COMP_CNT: 0
; COMPUTE_PGM_RSRC3_GFX90A:ACCUM_OFFSET: 2
; COMPUTE_PGM_RSRC3_GFX90A:TG_SPLIT: 0
	.section	.text._ZN2at6native12_GLOBAL__N_135CatArrayBatchedCopy_alignedK_contigINS1_10OpaqueTypeILj2EEEjLi2ELi128ELi1ELi16EEEvPT_NS1_25CatArrInputTensorMetadataIS5_T0_XT2_EXT3_EEENS1_16TensorSizeStrideIS8_Lj4EEEiS8_,"axG",@progbits,_ZN2at6native12_GLOBAL__N_135CatArrayBatchedCopy_alignedK_contigINS1_10OpaqueTypeILj2EEEjLi2ELi128ELi1ELi16EEEvPT_NS1_25CatArrInputTensorMetadataIS5_T0_XT2_EXT3_EEENS1_16TensorSizeStrideIS8_Lj4EEEiS8_,comdat
	.globl	_ZN2at6native12_GLOBAL__N_135CatArrayBatchedCopy_alignedK_contigINS1_10OpaqueTypeILj2EEEjLi2ELi128ELi1ELi16EEEvPT_NS1_25CatArrInputTensorMetadataIS5_T0_XT2_EXT3_EEENS1_16TensorSizeStrideIS8_Lj4EEEiS8_ ; -- Begin function _ZN2at6native12_GLOBAL__N_135CatArrayBatchedCopy_alignedK_contigINS1_10OpaqueTypeILj2EEEjLi2ELi128ELi1ELi16EEEvPT_NS1_25CatArrInputTensorMetadataIS5_T0_XT2_EXT3_EEENS1_16TensorSizeStrideIS8_Lj4EEEiS8_
	.p2align	8
	.type	_ZN2at6native12_GLOBAL__N_135CatArrayBatchedCopy_alignedK_contigINS1_10OpaqueTypeILj2EEEjLi2ELi128ELi1ELi16EEEvPT_NS1_25CatArrInputTensorMetadataIS5_T0_XT2_EXT3_EEENS1_16TensorSizeStrideIS8_Lj4EEEiS8_,@function
_ZN2at6native12_GLOBAL__N_135CatArrayBatchedCopy_alignedK_contigINS1_10OpaqueTypeILj2EEEjLi2ELi128ELi1ELi16EEEvPT_NS1_25CatArrInputTensorMetadataIS5_T0_XT2_EXT3_EEENS1_16TensorSizeStrideIS8_Lj4EEEiS8_: ; @_ZN2at6native12_GLOBAL__N_135CatArrayBatchedCopy_alignedK_contigINS1_10OpaqueTypeILj2EEEjLi2ELi128ELi1ELi16EEEvPT_NS1_25CatArrInputTensorMetadataIS5_T0_XT2_EXT3_EEENS1_16TensorSizeStrideIS8_Lj4EEEiS8_
; %bb.0:
	s_mov_b32 s6, s3
	s_load_dword s3, s[0:1], 0xadc
	s_add_u32 s4, s0, 0xad0
	s_mov_b32 s7, 0
	s_addc_u32 s5, s1, 0
	s_lshl_b64 s[6:7], s[6:7], 2
	s_waitcnt lgkmcnt(0)
	s_and_b32 s3, s3, 0xffff
	s_add_u32 s8, s0, s6
	s_addc_u32 s9, s1, s7
	s_load_dword s24, s[8:9], 0x808
	s_mul_i32 s2, s2, s3
	v_add_lshl_u32 v0, s2, v0, 3
	s_add_u32 s2, s8, 8
	s_addc_u32 s8, s9, 0
	s_waitcnt lgkmcnt(0)
	v_cmp_gt_u32_e32 vcc, s24, v0
	s_and_saveexec_b64 s[10:11], vcc
	s_cbranch_execz .LBB26_8
; %bb.1:
	s_add_u32 s10, s2, s6
	s_addc_u32 s11, s8, s7
	s_sub_u32 s2, 0, s6
	s_subb_u32 s7, 0, s7
	s_add_u32 s6, s10, s2
	s_addc_u32 s7, s11, s7
	s_load_dword s2, s[6:7], 0x400
	s_load_dwordx2 s[12:13], s[0:1], 0x0
	s_load_dwordx2 s[18:19], s[0:1], 0xac8
	s_load_dword s25, s[0:1], 0xaac
	s_load_dwordx2 s[14:15], s[0:1], 0xab8
	s_load_dwordx2 s[16:17], s[10:11], 0x0
	s_load_dword s26, s[6:7], 0x600
	v_add_u32_e32 v1, 8, v0
	s_mov_b64 s[20:21], 0
	s_waitcnt lgkmcnt(0)
	s_mul_i32 s19, s2, s19
	v_cmp_ge_u32_e32 vcc, s24, v1
	s_and_saveexec_b64 s[22:23], vcc
	s_cbranch_execz .LBB26_5
; %bb.2:
	s_load_dword s0, s[4:5], 0x0
	v_mov_b32_e32 v1, 0
	v_add_u32_e32 v18, 7, v0
	v_add_u32_e32 v19, 6, v0
	;; [unrolled: 1-line block ×3, first 2 shown]
	s_waitcnt lgkmcnt(0)
	s_mul_i32 s0, s0, s3
	s_lshl_b32 s27, s0, 3
	s_cmp_eq_u32 s18, 1
	s_cselect_b32 s28, s26, s25
	v_cvt_f32_u32_e32 v2, s28
	s_sub_i32 s29, 0, s28
	v_add_u32_e32 v21, 4, v0
	v_add_u32_e32 v22, 3, v0
	v_rcp_iflag_f32_e32 v2, v2
	v_add_u32_e32 v23, 2, v0
	v_add_u32_e32 v25, 1, v0
	v_mul_f32_e32 v2, 0x4f7ffffe, v2
	v_cvt_u32_f32_e32 v2, v2
	v_mul_lo_u32 v3, s29, v2
	v_mul_hi_u32 v3, v2, v3
	v_add_u32_e32 v24, v2, v3
.LBB26_3:                               ; =>This Inner Loop Header: Depth=1
	v_mul_hi_u32 v16, v24, v0
	v_not_b32_e32 v30, v16
	v_mad_u64_u32 v[28:29], s[0:1], s29, v16, v[0:1]
	v_mul_hi_u32 v38, v24, v25
	v_add_u32_e32 v12, 1, v0
	v_mov_b32_e32 v13, v1
	v_add_u32_e32 v29, 1, v16
	v_cmp_le_u32_e32 vcc, s28, v28
	v_mad_u64_u32 v[30:31], s[0:1], s28, v30, v[0:1]
	s_nop 0
	v_cndmask_b32_e32 v16, v16, v29, vcc
	v_cndmask_b32_e32 v45, v28, v30, vcc
	v_not_b32_e32 v30, v38
	v_mad_u64_u32 v[28:29], s[0:1], s29, v38, v[12:13]
	v_mul_hi_u32 v37, v24, v23
	v_add_u32_e32 v2, 2, v0
	v_mov_b32_e32 v3, v1
	v_mul_hi_u32 v46, v12, v24
	v_mad_u64_u32 v[30:31], s[0:1], s28, v30, v[12:13]
	v_cmp_le_u32_e32 vcc, s28, v28
	v_add_u32_e32 v12, 1, v46
	v_mul_hi_u32 v31, v2, v24
	v_cndmask_b32_e32 v38, v28, v30, vcc
	v_mad_u64_u32 v[28:29], s[0:1], s29, v37, v[2:3]
	v_not_b32_e32 v44, v37
	v_cndmask_b32_e32 v12, v46, v12, vcc
	v_add_u32_e32 v29, 1, v31
	v_cmp_le_u32_e32 vcc, s28, v28
	v_mul_hi_u32 v36, v24, v22
	v_add_u32_e32 v4, 3, v0
	v_mov_b32_e32 v5, v1
	v_cndmask_b32_e32 v46, v31, v29, vcc
	v_mad_u64_u32 v[30:31], s[0:1], s28, v44, v[2:3]
	v_not_b32_e32 v43, v36
	v_mul_hi_u32 v37, v4, v24
	v_cndmask_b32_e32 v44, v28, v30, vcc
	v_mad_u64_u32 v[28:29], s[0:1], s29, v36, v[4:5]
	v_mul_hi_u32 v35, v24, v21
	v_add_u32_e32 v6, 4, v0
	v_mov_b32_e32 v7, v1
	v_add_u32_e32 v29, 1, v37
	v_cmp_le_u32_e32 vcc, s28, v28
	v_mad_u64_u32 v[30:31], s[0:1], s28, v43, v[4:5]
	v_not_b32_e32 v42, v35
	v_mul_hi_u32 v36, v6, v24
	v_cndmask_b32_e32 v37, v37, v29, vcc
	v_cndmask_b32_e32 v43, v28, v30, vcc
	v_mad_u64_u32 v[28:29], s[0:1], s29, v35, v[6:7]
	v_mul_hi_u32 v34, v24, v20
	v_add_u32_e32 v8, 5, v0
	v_mov_b32_e32 v9, v1
	v_add_u32_e32 v29, 1, v36
	v_cmp_le_u32_e32 vcc, s28, v28
	v_mad_u64_u32 v[30:31], s[0:1], s28, v42, v[6:7]
	v_not_b32_e32 v41, v34
	v_mul_hi_u32 v35, v8, v24
	v_cndmask_b32_e32 v36, v36, v29, vcc
	;; [unrolled: 11-line block ×4, first 2 shown]
	v_cndmask_b32_e32 v40, v28, v30, vcc
	v_mad_u64_u32 v[28:29], s[0:1], s29, v32, v[14:15]
	v_lshl_add_u64 v[26:27], v[0:1], 1, s[16:17]
	v_add_u32_e32 v29, 1, v33
	v_mad_u64_u32 v[30:31], s[0:1], s28, v39, v[14:15]
	v_cmp_le_u32_e32 vcc, s28, v28
	v_add_u32_e32 v31, 1, v16
	v_cmp_le_u32_e64 s[0:1], s28, v44
	v_cndmask_b32_e32 v32, v33, v29, vcc
	v_cndmask_b32_e32 v30, v28, v30, vcc
	global_load_dwordx4 v[26:29], v[26:27], off
	v_cmp_le_u32_e32 vcc, s28, v45
	v_add_u32_e32 v33, 1, v12
	v_add_u32_e32 v39, 1, v37
	v_cndmask_b32_e32 v16, v16, v31, vcc
	v_cmp_le_u32_e32 vcc, s28, v38
	v_add_u32_e32 v38, 1, v46
	v_cmp_le_u32_e64 s[2:3], s28, v43
	v_add_u32_e32 v43, 1, v36
	v_cmp_le_u32_e64 s[4:5], s28, v42
	v_cmp_le_u32_e64 s[10:11], s28, v30
	v_mad_u64_u32 v[30:31], s[30:31], s29, v16, v[0:1]
	v_cndmask_b32_e32 v12, v12, v33, vcc
	v_add_u32_e32 v42, 1, v35
	v_cmp_le_u32_e64 s[6:7], s28, v41
	v_add_u32_e32 v41, 1, v34
	v_cmp_le_u32_e64 s[8:9], s28, v40
	v_add_u32_e32 v40, 1, v32
	v_cndmask_b32_e64 v38, v46, v38, s[0:1]
	v_cndmask_b32_e64 v37, v37, v39, s[2:3]
	;; [unrolled: 1-line block ×3, first 2 shown]
	v_mul_lo_u32 v45, v30, s15
	v_mad_u64_u32 v[30:31], s[0:1], s29, v12, v[0:1]
	v_cndmask_b32_e64 v42, v35, v42, s[6:7]
	v_cndmask_b32_e64 v43, v34, v41, s[8:9]
	;; [unrolled: 1-line block ×3, first 2 shown]
	v_mul_lo_u32 v31, v12, s14
	v_mad_u64_u32 v[32:33], s[0:1], s29, v38, v[2:3]
	v_mad_u64_u32 v[34:35], s[0:1], s29, v37, v[4:5]
	v_mul_lo_u32 v12, v37, s14
	v_mad_u64_u32 v[36:37], s[0:1], s29, v39, v[6:7]
	v_add_u32_e32 v0, s27, v0
	v_mul_lo_u32 v16, v16, s14
	v_mul_lo_u32 v2, v38, s14
	;; [unrolled: 1-line block ×3, first 2 shown]
	v_mad_u64_u32 v[38:39], s[0:1], s29, v42, v[8:9]
	v_mul_lo_u32 v35, v42, s14
	v_mad_u64_u32 v[40:41], s[0:1], s29, v43, v[10:11]
	v_mul_lo_u32 v37, v43, s14
	;; [unrolled: 2-line block ×3, first 2 shown]
	v_mul_lo_u32 v14, v36, s15
	v_add_u32_e32 v36, 8, v0
	v_mul_lo_u32 v39, v44, s14
	v_mul_lo_u32 v8, v32, s15
	;; [unrolled: 1-line block ×6, first 2 shown]
	v_add3_u32 v4, v45, v16, s19
	v_add_u32_e32 v38, s15, v6
	v_cmp_lt_u32_e32 vcc, s24, v36
	v_mov_b32_e32 v17, v1
	v_add_u32_e32 v18, s27, v18
	v_add_u32_e32 v19, s27, v19
	v_add_u32_e32 v20, s27, v20
	v_add_u32_e32 v21, s27, v21
	v_add_u32_e32 v22, s27, v22
	v_add_u32_e32 v23, s27, v23
	v_add_u32_e32 v25, s27, v25
	v_lshl_add_u64 v[4:5], v[4:5], 1, s[12:13]
	v_add3_u32 v6, v8, v2, s19
	v_add3_u32 v8, v10, v12, s19
	;; [unrolled: 1-line block ×7, first 2 shown]
	s_or_b64 s[20:21], vcc, s[20:21]
	v_lshl_add_u64 v[6:7], v[6:7], 1, s[12:13]
	v_lshl_add_u64 v[8:9], v[8:9], 1, s[12:13]
	;; [unrolled: 1-line block ×7, first 2 shown]
	s_waitcnt vmcnt(0)
	global_store_short v[4:5], v26, off
	global_store_short_d16_hi v[2:3], v26, off
	global_store_short v[6:7], v27, off
	global_store_short_d16_hi v[8:9], v27, off
	;; [unrolled: 2-line block ×4, first 2 shown]
	s_andn2_b64 exec, exec, s[20:21]
	s_cbranch_execnz .LBB26_3
; %bb.4:
	s_or_b64 exec, exec, s[20:21]
.LBB26_5:
	s_or_b64 exec, exec, s[22:23]
	v_cmp_gt_u32_e32 vcc, s24, v0
	s_and_b64 exec, exec, vcc
	s_cbranch_execz .LBB26_8
; %bb.6:
	s_cmp_eq_u32 s18, 1
	s_cselect_b32 s2, s26, s25
	v_cvt_f32_u32_e32 v1, s2
	v_mov_b32_e32 v3, 0
	s_sub_i32 s3, 0, s2
	v_mov_b32_e32 v5, v3
	v_rcp_iflag_f32_e32 v1, v1
	s_nop 0
	v_mul_f32_e32 v1, 0x4f7ffffe, v1
	v_cvt_u32_f32_e32 v2, v1
	v_mov_b32_e32 v1, v3
	v_lshl_add_u64 v[6:7], v[0:1], 1, s[16:17]
	v_mul_lo_u32 v1, s3, v2
	v_mul_hi_u32 v1, v2, v1
	v_add_u32_e32 v4, v2, v1
	v_mad_u64_u32 v[8:9], s[0:1], v0, v4, 0
	s_mov_b64 s[0:1], 0
.LBB26_7:                               ; =>This Inner Loop Header: Depth=1
	global_load_ushort v1, v[6:7], off
	v_mul_lo_u32 v2, s2, v9
	v_not_b32_e32 v10, v9
	v_sub_u32_e32 v2, v0, v2
	v_add_u32_e32 v12, 1, v9
	v_cmp_le_u32_e32 vcc, s2, v2
	v_lshl_add_u64 v[6:7], v[6:7], 0, 2
	s_waitcnt vmcnt(0)
	v_mad_u64_u32 v[10:11], s[4:5], s2, v10, v[0:1]
	v_cndmask_b32_e32 v11, v9, v12, vcc
	v_cndmask_b32_e32 v2, v2, v10, vcc
	v_add_u32_e32 v10, 1, v11
	v_cmp_le_u32_e32 vcc, s2, v2
	v_lshl_add_u64 v[8:9], v[8:9], 0, v[4:5]
	s_nop 0
	v_cndmask_b32_e32 v2, v11, v10, vcc
	v_mad_u64_u32 v[10:11], s[4:5], s3, v2, v[0:1]
	v_mul_lo_u32 v2, v2, s14
	v_add_u32_e32 v0, 1, v0
	v_mul_lo_u32 v10, v10, s15
	v_cmp_le_u32_e32 vcc, s24, v0
	v_add3_u32 v2, v10, v2, s19
	s_or_b64 s[0:1], vcc, s[0:1]
	v_lshl_add_u64 v[10:11], v[2:3], 1, s[12:13]
	global_store_short v[10:11], v1, off
	s_andn2_b64 exec, exec, s[0:1]
	s_cbranch_execnz .LBB26_7
.LBB26_8:
	s_endpgm
	.section	.rodata,"a",@progbits
	.p2align	6, 0x0
	.amdhsa_kernel _ZN2at6native12_GLOBAL__N_135CatArrayBatchedCopy_alignedK_contigINS1_10OpaqueTypeILj2EEEjLi2ELi128ELi1ELi16EEEvPT_NS1_25CatArrInputTensorMetadataIS5_T0_XT2_EXT3_EEENS1_16TensorSizeStrideIS8_Lj4EEEiS8_
		.amdhsa_group_segment_fixed_size 0
		.amdhsa_private_segment_fixed_size 0
		.amdhsa_kernarg_size 3024
		.amdhsa_user_sgpr_count 2
		.amdhsa_user_sgpr_dispatch_ptr 0
		.amdhsa_user_sgpr_queue_ptr 0
		.amdhsa_user_sgpr_kernarg_segment_ptr 1
		.amdhsa_user_sgpr_dispatch_id 0
		.amdhsa_user_sgpr_kernarg_preload_length 0
		.amdhsa_user_sgpr_kernarg_preload_offset 0
		.amdhsa_user_sgpr_private_segment_size 0
		.amdhsa_uses_dynamic_stack 0
		.amdhsa_enable_private_segment 0
		.amdhsa_system_sgpr_workgroup_id_x 1
		.amdhsa_system_sgpr_workgroup_id_y 1
		.amdhsa_system_sgpr_workgroup_id_z 0
		.amdhsa_system_sgpr_workgroup_info 0
		.amdhsa_system_vgpr_workitem_id 0
		.amdhsa_next_free_vgpr 47
		.amdhsa_next_free_sgpr 32
		.amdhsa_accum_offset 48
		.amdhsa_reserve_vcc 1
		.amdhsa_float_round_mode_32 0
		.amdhsa_float_round_mode_16_64 0
		.amdhsa_float_denorm_mode_32 3
		.amdhsa_float_denorm_mode_16_64 3
		.amdhsa_dx10_clamp 1
		.amdhsa_ieee_mode 1
		.amdhsa_fp16_overflow 0
		.amdhsa_tg_split 0
		.amdhsa_exception_fp_ieee_invalid_op 0
		.amdhsa_exception_fp_denorm_src 0
		.amdhsa_exception_fp_ieee_div_zero 0
		.amdhsa_exception_fp_ieee_overflow 0
		.amdhsa_exception_fp_ieee_underflow 0
		.amdhsa_exception_fp_ieee_inexact 0
		.amdhsa_exception_int_div_zero 0
	.end_amdhsa_kernel
	.section	.text._ZN2at6native12_GLOBAL__N_135CatArrayBatchedCopy_alignedK_contigINS1_10OpaqueTypeILj2EEEjLi2ELi128ELi1ELi16EEEvPT_NS1_25CatArrInputTensorMetadataIS5_T0_XT2_EXT3_EEENS1_16TensorSizeStrideIS8_Lj4EEEiS8_,"axG",@progbits,_ZN2at6native12_GLOBAL__N_135CatArrayBatchedCopy_alignedK_contigINS1_10OpaqueTypeILj2EEEjLi2ELi128ELi1ELi16EEEvPT_NS1_25CatArrInputTensorMetadataIS5_T0_XT2_EXT3_EEENS1_16TensorSizeStrideIS8_Lj4EEEiS8_,comdat
.Lfunc_end26:
	.size	_ZN2at6native12_GLOBAL__N_135CatArrayBatchedCopy_alignedK_contigINS1_10OpaqueTypeILj2EEEjLi2ELi128ELi1ELi16EEEvPT_NS1_25CatArrInputTensorMetadataIS5_T0_XT2_EXT3_EEENS1_16TensorSizeStrideIS8_Lj4EEEiS8_, .Lfunc_end26-_ZN2at6native12_GLOBAL__N_135CatArrayBatchedCopy_alignedK_contigINS1_10OpaqueTypeILj2EEEjLi2ELi128ELi1ELi16EEEvPT_NS1_25CatArrInputTensorMetadataIS5_T0_XT2_EXT3_EEENS1_16TensorSizeStrideIS8_Lj4EEEiS8_
                                        ; -- End function
	.set _ZN2at6native12_GLOBAL__N_135CatArrayBatchedCopy_alignedK_contigINS1_10OpaqueTypeILj2EEEjLi2ELi128ELi1ELi16EEEvPT_NS1_25CatArrInputTensorMetadataIS5_T0_XT2_EXT3_EEENS1_16TensorSizeStrideIS8_Lj4EEEiS8_.num_vgpr, 47
	.set _ZN2at6native12_GLOBAL__N_135CatArrayBatchedCopy_alignedK_contigINS1_10OpaqueTypeILj2EEEjLi2ELi128ELi1ELi16EEEvPT_NS1_25CatArrInputTensorMetadataIS5_T0_XT2_EXT3_EEENS1_16TensorSizeStrideIS8_Lj4EEEiS8_.num_agpr, 0
	.set _ZN2at6native12_GLOBAL__N_135CatArrayBatchedCopy_alignedK_contigINS1_10OpaqueTypeILj2EEEjLi2ELi128ELi1ELi16EEEvPT_NS1_25CatArrInputTensorMetadataIS5_T0_XT2_EXT3_EEENS1_16TensorSizeStrideIS8_Lj4EEEiS8_.numbered_sgpr, 32
	.set _ZN2at6native12_GLOBAL__N_135CatArrayBatchedCopy_alignedK_contigINS1_10OpaqueTypeILj2EEEjLi2ELi128ELi1ELi16EEEvPT_NS1_25CatArrInputTensorMetadataIS5_T0_XT2_EXT3_EEENS1_16TensorSizeStrideIS8_Lj4EEEiS8_.num_named_barrier, 0
	.set _ZN2at6native12_GLOBAL__N_135CatArrayBatchedCopy_alignedK_contigINS1_10OpaqueTypeILj2EEEjLi2ELi128ELi1ELi16EEEvPT_NS1_25CatArrInputTensorMetadataIS5_T0_XT2_EXT3_EEENS1_16TensorSizeStrideIS8_Lj4EEEiS8_.private_seg_size, 0
	.set _ZN2at6native12_GLOBAL__N_135CatArrayBatchedCopy_alignedK_contigINS1_10OpaqueTypeILj2EEEjLi2ELi128ELi1ELi16EEEvPT_NS1_25CatArrInputTensorMetadataIS5_T0_XT2_EXT3_EEENS1_16TensorSizeStrideIS8_Lj4EEEiS8_.uses_vcc, 1
	.set _ZN2at6native12_GLOBAL__N_135CatArrayBatchedCopy_alignedK_contigINS1_10OpaqueTypeILj2EEEjLi2ELi128ELi1ELi16EEEvPT_NS1_25CatArrInputTensorMetadataIS5_T0_XT2_EXT3_EEENS1_16TensorSizeStrideIS8_Lj4EEEiS8_.uses_flat_scratch, 0
	.set _ZN2at6native12_GLOBAL__N_135CatArrayBatchedCopy_alignedK_contigINS1_10OpaqueTypeILj2EEEjLi2ELi128ELi1ELi16EEEvPT_NS1_25CatArrInputTensorMetadataIS5_T0_XT2_EXT3_EEENS1_16TensorSizeStrideIS8_Lj4EEEiS8_.has_dyn_sized_stack, 0
	.set _ZN2at6native12_GLOBAL__N_135CatArrayBatchedCopy_alignedK_contigINS1_10OpaqueTypeILj2EEEjLi2ELi128ELi1ELi16EEEvPT_NS1_25CatArrInputTensorMetadataIS5_T0_XT2_EXT3_EEENS1_16TensorSizeStrideIS8_Lj4EEEiS8_.has_recursion, 0
	.set _ZN2at6native12_GLOBAL__N_135CatArrayBatchedCopy_alignedK_contigINS1_10OpaqueTypeILj2EEEjLi2ELi128ELi1ELi16EEEvPT_NS1_25CatArrInputTensorMetadataIS5_T0_XT2_EXT3_EEENS1_16TensorSizeStrideIS8_Lj4EEEiS8_.has_indirect_call, 0
	.section	.AMDGPU.csdata,"",@progbits
; Kernel info:
; codeLenInByte = 1648
; TotalNumSgprs: 38
; NumVgprs: 47
; NumAgprs: 0
; TotalNumVgprs: 47
; ScratchSize: 0
; MemoryBound: 0
; FloatMode: 240
; IeeeMode: 1
; LDSByteSize: 0 bytes/workgroup (compile time only)
; SGPRBlocks: 4
; VGPRBlocks: 5
; NumSGPRsForWavesPerEU: 38
; NumVGPRsForWavesPerEU: 47
; AccumOffset: 48
; Occupancy: 8
; WaveLimiterHint : 1
; COMPUTE_PGM_RSRC2:SCRATCH_EN: 0
; COMPUTE_PGM_RSRC2:USER_SGPR: 2
; COMPUTE_PGM_RSRC2:TRAP_HANDLER: 0
; COMPUTE_PGM_RSRC2:TGID_X_EN: 1
; COMPUTE_PGM_RSRC2:TGID_Y_EN: 1
; COMPUTE_PGM_RSRC2:TGID_Z_EN: 0
; COMPUTE_PGM_RSRC2:TIDIG_COMP_CNT: 0
; COMPUTE_PGM_RSRC3_GFX90A:ACCUM_OFFSET: 11
; COMPUTE_PGM_RSRC3_GFX90A:TG_SPLIT: 0
	.section	.text._ZN2at6native12_GLOBAL__N_135CatArrayBatchedCopy_alignedK_contigINS1_10OpaqueTypeILj2EEEjLi2ELi128ELi1ELi8EEEvPT_NS1_25CatArrInputTensorMetadataIS5_T0_XT2_EXT3_EEENS1_16TensorSizeStrideIS8_Lj4EEEiS8_,"axG",@progbits,_ZN2at6native12_GLOBAL__N_135CatArrayBatchedCopy_alignedK_contigINS1_10OpaqueTypeILj2EEEjLi2ELi128ELi1ELi8EEEvPT_NS1_25CatArrInputTensorMetadataIS5_T0_XT2_EXT3_EEENS1_16TensorSizeStrideIS8_Lj4EEEiS8_,comdat
	.globl	_ZN2at6native12_GLOBAL__N_135CatArrayBatchedCopy_alignedK_contigINS1_10OpaqueTypeILj2EEEjLi2ELi128ELi1ELi8EEEvPT_NS1_25CatArrInputTensorMetadataIS5_T0_XT2_EXT3_EEENS1_16TensorSizeStrideIS8_Lj4EEEiS8_ ; -- Begin function _ZN2at6native12_GLOBAL__N_135CatArrayBatchedCopy_alignedK_contigINS1_10OpaqueTypeILj2EEEjLi2ELi128ELi1ELi8EEEvPT_NS1_25CatArrInputTensorMetadataIS5_T0_XT2_EXT3_EEENS1_16TensorSizeStrideIS8_Lj4EEEiS8_
	.p2align	8
	.type	_ZN2at6native12_GLOBAL__N_135CatArrayBatchedCopy_alignedK_contigINS1_10OpaqueTypeILj2EEEjLi2ELi128ELi1ELi8EEEvPT_NS1_25CatArrInputTensorMetadataIS5_T0_XT2_EXT3_EEENS1_16TensorSizeStrideIS8_Lj4EEEiS8_,@function
_ZN2at6native12_GLOBAL__N_135CatArrayBatchedCopy_alignedK_contigINS1_10OpaqueTypeILj2EEEjLi2ELi128ELi1ELi8EEEvPT_NS1_25CatArrInputTensorMetadataIS5_T0_XT2_EXT3_EEENS1_16TensorSizeStrideIS8_Lj4EEEiS8_: ; @_ZN2at6native12_GLOBAL__N_135CatArrayBatchedCopy_alignedK_contigINS1_10OpaqueTypeILj2EEEjLi2ELi128ELi1ELi8EEEvPT_NS1_25CatArrInputTensorMetadataIS5_T0_XT2_EXT3_EEENS1_16TensorSizeStrideIS8_Lj4EEEiS8_
; %bb.0:
	s_mov_b32 s6, s3
	s_load_dword s3, s[0:1], 0xadc
	s_add_u32 s4, s0, 0xad0
	s_mov_b32 s7, 0
	s_addc_u32 s5, s1, 0
	s_lshl_b64 s[6:7], s[6:7], 2
	s_waitcnt lgkmcnt(0)
	s_and_b32 s3, s3, 0xffff
	s_add_u32 s8, s0, s6
	s_addc_u32 s9, s1, s7
	s_load_dword s18, s[8:9], 0x808
	s_mul_i32 s2, s2, s3
	v_add_lshl_u32 v0, s2, v0, 2
	s_add_u32 s2, s8, 8
	s_addc_u32 s8, s9, 0
	s_waitcnt lgkmcnt(0)
	v_cmp_gt_u32_e32 vcc, s18, v0
	s_and_saveexec_b64 s[10:11], vcc
	s_cbranch_execz .LBB27_8
; %bb.1:
	s_add_u32 s14, s2, s6
	s_addc_u32 s15, s8, s7
	s_sub_u32 s2, 0, s6
	s_subb_u32 s6, 0, s7
	s_add_u32 s16, s14, s2
	s_addc_u32 s17, s15, s6
	s_load_dword s2, s[16:17], 0x400
	s_load_dwordx2 s[6:7], s[0:1], 0x0
	s_load_dwordx2 s[12:13], s[0:1], 0xac8
	s_load_dword s19, s[0:1], 0xaac
	s_load_dwordx2 s[8:9], s[0:1], 0xab8
	s_load_dwordx2 s[10:11], s[14:15], 0x0
	s_load_dword s20, s[16:17], 0x600
	v_add_u32_e32 v1, 4, v0
	s_mov_b64 s[14:15], 0
	s_waitcnt lgkmcnt(0)
	s_mul_i32 s13, s2, s13
	v_cmp_ge_u32_e32 vcc, s18, v1
	s_and_saveexec_b64 s[16:17], vcc
	s_cbranch_execz .LBB27_5
; %bb.2:
	s_load_dword s0, s[4:5], 0x0
	v_add_u32_e32 v3, 2, v0
	s_waitcnt lgkmcnt(0)
	s_mul_i32 s0, s0, s3
	s_lshl_b32 s21, s0, 2
	s_cmp_eq_u32 s12, 1
	s_cselect_b32 s22, s20, s19
	v_cvt_f32_u32_e32 v1, s22
	s_sub_i32 s23, 0, s22
	v_rcp_iflag_f32_e32 v2, v1
	v_mov_b32_e32 v1, 0
	v_mul_f32_e32 v2, 0x4f7ffffe, v2
	v_cvt_u32_f32_e32 v4, v2
	v_add_u32_e32 v2, 3, v0
	v_mul_lo_u32 v5, s23, v4
	v_mul_hi_u32 v5, v4, v5
	v_add_u32_e32 v4, v4, v5
	v_add_u32_e32 v5, 1, v0
.LBB27_3:                               ; =>This Inner Loop Header: Depth=1
	v_lshl_add_u64 v[12:13], v[0:1], 1, s[10:11]
	global_load_dwordx2 v[12:13], v[12:13], off
	v_mul_hi_u32 v14, v4, v0
	v_mul_hi_u32 v22, v4, v2
	;; [unrolled: 1-line block ×4, first 2 shown]
	v_add_u32_e32 v6, 1, v0
	v_add_u32_e32 v8, 2, v0
	v_add_u32_e32 v10, 3, v0
	v_mov_b32_e32 v7, v1
	v_mov_b32_e32 v9, v1
	;; [unrolled: 1-line block ×3, first 2 shown]
	v_not_b32_e32 v24, v14
	v_mad_u64_u32 v[16:17], s[0:1], s23, v14, v[0:1]
	v_not_b32_e32 v30, v22
	v_not_b32_e32 v28, v20
	;; [unrolled: 1-line block ×3, first 2 shown]
	v_add_u32_e32 v17, 1, v14
	v_mul_hi_u32 v32, v6, v4
	v_mad_u64_u32 v[18:19], s[0:1], s23, v18, v[6:7]
	v_mad_u64_u32 v[20:21], s[0:1], s23, v20, v[8:9]
	;; [unrolled: 1-line block ×3, first 2 shown]
	v_cmp_le_u32_e32 vcc, s22, v16
	v_mad_u64_u32 v[24:25], s[0:1], s22, v24, v[0:1]
	v_mul_hi_u32 v19, v8, v4
	v_mul_hi_u32 v21, v10, v4
	v_cndmask_b32_e32 v14, v14, v17, vcc
	v_add_u32_e32 v17, 1, v32
	v_cmp_le_u32_e64 s[0:1], s22, v18
	v_mad_u64_u32 v[26:27], s[2:3], s22, v26, v[6:7]
	v_mad_u64_u32 v[28:29], s[4:5], s22, v28, v[8:9]
	v_cndmask_b32_e32 v16, v16, v24, vcc
	v_add_u32_e32 v6, 1, v19
	v_cmp_le_u32_e64 s[2:3], s22, v20
	v_add_u32_e32 v23, 1, v21
	v_cmp_le_u32_e64 s[4:5], s22, v22
	v_mad_u64_u32 v[30:31], s[24:25], s22, v30, v[10:11]
	v_add_u32_e32 v24, 1, v14
	v_cndmask_b32_e64 v25, v32, v17, s[0:1]
	v_cndmask_b32_e64 v17, v18, v26, s[0:1]
	v_cmp_le_u32_e32 vcc, s22, v16
	v_cndmask_b32_e64 v6, v19, v6, s[2:3]
	v_cndmask_b32_e64 v18, v20, v28, s[2:3]
	;; [unrolled: 1-line block ×4, first 2 shown]
	v_cndmask_b32_e32 v14, v14, v24, vcc
	v_add_u32_e32 v21, 1, v25
	v_cmp_le_u32_e32 vcc, s22, v17
	v_add_u32_e32 v22, 1, v6
	v_cmp_le_u32_e64 s[0:1], s22, v18
	v_add_u32_e32 v18, 1, v19
	v_cmp_le_u32_e64 s[2:3], s22, v20
	v_mad_u64_u32 v[16:17], s[4:5], s23, v14, v[0:1]
	v_cndmask_b32_e32 v20, v25, v21, vcc
	v_cndmask_b32_e64 v6, v6, v22, s[0:1]
	v_cndmask_b32_e64 v22, v19, v18, s[2:3]
	v_mul_lo_u32 v23, v16, s9
	v_mad_u64_u32 v[16:17], s[0:1], s23, v20, v[0:1]
	v_mul_lo_u32 v17, v20, s8
	v_mad_u64_u32 v[18:19], s[0:1], s23, v6, v[8:9]
	v_mad_u64_u32 v[20:21], s[0:1], s23, v22, v[10:11]
	v_add_u32_e32 v0, s21, v0
	v_mul_lo_u32 v14, v14, s8
	v_mul_lo_u32 v10, s9, v16
	;; [unrolled: 1-line block ×4, first 2 shown]
	v_add_u32_e32 v20, 4, v0
	v_mul_lo_u32 v8, v6, s8
	v_mul_lo_u32 v19, v22, s8
	v_add3_u32 v6, v23, v14, s13
	v_add_u32_e32 v21, s9, v10
	v_cmp_lt_u32_e32 vcc, s18, v20
	v_mov_b32_e32 v15, v1
	v_add_u32_e32 v2, s21, v2
	v_add_u32_e32 v3, s21, v3
	;; [unrolled: 1-line block ×3, first 2 shown]
	v_lshl_add_u64 v[6:7], v[6:7], 1, s[6:7]
	v_add3_u32 v10, v16, v8, s13
	v_add3_u32 v14, v18, v19, s13
	;; [unrolled: 1-line block ×3, first 2 shown]
	s_or_b64 s[14:15], vcc, s[14:15]
	v_lshl_add_u64 v[10:11], v[10:11], 1, s[6:7]
	v_lshl_add_u64 v[14:15], v[14:15], 1, s[6:7]
	;; [unrolled: 1-line block ×3, first 2 shown]
	s_waitcnt vmcnt(0)
	global_store_short v[6:7], v12, off
	global_store_short_d16_hi v[8:9], v12, off
	global_store_short v[10:11], v13, off
	global_store_short_d16_hi v[14:15], v13, off
	s_andn2_b64 exec, exec, s[14:15]
	s_cbranch_execnz .LBB27_3
; %bb.4:
	s_or_b64 exec, exec, s[14:15]
.LBB27_5:
	s_or_b64 exec, exec, s[16:17]
	v_cmp_gt_u32_e32 vcc, s18, v0
	s_and_b64 exec, exec, vcc
	s_cbranch_execz .LBB27_8
; %bb.6:
	s_cmp_eq_u32 s12, 1
	s_cselect_b32 s2, s20, s19
	v_cvt_f32_u32_e32 v1, s2
	v_mov_b32_e32 v3, 0
	s_sub_i32 s3, 0, s2
	v_mov_b32_e32 v5, v3
	v_rcp_iflag_f32_e32 v1, v1
	s_nop 0
	v_mul_f32_e32 v1, 0x4f7ffffe, v1
	v_cvt_u32_f32_e32 v2, v1
	v_mov_b32_e32 v1, v3
	v_lshl_add_u64 v[6:7], v[0:1], 1, s[10:11]
	v_mul_lo_u32 v1, s3, v2
	v_mul_hi_u32 v1, v2, v1
	v_add_u32_e32 v4, v2, v1
	v_mad_u64_u32 v[8:9], s[0:1], v0, v4, 0
	s_mov_b64 s[0:1], 0
.LBB27_7:                               ; =>This Inner Loop Header: Depth=1
	global_load_ushort v1, v[6:7], off
	v_mul_lo_u32 v2, s2, v9
	v_not_b32_e32 v10, v9
	v_sub_u32_e32 v2, v0, v2
	v_add_u32_e32 v12, 1, v9
	v_cmp_le_u32_e32 vcc, s2, v2
	v_lshl_add_u64 v[6:7], v[6:7], 0, 2
	s_waitcnt vmcnt(0)
	v_mad_u64_u32 v[10:11], s[4:5], s2, v10, v[0:1]
	v_cndmask_b32_e32 v11, v9, v12, vcc
	v_cndmask_b32_e32 v2, v2, v10, vcc
	v_add_u32_e32 v10, 1, v11
	v_cmp_le_u32_e32 vcc, s2, v2
	v_lshl_add_u64 v[8:9], v[8:9], 0, v[4:5]
	s_nop 0
	v_cndmask_b32_e32 v2, v11, v10, vcc
	v_mad_u64_u32 v[10:11], s[4:5], s3, v2, v[0:1]
	v_mul_lo_u32 v2, v2, s8
	v_add_u32_e32 v0, 1, v0
	v_mul_lo_u32 v10, v10, s9
	v_cmp_le_u32_e32 vcc, s18, v0
	v_add3_u32 v2, v10, v2, s13
	s_or_b64 s[0:1], vcc, s[0:1]
	v_lshl_add_u64 v[10:11], v[2:3], 1, s[6:7]
	global_store_short v[10:11], v1, off
	s_andn2_b64 exec, exec, s[0:1]
	s_cbranch_execnz .LBB27_7
.LBB27_8:
	s_endpgm
	.section	.rodata,"a",@progbits
	.p2align	6, 0x0
	.amdhsa_kernel _ZN2at6native12_GLOBAL__N_135CatArrayBatchedCopy_alignedK_contigINS1_10OpaqueTypeILj2EEEjLi2ELi128ELi1ELi8EEEvPT_NS1_25CatArrInputTensorMetadataIS5_T0_XT2_EXT3_EEENS1_16TensorSizeStrideIS8_Lj4EEEiS8_
		.amdhsa_group_segment_fixed_size 0
		.amdhsa_private_segment_fixed_size 0
		.amdhsa_kernarg_size 3024
		.amdhsa_user_sgpr_count 2
		.amdhsa_user_sgpr_dispatch_ptr 0
		.amdhsa_user_sgpr_queue_ptr 0
		.amdhsa_user_sgpr_kernarg_segment_ptr 1
		.amdhsa_user_sgpr_dispatch_id 0
		.amdhsa_user_sgpr_kernarg_preload_length 0
		.amdhsa_user_sgpr_kernarg_preload_offset 0
		.amdhsa_user_sgpr_private_segment_size 0
		.amdhsa_uses_dynamic_stack 0
		.amdhsa_enable_private_segment 0
		.amdhsa_system_sgpr_workgroup_id_x 1
		.amdhsa_system_sgpr_workgroup_id_y 1
		.amdhsa_system_sgpr_workgroup_id_z 0
		.amdhsa_system_sgpr_workgroup_info 0
		.amdhsa_system_vgpr_workitem_id 0
		.amdhsa_next_free_vgpr 33
		.amdhsa_next_free_sgpr 26
		.amdhsa_accum_offset 36
		.amdhsa_reserve_vcc 1
		.amdhsa_float_round_mode_32 0
		.amdhsa_float_round_mode_16_64 0
		.amdhsa_float_denorm_mode_32 3
		.amdhsa_float_denorm_mode_16_64 3
		.amdhsa_dx10_clamp 1
		.amdhsa_ieee_mode 1
		.amdhsa_fp16_overflow 0
		.amdhsa_tg_split 0
		.amdhsa_exception_fp_ieee_invalid_op 0
		.amdhsa_exception_fp_denorm_src 0
		.amdhsa_exception_fp_ieee_div_zero 0
		.amdhsa_exception_fp_ieee_overflow 0
		.amdhsa_exception_fp_ieee_underflow 0
		.amdhsa_exception_fp_ieee_inexact 0
		.amdhsa_exception_int_div_zero 0
	.end_amdhsa_kernel
	.section	.text._ZN2at6native12_GLOBAL__N_135CatArrayBatchedCopy_alignedK_contigINS1_10OpaqueTypeILj2EEEjLi2ELi128ELi1ELi8EEEvPT_NS1_25CatArrInputTensorMetadataIS5_T0_XT2_EXT3_EEENS1_16TensorSizeStrideIS8_Lj4EEEiS8_,"axG",@progbits,_ZN2at6native12_GLOBAL__N_135CatArrayBatchedCopy_alignedK_contigINS1_10OpaqueTypeILj2EEEjLi2ELi128ELi1ELi8EEEvPT_NS1_25CatArrInputTensorMetadataIS5_T0_XT2_EXT3_EEENS1_16TensorSizeStrideIS8_Lj4EEEiS8_,comdat
.Lfunc_end27:
	.size	_ZN2at6native12_GLOBAL__N_135CatArrayBatchedCopy_alignedK_contigINS1_10OpaqueTypeILj2EEEjLi2ELi128ELi1ELi8EEEvPT_NS1_25CatArrInputTensorMetadataIS5_T0_XT2_EXT3_EEENS1_16TensorSizeStrideIS8_Lj4EEEiS8_, .Lfunc_end27-_ZN2at6native12_GLOBAL__N_135CatArrayBatchedCopy_alignedK_contigINS1_10OpaqueTypeILj2EEEjLi2ELi128ELi1ELi8EEEvPT_NS1_25CatArrInputTensorMetadataIS5_T0_XT2_EXT3_EEENS1_16TensorSizeStrideIS8_Lj4EEEiS8_
                                        ; -- End function
	.set _ZN2at6native12_GLOBAL__N_135CatArrayBatchedCopy_alignedK_contigINS1_10OpaqueTypeILj2EEEjLi2ELi128ELi1ELi8EEEvPT_NS1_25CatArrInputTensorMetadataIS5_T0_XT2_EXT3_EEENS1_16TensorSizeStrideIS8_Lj4EEEiS8_.num_vgpr, 33
	.set _ZN2at6native12_GLOBAL__N_135CatArrayBatchedCopy_alignedK_contigINS1_10OpaqueTypeILj2EEEjLi2ELi128ELi1ELi8EEEvPT_NS1_25CatArrInputTensorMetadataIS5_T0_XT2_EXT3_EEENS1_16TensorSizeStrideIS8_Lj4EEEiS8_.num_agpr, 0
	.set _ZN2at6native12_GLOBAL__N_135CatArrayBatchedCopy_alignedK_contigINS1_10OpaqueTypeILj2EEEjLi2ELi128ELi1ELi8EEEvPT_NS1_25CatArrInputTensorMetadataIS5_T0_XT2_EXT3_EEENS1_16TensorSizeStrideIS8_Lj4EEEiS8_.numbered_sgpr, 26
	.set _ZN2at6native12_GLOBAL__N_135CatArrayBatchedCopy_alignedK_contigINS1_10OpaqueTypeILj2EEEjLi2ELi128ELi1ELi8EEEvPT_NS1_25CatArrInputTensorMetadataIS5_T0_XT2_EXT3_EEENS1_16TensorSizeStrideIS8_Lj4EEEiS8_.num_named_barrier, 0
	.set _ZN2at6native12_GLOBAL__N_135CatArrayBatchedCopy_alignedK_contigINS1_10OpaqueTypeILj2EEEjLi2ELi128ELi1ELi8EEEvPT_NS1_25CatArrInputTensorMetadataIS5_T0_XT2_EXT3_EEENS1_16TensorSizeStrideIS8_Lj4EEEiS8_.private_seg_size, 0
	.set _ZN2at6native12_GLOBAL__N_135CatArrayBatchedCopy_alignedK_contigINS1_10OpaqueTypeILj2EEEjLi2ELi128ELi1ELi8EEEvPT_NS1_25CatArrInputTensorMetadataIS5_T0_XT2_EXT3_EEENS1_16TensorSizeStrideIS8_Lj4EEEiS8_.uses_vcc, 1
	.set _ZN2at6native12_GLOBAL__N_135CatArrayBatchedCopy_alignedK_contigINS1_10OpaqueTypeILj2EEEjLi2ELi128ELi1ELi8EEEvPT_NS1_25CatArrInputTensorMetadataIS5_T0_XT2_EXT3_EEENS1_16TensorSizeStrideIS8_Lj4EEEiS8_.uses_flat_scratch, 0
	.set _ZN2at6native12_GLOBAL__N_135CatArrayBatchedCopy_alignedK_contigINS1_10OpaqueTypeILj2EEEjLi2ELi128ELi1ELi8EEEvPT_NS1_25CatArrInputTensorMetadataIS5_T0_XT2_EXT3_EEENS1_16TensorSizeStrideIS8_Lj4EEEiS8_.has_dyn_sized_stack, 0
	.set _ZN2at6native12_GLOBAL__N_135CatArrayBatchedCopy_alignedK_contigINS1_10OpaqueTypeILj2EEEjLi2ELi128ELi1ELi8EEEvPT_NS1_25CatArrInputTensorMetadataIS5_T0_XT2_EXT3_EEENS1_16TensorSizeStrideIS8_Lj4EEEiS8_.has_recursion, 0
	.set _ZN2at6native12_GLOBAL__N_135CatArrayBatchedCopy_alignedK_contigINS1_10OpaqueTypeILj2EEEjLi2ELi128ELi1ELi8EEEvPT_NS1_25CatArrInputTensorMetadataIS5_T0_XT2_EXT3_EEENS1_16TensorSizeStrideIS8_Lj4EEEiS8_.has_indirect_call, 0
	.section	.AMDGPU.csdata,"",@progbits
; Kernel info:
; codeLenInByte = 1136
; TotalNumSgprs: 32
; NumVgprs: 33
; NumAgprs: 0
; TotalNumVgprs: 33
; ScratchSize: 0
; MemoryBound: 0
; FloatMode: 240
; IeeeMode: 1
; LDSByteSize: 0 bytes/workgroup (compile time only)
; SGPRBlocks: 3
; VGPRBlocks: 4
; NumSGPRsForWavesPerEU: 32
; NumVGPRsForWavesPerEU: 33
; AccumOffset: 36
; Occupancy: 8
; WaveLimiterHint : 1
; COMPUTE_PGM_RSRC2:SCRATCH_EN: 0
; COMPUTE_PGM_RSRC2:USER_SGPR: 2
; COMPUTE_PGM_RSRC2:TRAP_HANDLER: 0
; COMPUTE_PGM_RSRC2:TGID_X_EN: 1
; COMPUTE_PGM_RSRC2:TGID_Y_EN: 1
; COMPUTE_PGM_RSRC2:TGID_Z_EN: 0
; COMPUTE_PGM_RSRC2:TIDIG_COMP_CNT: 0
; COMPUTE_PGM_RSRC3_GFX90A:ACCUM_OFFSET: 8
; COMPUTE_PGM_RSRC3_GFX90A:TG_SPLIT: 0
	.section	.text._ZN2at6native12_GLOBAL__N_126CatArrayBatchedCopy_contigINS1_10OpaqueTypeILj2EEEjLi2ELi128ELi1EEEvPT_NS1_25CatArrInputTensorMetadataIS5_T0_XT2_EXT3_EEENS1_16TensorSizeStrideIS8_Lj4EEEiS8_,"axG",@progbits,_ZN2at6native12_GLOBAL__N_126CatArrayBatchedCopy_contigINS1_10OpaqueTypeILj2EEEjLi2ELi128ELi1EEEvPT_NS1_25CatArrInputTensorMetadataIS5_T0_XT2_EXT3_EEENS1_16TensorSizeStrideIS8_Lj4EEEiS8_,comdat
	.globl	_ZN2at6native12_GLOBAL__N_126CatArrayBatchedCopy_contigINS1_10OpaqueTypeILj2EEEjLi2ELi128ELi1EEEvPT_NS1_25CatArrInputTensorMetadataIS5_T0_XT2_EXT3_EEENS1_16TensorSizeStrideIS8_Lj4EEEiS8_ ; -- Begin function _ZN2at6native12_GLOBAL__N_126CatArrayBatchedCopy_contigINS1_10OpaqueTypeILj2EEEjLi2ELi128ELi1EEEvPT_NS1_25CatArrInputTensorMetadataIS5_T0_XT2_EXT3_EEENS1_16TensorSizeStrideIS8_Lj4EEEiS8_
	.p2align	8
	.type	_ZN2at6native12_GLOBAL__N_126CatArrayBatchedCopy_contigINS1_10OpaqueTypeILj2EEEjLi2ELi128ELi1EEEvPT_NS1_25CatArrInputTensorMetadataIS5_T0_XT2_EXT3_EEENS1_16TensorSizeStrideIS8_Lj4EEEiS8_,@function
_ZN2at6native12_GLOBAL__N_126CatArrayBatchedCopy_contigINS1_10OpaqueTypeILj2EEEjLi2ELi128ELi1EEEvPT_NS1_25CatArrInputTensorMetadataIS5_T0_XT2_EXT3_EEENS1_16TensorSizeStrideIS8_Lj4EEEiS8_: ; @_ZN2at6native12_GLOBAL__N_126CatArrayBatchedCopy_contigINS1_10OpaqueTypeILj2EEEjLi2ELi128ELi1EEEvPT_NS1_25CatArrInputTensorMetadataIS5_T0_XT2_EXT3_EEENS1_16TensorSizeStrideIS8_Lj4EEEiS8_
; %bb.0:
	s_mov_b32 s4, s3
	s_load_dword s3, s[0:1], 0xadc
	s_add_u32 s6, s0, 0xad0
	s_mov_b32 s5, 0
	s_addc_u32 s7, s1, 0
	s_lshl_b64 s[4:5], s[4:5], 2
	s_waitcnt lgkmcnt(0)
	s_and_b32 s10, s3, 0xffff
	s_add_u32 s12, s0, s4
	s_addc_u32 s13, s1, s5
	s_load_dword s8, s[12:13], 0x808
	s_mul_i32 s2, s2, s10
	v_add_u32_e32 v0, s2, v0
	s_add_u32 s2, s12, 8
	s_addc_u32 s3, s13, 0
	s_waitcnt lgkmcnt(0)
	v_cmp_gt_u32_e32 vcc, s8, v0
	s_and_saveexec_b64 s[12:13], vcc
	s_cbranch_execz .LBB28_3
; %bb.1:
	s_add_u32 s12, s2, s4
	s_addc_u32 s13, s3, s5
	s_sub_u32 s2, 0, s4
	s_subb_u32 s3, 0, s5
	s_add_u32 s14, s12, s2
	s_addc_u32 s15, s13, s3
	s_load_dword s4, s[14:15], 0x600
	s_load_dwordx2 s[16:17], s[0:1], 0xac8
	s_load_dword s5, s[0:1], 0xaac
	s_load_dwordx2 s[2:3], s[0:1], 0xab8
	s_waitcnt lgkmcnt(0)
	s_cmp_eq_u32 s16, 1
	s_cselect_b32 s9, s4, s5
	v_cvt_f32_u32_e32 v1, s9
	s_load_dwordx2 s[4:5], s[0:1], 0x0
	s_load_dword s11, s[6:7], 0x0
	s_nop 0
	s_load_dwordx2 s[0:1], s[12:13], 0x0
	s_load_dword s16, s[14:15], 0x400
	s_sub_i32 s12, 0, s9
	v_rcp_iflag_f32_e32 v1, v1
	s_mov_b64 s[6:7], 0
	s_waitcnt lgkmcnt(0)
	s_mul_i32 s10, s11, s10
	s_mul_i32 s11, s16, s17
	v_mul_f32_e32 v1, 0x4f7ffffe, v1
	v_cvt_u32_f32_e32 v1, v1
	v_mul_lo_u32 v2, s12, v1
	v_mul_hi_u32 v2, v1, v2
	v_add_u32_e32 v2, v1, v2
	v_mov_b32_e32 v1, 0
.LBB28_2:                               ; =>This Inner Loop Header: Depth=1
	v_lshl_add_u64 v[4:5], v[0:1], 1, s[0:1]
	global_load_ushort v3, v[4:5], off
	v_mul_hi_u32 v4, v2, v0
	v_mul_lo_u32 v6, s9, v4
	v_not_b32_e32 v7, v4
	v_sub_u32_e32 v9, v0, v6
	v_add_u32_e32 v8, 1, v4
	v_mad_u64_u32 v[6:7], s[14:15], s9, v7, v[0:1]
	v_cmp_le_u32_e32 vcc, s9, v9
	v_mov_b32_e32 v5, v1
	s_nop 0
	v_cndmask_b32_e32 v4, v4, v8, vcc
	v_cndmask_b32_e32 v6, v9, v6, vcc
	v_add_u32_e32 v7, 1, v4
	v_cmp_le_u32_e32 vcc, s9, v6
	s_nop 1
	v_cndmask_b32_e32 v4, v4, v7, vcc
	v_mad_u64_u32 v[6:7], s[14:15], s12, v4, v[0:1]
	v_mul_lo_u32 v4, v4, s2
	v_add_u32_e32 v0, s10, v0
	v_mul_lo_u32 v6, v6, s3
	v_cmp_le_u32_e32 vcc, s8, v0
	v_add3_u32 v4, v4, s11, v6
	s_or_b64 s[6:7], vcc, s[6:7]
	v_lshl_add_u64 v[4:5], v[4:5], 1, s[4:5]
	s_waitcnt vmcnt(0)
	global_store_short v[4:5], v3, off
	s_andn2_b64 exec, exec, s[6:7]
	s_cbranch_execnz .LBB28_2
.LBB28_3:
	s_endpgm
	.section	.rodata,"a",@progbits
	.p2align	6, 0x0
	.amdhsa_kernel _ZN2at6native12_GLOBAL__N_126CatArrayBatchedCopy_contigINS1_10OpaqueTypeILj2EEEjLi2ELi128ELi1EEEvPT_NS1_25CatArrInputTensorMetadataIS5_T0_XT2_EXT3_EEENS1_16TensorSizeStrideIS8_Lj4EEEiS8_
		.amdhsa_group_segment_fixed_size 0
		.amdhsa_private_segment_fixed_size 0
		.amdhsa_kernarg_size 3024
		.amdhsa_user_sgpr_count 2
		.amdhsa_user_sgpr_dispatch_ptr 0
		.amdhsa_user_sgpr_queue_ptr 0
		.amdhsa_user_sgpr_kernarg_segment_ptr 1
		.amdhsa_user_sgpr_dispatch_id 0
		.amdhsa_user_sgpr_kernarg_preload_length 0
		.amdhsa_user_sgpr_kernarg_preload_offset 0
		.amdhsa_user_sgpr_private_segment_size 0
		.amdhsa_uses_dynamic_stack 0
		.amdhsa_enable_private_segment 0
		.amdhsa_system_sgpr_workgroup_id_x 1
		.amdhsa_system_sgpr_workgroup_id_y 1
		.amdhsa_system_sgpr_workgroup_id_z 0
		.amdhsa_system_sgpr_workgroup_info 0
		.amdhsa_system_vgpr_workitem_id 0
		.amdhsa_next_free_vgpr 10
		.amdhsa_next_free_sgpr 18
		.amdhsa_accum_offset 12
		.amdhsa_reserve_vcc 1
		.amdhsa_float_round_mode_32 0
		.amdhsa_float_round_mode_16_64 0
		.amdhsa_float_denorm_mode_32 3
		.amdhsa_float_denorm_mode_16_64 3
		.amdhsa_dx10_clamp 1
		.amdhsa_ieee_mode 1
		.amdhsa_fp16_overflow 0
		.amdhsa_tg_split 0
		.amdhsa_exception_fp_ieee_invalid_op 0
		.amdhsa_exception_fp_denorm_src 0
		.amdhsa_exception_fp_ieee_div_zero 0
		.amdhsa_exception_fp_ieee_overflow 0
		.amdhsa_exception_fp_ieee_underflow 0
		.amdhsa_exception_fp_ieee_inexact 0
		.amdhsa_exception_int_div_zero 0
	.end_amdhsa_kernel
	.section	.text._ZN2at6native12_GLOBAL__N_126CatArrayBatchedCopy_contigINS1_10OpaqueTypeILj2EEEjLi2ELi128ELi1EEEvPT_NS1_25CatArrInputTensorMetadataIS5_T0_XT2_EXT3_EEENS1_16TensorSizeStrideIS8_Lj4EEEiS8_,"axG",@progbits,_ZN2at6native12_GLOBAL__N_126CatArrayBatchedCopy_contigINS1_10OpaqueTypeILj2EEEjLi2ELi128ELi1EEEvPT_NS1_25CatArrInputTensorMetadataIS5_T0_XT2_EXT3_EEENS1_16TensorSizeStrideIS8_Lj4EEEiS8_,comdat
.Lfunc_end28:
	.size	_ZN2at6native12_GLOBAL__N_126CatArrayBatchedCopy_contigINS1_10OpaqueTypeILj2EEEjLi2ELi128ELi1EEEvPT_NS1_25CatArrInputTensorMetadataIS5_T0_XT2_EXT3_EEENS1_16TensorSizeStrideIS8_Lj4EEEiS8_, .Lfunc_end28-_ZN2at6native12_GLOBAL__N_126CatArrayBatchedCopy_contigINS1_10OpaqueTypeILj2EEEjLi2ELi128ELi1EEEvPT_NS1_25CatArrInputTensorMetadataIS5_T0_XT2_EXT3_EEENS1_16TensorSizeStrideIS8_Lj4EEEiS8_
                                        ; -- End function
	.set _ZN2at6native12_GLOBAL__N_126CatArrayBatchedCopy_contigINS1_10OpaqueTypeILj2EEEjLi2ELi128ELi1EEEvPT_NS1_25CatArrInputTensorMetadataIS5_T0_XT2_EXT3_EEENS1_16TensorSizeStrideIS8_Lj4EEEiS8_.num_vgpr, 10
	.set _ZN2at6native12_GLOBAL__N_126CatArrayBatchedCopy_contigINS1_10OpaqueTypeILj2EEEjLi2ELi128ELi1EEEvPT_NS1_25CatArrInputTensorMetadataIS5_T0_XT2_EXT3_EEENS1_16TensorSizeStrideIS8_Lj4EEEiS8_.num_agpr, 0
	.set _ZN2at6native12_GLOBAL__N_126CatArrayBatchedCopy_contigINS1_10OpaqueTypeILj2EEEjLi2ELi128ELi1EEEvPT_NS1_25CatArrInputTensorMetadataIS5_T0_XT2_EXT3_EEENS1_16TensorSizeStrideIS8_Lj4EEEiS8_.numbered_sgpr, 18
	.set _ZN2at6native12_GLOBAL__N_126CatArrayBatchedCopy_contigINS1_10OpaqueTypeILj2EEEjLi2ELi128ELi1EEEvPT_NS1_25CatArrInputTensorMetadataIS5_T0_XT2_EXT3_EEENS1_16TensorSizeStrideIS8_Lj4EEEiS8_.num_named_barrier, 0
	.set _ZN2at6native12_GLOBAL__N_126CatArrayBatchedCopy_contigINS1_10OpaqueTypeILj2EEEjLi2ELi128ELi1EEEvPT_NS1_25CatArrInputTensorMetadataIS5_T0_XT2_EXT3_EEENS1_16TensorSizeStrideIS8_Lj4EEEiS8_.private_seg_size, 0
	.set _ZN2at6native12_GLOBAL__N_126CatArrayBatchedCopy_contigINS1_10OpaqueTypeILj2EEEjLi2ELi128ELi1EEEvPT_NS1_25CatArrInputTensorMetadataIS5_T0_XT2_EXT3_EEENS1_16TensorSizeStrideIS8_Lj4EEEiS8_.uses_vcc, 1
	.set _ZN2at6native12_GLOBAL__N_126CatArrayBatchedCopy_contigINS1_10OpaqueTypeILj2EEEjLi2ELi128ELi1EEEvPT_NS1_25CatArrInputTensorMetadataIS5_T0_XT2_EXT3_EEENS1_16TensorSizeStrideIS8_Lj4EEEiS8_.uses_flat_scratch, 0
	.set _ZN2at6native12_GLOBAL__N_126CatArrayBatchedCopy_contigINS1_10OpaqueTypeILj2EEEjLi2ELi128ELi1EEEvPT_NS1_25CatArrInputTensorMetadataIS5_T0_XT2_EXT3_EEENS1_16TensorSizeStrideIS8_Lj4EEEiS8_.has_dyn_sized_stack, 0
	.set _ZN2at6native12_GLOBAL__N_126CatArrayBatchedCopy_contigINS1_10OpaqueTypeILj2EEEjLi2ELi128ELi1EEEvPT_NS1_25CatArrInputTensorMetadataIS5_T0_XT2_EXT3_EEENS1_16TensorSizeStrideIS8_Lj4EEEiS8_.has_recursion, 0
	.set _ZN2at6native12_GLOBAL__N_126CatArrayBatchedCopy_contigINS1_10OpaqueTypeILj2EEEjLi2ELi128ELi1EEEvPT_NS1_25CatArrInputTensorMetadataIS5_T0_XT2_EXT3_EEENS1_16TensorSizeStrideIS8_Lj4EEEiS8_.has_indirect_call, 0
	.section	.AMDGPU.csdata,"",@progbits
; Kernel info:
; codeLenInByte = 424
; TotalNumSgprs: 24
; NumVgprs: 10
; NumAgprs: 0
; TotalNumVgprs: 10
; ScratchSize: 0
; MemoryBound: 0
; FloatMode: 240
; IeeeMode: 1
; LDSByteSize: 0 bytes/workgroup (compile time only)
; SGPRBlocks: 2
; VGPRBlocks: 1
; NumSGPRsForWavesPerEU: 24
; NumVGPRsForWavesPerEU: 10
; AccumOffset: 12
; Occupancy: 8
; WaveLimiterHint : 1
; COMPUTE_PGM_RSRC2:SCRATCH_EN: 0
; COMPUTE_PGM_RSRC2:USER_SGPR: 2
; COMPUTE_PGM_RSRC2:TRAP_HANDLER: 0
; COMPUTE_PGM_RSRC2:TGID_X_EN: 1
; COMPUTE_PGM_RSRC2:TGID_Y_EN: 1
; COMPUTE_PGM_RSRC2:TGID_Z_EN: 0
; COMPUTE_PGM_RSRC2:TIDIG_COMP_CNT: 0
; COMPUTE_PGM_RSRC3_GFX90A:ACCUM_OFFSET: 2
; COMPUTE_PGM_RSRC3_GFX90A:TG_SPLIT: 0
	.section	.text._ZN2at6native12_GLOBAL__N_119CatArrayBatchedCopyINS1_10OpaqueTypeILj2EEEjLi2ELi128ELi1EEEvPT_NS1_25CatArrInputTensorMetadataIS5_T0_XT2_EXT3_EEENS1_16TensorSizeStrideIS8_Lj4EEEiS8_,"axG",@progbits,_ZN2at6native12_GLOBAL__N_119CatArrayBatchedCopyINS1_10OpaqueTypeILj2EEEjLi2ELi128ELi1EEEvPT_NS1_25CatArrInputTensorMetadataIS5_T0_XT2_EXT3_EEENS1_16TensorSizeStrideIS8_Lj4EEEiS8_,comdat
	.globl	_ZN2at6native12_GLOBAL__N_119CatArrayBatchedCopyINS1_10OpaqueTypeILj2EEEjLi2ELi128ELi1EEEvPT_NS1_25CatArrInputTensorMetadataIS5_T0_XT2_EXT3_EEENS1_16TensorSizeStrideIS8_Lj4EEEiS8_ ; -- Begin function _ZN2at6native12_GLOBAL__N_119CatArrayBatchedCopyINS1_10OpaqueTypeILj2EEEjLi2ELi128ELi1EEEvPT_NS1_25CatArrInputTensorMetadataIS5_T0_XT2_EXT3_EEENS1_16TensorSizeStrideIS8_Lj4EEEiS8_
	.p2align	8
	.type	_ZN2at6native12_GLOBAL__N_119CatArrayBatchedCopyINS1_10OpaqueTypeILj2EEEjLi2ELi128ELi1EEEvPT_NS1_25CatArrInputTensorMetadataIS5_T0_XT2_EXT3_EEENS1_16TensorSizeStrideIS8_Lj4EEEiS8_,@function
_ZN2at6native12_GLOBAL__N_119CatArrayBatchedCopyINS1_10OpaqueTypeILj2EEEjLi2ELi128ELi1EEEvPT_NS1_25CatArrInputTensorMetadataIS5_T0_XT2_EXT3_EEENS1_16TensorSizeStrideIS8_Lj4EEEiS8_: ; @_ZN2at6native12_GLOBAL__N_119CatArrayBatchedCopyINS1_10OpaqueTypeILj2EEEjLi2ELi128ELi1EEEvPT_NS1_25CatArrInputTensorMetadataIS5_T0_XT2_EXT3_EEENS1_16TensorSizeStrideIS8_Lj4EEEiS8_
; %bb.0:
	s_mov_b32 s6, s3
	s_load_dword s3, s[0:1], 0xadc
	s_or_b32 s10, s0, 8
	s_add_u32 s12, s0, 0xad0
	s_mov_b32 s7, 0
	s_addc_u32 s13, s1, 0
	s_waitcnt lgkmcnt(0)
	s_and_b32 s15, s3, 0xffff
	s_lshl_b64 s[8:9], s[6:7], 2
	s_add_u32 s4, s10, s8
	s_addc_u32 s5, s1, s9
	s_load_dword s14, s[4:5], 0x800
	s_mul_i32 s2, s2, s15
	v_add_u32_e32 v0, s2, v0
	s_waitcnt lgkmcnt(0)
	v_cmp_gt_u32_e32 vcc, s14, v0
	s_and_saveexec_b64 s[2:3], vcc
	s_cbranch_execz .LBB29_5
; %bb.1:
	s_add_u32 s16, s10, s6
	s_addc_u32 s17, s1, 0
	v_mov_b32_e32 v1, 0
	global_load_ubyte v2, v1, s[16:17] offset:2560
	s_mov_b32 s11, s1
	s_load_dwordx2 s[18:19], s[0:1], 0xac8
	s_load_dwordx2 s[2:3], s[0:1], 0x0
	;; [unrolled: 1-line block ×3, first 2 shown]
	s_load_dword s20, s[0:1], 0xa8c
	s_load_dword s21, s[0:1], 0xaac
	;; [unrolled: 1-line block ×3, first 2 shown]
	s_mul_hi_u32 s7, s6, 7
	s_mul_i32 s6, s6, 7
	s_waitcnt lgkmcnt(0)
	s_mul_i32 s15, s22, s15
	s_waitcnt vmcnt(0)
	v_and_b32_e32 v2, 1, v2
	v_cmp_eq_u32_e32 vcc, 1, v2
	s_xor_b64 s[0:1], vcc, -1
	s_add_u32 s12, s16, s6
	s_addc_u32 s13, s17, s7
	s_sub_u32 s6, 0, s8
	s_subb_u32 s7, 0, s9
	s_add_u32 s16, s12, s6
	s_addc_u32 s17, s13, s7
	s_load_dword s23, s[16:17], 0x600
	s_load_dwordx2 s[6:7], s[10:11], 0xa90
	s_load_dwordx2 s[8:9], s[12:13], 0x0
	s_load_dword s24, s[16:17], 0x400
	s_cmp_eq_u32 s18, 1
	s_waitcnt lgkmcnt(0)
	s_cselect_b32 s12, s23, s21
	s_cselect_b32 s13, s23, s20
	v_cvt_f32_u32_e32 v2, s12
	v_cvt_f32_u32_e32 v3, s13
	s_sub_i32 s17, 0, s12
	s_sub_i32 s18, 0, s13
	v_rcp_iflag_f32_e32 v2, v2
	v_rcp_iflag_f32_e32 v3, v3
	v_cndmask_b32_e64 v6, 0, 1, s[0:1]
	s_mov_b64 s[10:11], 0
	v_mul_f32_e32 v2, 0x4f7ffffe, v2
	v_mul_f32_e32 v3, 0x4f7ffffe, v3
	v_cvt_u32_f32_e32 v2, v2
	v_cvt_u32_f32_e32 v3, v3
	s_mul_i32 s16, s24, s19
	v_cmp_ne_u32_e64 s[0:1], 1, v6
	v_mul_lo_u32 v4, s17, v2
	v_mul_lo_u32 v5, s18, v3
	v_mul_hi_u32 v4, v2, v4
	v_mul_hi_u32 v5, v3, v5
	v_add_u32_e32 v4, v2, v4
	v_add_u32_e32 v5, v3, v5
	s_branch .LBB29_3
.LBB29_2:                               ;   in Loop: Header=BB29_3 Depth=1
	v_lshl_add_u64 v[2:3], v[2:3], 1, s[8:9]
	global_load_ushort v8, v[2:3], off
	v_mul_hi_u32 v6, v4, v0
	v_mad_u64_u32 v[2:3], s[20:21], s17, v6, v[0:1]
	v_not_b32_e32 v7, v6
	v_add_u32_e32 v3, 1, v6
	v_cmp_le_u32_e32 vcc, s12, v2
	s_nop 1
	v_cndmask_b32_e32 v3, v6, v3, vcc
	v_mad_u64_u32 v[6:7], s[20:21], s12, v7, v[0:1]
	v_cndmask_b32_e32 v2, v2, v6, vcc
	v_add_u32_e32 v6, 1, v3
	v_cmp_le_u32_e32 vcc, s12, v2
	s_nop 1
	v_cndmask_b32_e32 v6, v3, v6, vcc
	v_mad_u64_u32 v[2:3], s[20:21], s17, v6, v[0:1]
	v_mul_lo_u32 v2, v2, s5
	v_mul_lo_u32 v3, v6, s4
	v_add_u32_e32 v0, s15, v0
	v_add3_u32 v2, v2, v3, s16
	v_mov_b32_e32 v3, v1
	v_cmp_le_u32_e32 vcc, s14, v0
	v_lshl_add_u64 v[2:3], v[2:3], 1, s[2:3]
	s_or_b64 s[10:11], vcc, s[10:11]
	s_waitcnt vmcnt(0)
	global_store_short v[2:3], v8, off
	s_andn2_b64 exec, exec, s[10:11]
	s_cbranch_execz .LBB29_5
.LBB29_3:                               ; =>This Inner Loop Header: Depth=1
	s_and_b64 vcc, exec, s[0:1]
	v_mov_b64_e32 v[2:3], v[0:1]
	s_cbranch_vccnz .LBB29_2
; %bb.4:                                ;   in Loop: Header=BB29_3 Depth=1
	v_mul_hi_u32 v6, v5, v0
	v_mad_u64_u32 v[2:3], s[20:21], s18, v6, v[0:1]
	v_not_b32_e32 v7, v6
	v_add_u32_e32 v3, 1, v6
	v_cmp_le_u32_e32 vcc, s13, v2
	s_nop 1
	v_cndmask_b32_e32 v3, v6, v3, vcc
	v_mad_u64_u32 v[6:7], s[20:21], s13, v7, v[0:1]
	v_cndmask_b32_e32 v2, v2, v6, vcc
	v_add_u32_e32 v6, 1, v3
	v_cmp_le_u32_e32 vcc, s13, v2
	s_nop 1
	v_cndmask_b32_e32 v6, v3, v6, vcc
	v_mad_u64_u32 v[2:3], s[20:21], s18, v6, v[0:1]
	v_mul_lo_u32 v6, v6, s6
	v_mad_u64_u32 v[2:3], s[20:21], v2, s7, v[6:7]
	v_mov_b32_e32 v3, v1
	s_branch .LBB29_2
.LBB29_5:
	s_endpgm
	.section	.rodata,"a",@progbits
	.p2align	6, 0x0
	.amdhsa_kernel _ZN2at6native12_GLOBAL__N_119CatArrayBatchedCopyINS1_10OpaqueTypeILj2EEEjLi2ELi128ELi1EEEvPT_NS1_25CatArrInputTensorMetadataIS5_T0_XT2_EXT3_EEENS1_16TensorSizeStrideIS8_Lj4EEEiS8_
		.amdhsa_group_segment_fixed_size 0
		.amdhsa_private_segment_fixed_size 0
		.amdhsa_kernarg_size 3024
		.amdhsa_user_sgpr_count 2
		.amdhsa_user_sgpr_dispatch_ptr 0
		.amdhsa_user_sgpr_queue_ptr 0
		.amdhsa_user_sgpr_kernarg_segment_ptr 1
		.amdhsa_user_sgpr_dispatch_id 0
		.amdhsa_user_sgpr_kernarg_preload_length 0
		.amdhsa_user_sgpr_kernarg_preload_offset 0
		.amdhsa_user_sgpr_private_segment_size 0
		.amdhsa_uses_dynamic_stack 0
		.amdhsa_enable_private_segment 0
		.amdhsa_system_sgpr_workgroup_id_x 1
		.amdhsa_system_sgpr_workgroup_id_y 1
		.amdhsa_system_sgpr_workgroup_id_z 0
		.amdhsa_system_sgpr_workgroup_info 0
		.amdhsa_system_vgpr_workitem_id 0
		.amdhsa_next_free_vgpr 9
		.amdhsa_next_free_sgpr 25
		.amdhsa_accum_offset 12
		.amdhsa_reserve_vcc 1
		.amdhsa_float_round_mode_32 0
		.amdhsa_float_round_mode_16_64 0
		.amdhsa_float_denorm_mode_32 3
		.amdhsa_float_denorm_mode_16_64 3
		.amdhsa_dx10_clamp 1
		.amdhsa_ieee_mode 1
		.amdhsa_fp16_overflow 0
		.amdhsa_tg_split 0
		.amdhsa_exception_fp_ieee_invalid_op 0
		.amdhsa_exception_fp_denorm_src 0
		.amdhsa_exception_fp_ieee_div_zero 0
		.amdhsa_exception_fp_ieee_overflow 0
		.amdhsa_exception_fp_ieee_underflow 0
		.amdhsa_exception_fp_ieee_inexact 0
		.amdhsa_exception_int_div_zero 0
	.end_amdhsa_kernel
	.section	.text._ZN2at6native12_GLOBAL__N_119CatArrayBatchedCopyINS1_10OpaqueTypeILj2EEEjLi2ELi128ELi1EEEvPT_NS1_25CatArrInputTensorMetadataIS5_T0_XT2_EXT3_EEENS1_16TensorSizeStrideIS8_Lj4EEEiS8_,"axG",@progbits,_ZN2at6native12_GLOBAL__N_119CatArrayBatchedCopyINS1_10OpaqueTypeILj2EEEjLi2ELi128ELi1EEEvPT_NS1_25CatArrInputTensorMetadataIS5_T0_XT2_EXT3_EEENS1_16TensorSizeStrideIS8_Lj4EEEiS8_,comdat
.Lfunc_end29:
	.size	_ZN2at6native12_GLOBAL__N_119CatArrayBatchedCopyINS1_10OpaqueTypeILj2EEEjLi2ELi128ELi1EEEvPT_NS1_25CatArrInputTensorMetadataIS5_T0_XT2_EXT3_EEENS1_16TensorSizeStrideIS8_Lj4EEEiS8_, .Lfunc_end29-_ZN2at6native12_GLOBAL__N_119CatArrayBatchedCopyINS1_10OpaqueTypeILj2EEEjLi2ELi128ELi1EEEvPT_NS1_25CatArrInputTensorMetadataIS5_T0_XT2_EXT3_EEENS1_16TensorSizeStrideIS8_Lj4EEEiS8_
                                        ; -- End function
	.set _ZN2at6native12_GLOBAL__N_119CatArrayBatchedCopyINS1_10OpaqueTypeILj2EEEjLi2ELi128ELi1EEEvPT_NS1_25CatArrInputTensorMetadataIS5_T0_XT2_EXT3_EEENS1_16TensorSizeStrideIS8_Lj4EEEiS8_.num_vgpr, 9
	.set _ZN2at6native12_GLOBAL__N_119CatArrayBatchedCopyINS1_10OpaqueTypeILj2EEEjLi2ELi128ELi1EEEvPT_NS1_25CatArrInputTensorMetadataIS5_T0_XT2_EXT3_EEENS1_16TensorSizeStrideIS8_Lj4EEEiS8_.num_agpr, 0
	.set _ZN2at6native12_GLOBAL__N_119CatArrayBatchedCopyINS1_10OpaqueTypeILj2EEEjLi2ELi128ELi1EEEvPT_NS1_25CatArrInputTensorMetadataIS5_T0_XT2_EXT3_EEENS1_16TensorSizeStrideIS8_Lj4EEEiS8_.numbered_sgpr, 25
	.set _ZN2at6native12_GLOBAL__N_119CatArrayBatchedCopyINS1_10OpaqueTypeILj2EEEjLi2ELi128ELi1EEEvPT_NS1_25CatArrInputTensorMetadataIS5_T0_XT2_EXT3_EEENS1_16TensorSizeStrideIS8_Lj4EEEiS8_.num_named_barrier, 0
	.set _ZN2at6native12_GLOBAL__N_119CatArrayBatchedCopyINS1_10OpaqueTypeILj2EEEjLi2ELi128ELi1EEEvPT_NS1_25CatArrInputTensorMetadataIS5_T0_XT2_EXT3_EEENS1_16TensorSizeStrideIS8_Lj4EEEiS8_.private_seg_size, 0
	.set _ZN2at6native12_GLOBAL__N_119CatArrayBatchedCopyINS1_10OpaqueTypeILj2EEEjLi2ELi128ELi1EEEvPT_NS1_25CatArrInputTensorMetadataIS5_T0_XT2_EXT3_EEENS1_16TensorSizeStrideIS8_Lj4EEEiS8_.uses_vcc, 1
	.set _ZN2at6native12_GLOBAL__N_119CatArrayBatchedCopyINS1_10OpaqueTypeILj2EEEjLi2ELi128ELi1EEEvPT_NS1_25CatArrInputTensorMetadataIS5_T0_XT2_EXT3_EEENS1_16TensorSizeStrideIS8_Lj4EEEiS8_.uses_flat_scratch, 0
	.set _ZN2at6native12_GLOBAL__N_119CatArrayBatchedCopyINS1_10OpaqueTypeILj2EEEjLi2ELi128ELi1EEEvPT_NS1_25CatArrInputTensorMetadataIS5_T0_XT2_EXT3_EEENS1_16TensorSizeStrideIS8_Lj4EEEiS8_.has_dyn_sized_stack, 0
	.set _ZN2at6native12_GLOBAL__N_119CatArrayBatchedCopyINS1_10OpaqueTypeILj2EEEjLi2ELi128ELi1EEEvPT_NS1_25CatArrInputTensorMetadataIS5_T0_XT2_EXT3_EEENS1_16TensorSizeStrideIS8_Lj4EEEiS8_.has_recursion, 0
	.set _ZN2at6native12_GLOBAL__N_119CatArrayBatchedCopyINS1_10OpaqueTypeILj2EEEjLi2ELi128ELi1EEEvPT_NS1_25CatArrInputTensorMetadataIS5_T0_XT2_EXT3_EEENS1_16TensorSizeStrideIS8_Lj4EEEiS8_.has_indirect_call, 0
	.section	.AMDGPU.csdata,"",@progbits
; Kernel info:
; codeLenInByte = 648
; TotalNumSgprs: 31
; NumVgprs: 9
; NumAgprs: 0
; TotalNumVgprs: 9
; ScratchSize: 0
; MemoryBound: 0
; FloatMode: 240
; IeeeMode: 1
; LDSByteSize: 0 bytes/workgroup (compile time only)
; SGPRBlocks: 3
; VGPRBlocks: 1
; NumSGPRsForWavesPerEU: 31
; NumVGPRsForWavesPerEU: 9
; AccumOffset: 12
; Occupancy: 8
; WaveLimiterHint : 1
; COMPUTE_PGM_RSRC2:SCRATCH_EN: 0
; COMPUTE_PGM_RSRC2:USER_SGPR: 2
; COMPUTE_PGM_RSRC2:TRAP_HANDLER: 0
; COMPUTE_PGM_RSRC2:TGID_X_EN: 1
; COMPUTE_PGM_RSRC2:TGID_Y_EN: 1
; COMPUTE_PGM_RSRC2:TGID_Z_EN: 0
; COMPUTE_PGM_RSRC2:TIDIG_COMP_CNT: 0
; COMPUTE_PGM_RSRC3_GFX90A:ACCUM_OFFSET: 2
; COMPUTE_PGM_RSRC3_GFX90A:TG_SPLIT: 0
	.section	.text._ZN2at6native12_GLOBAL__N_130CatArrayBatchedCopy_vectorizedINS1_10OpaqueTypeILj2EEEjLi3ELi128ELi1ELi16ELi8EEEvPcNS1_25CatArrInputTensorMetadataIT_T0_XT2_EXT3_EEENS1_16TensorSizeStrideIS8_Lj4EEEiS8_,"axG",@progbits,_ZN2at6native12_GLOBAL__N_130CatArrayBatchedCopy_vectorizedINS1_10OpaqueTypeILj2EEEjLi3ELi128ELi1ELi16ELi8EEEvPcNS1_25CatArrInputTensorMetadataIT_T0_XT2_EXT3_EEENS1_16TensorSizeStrideIS8_Lj4EEEiS8_,comdat
	.globl	_ZN2at6native12_GLOBAL__N_130CatArrayBatchedCopy_vectorizedINS1_10OpaqueTypeILj2EEEjLi3ELi128ELi1ELi16ELi8EEEvPcNS1_25CatArrInputTensorMetadataIT_T0_XT2_EXT3_EEENS1_16TensorSizeStrideIS8_Lj4EEEiS8_ ; -- Begin function _ZN2at6native12_GLOBAL__N_130CatArrayBatchedCopy_vectorizedINS1_10OpaqueTypeILj2EEEjLi3ELi128ELi1ELi16ELi8EEEvPcNS1_25CatArrInputTensorMetadataIT_T0_XT2_EXT3_EEENS1_16TensorSizeStrideIS8_Lj4EEEiS8_
	.p2align	8
	.type	_ZN2at6native12_GLOBAL__N_130CatArrayBatchedCopy_vectorizedINS1_10OpaqueTypeILj2EEEjLi3ELi128ELi1ELi16ELi8EEEvPcNS1_25CatArrInputTensorMetadataIT_T0_XT2_EXT3_EEENS1_16TensorSizeStrideIS8_Lj4EEEiS8_,@function
_ZN2at6native12_GLOBAL__N_130CatArrayBatchedCopy_vectorizedINS1_10OpaqueTypeILj2EEEjLi3ELi128ELi1ELi16ELi8EEEvPcNS1_25CatArrInputTensorMetadataIT_T0_XT2_EXT3_EEENS1_16TensorSizeStrideIS8_Lj4EEEiS8_: ; @_ZN2at6native12_GLOBAL__N_130CatArrayBatchedCopy_vectorizedINS1_10OpaqueTypeILj2EEEjLi3ELi128ELi1ELi16ELi8EEEvPcNS1_25CatArrInputTensorMetadataIT_T0_XT2_EXT3_EEENS1_16TensorSizeStrideIS8_Lj4EEEiS8_
; %bb.0:
	s_mov_b32 s8, s3
	s_load_dword s3, s[0:1], 0xadc
	s_add_u32 s10, s0, 0xad0
	s_mov_b32 s9, 0
	s_addc_u32 s11, s1, 0
	s_lshl_b64 s[12:13], s[8:9], 2
	s_waitcnt lgkmcnt(0)
	s_and_b32 s15, s3, 0xffff
	s_add_u32 s4, s0, s12
	s_addc_u32 s5, s1, s13
	s_load_dword s6, s[4:5], 0x808
	s_mul_i32 s2, s2, s15
	v_add_u32_e32 v0, s2, v0
	s_add_u32 s2, s4, 8
	s_addc_u32 s3, s5, 0
	s_waitcnt lgkmcnt(0)
	s_lshr_b32 s14, s6, 3
	v_cmp_gt_u32_e32 vcc, s14, v0
	s_and_saveexec_b64 s[4:5], vcc
	s_cbranch_execz .LBB30_3
; %bb.1:
	s_add_u32 s18, s2, s12
	s_addc_u32 s19, s3, s13
	s_load_dwordx2 s[16:17], s[0:1], 0xac8
	s_load_dwordx4 s[4:7], s[0:1], 0xab8
	s_sub_u32 s2, 0, s12
	s_subb_u32 s3, 0, s13
	s_add_u32 s12, s18, s2
	s_addc_u32 s13, s19, s3
	s_load_dwordx2 s[2:3], s[18:19], 0x0
	s_waitcnt lgkmcnt(0)
	s_load_dword s7, s[12:13], 0x400
	s_load_dword s24, s[12:13], 0x600
	s_load_dwordx2 s[20:21], s[0:1], 0x0
	s_load_dwordx2 s[22:23], s[0:1], 0xaac
	s_load_dword s25, s[10:11], 0x0
	s_waitcnt lgkmcnt(0)
	s_mul_i32 s7, s7, s17
	s_lshr_b32 s8, s7, 3
	s_mul_i32 s24, s24, s17
	s_lshr_b32 s11, s24, 3
	s_lshl_b64 s[8:9], s[8:9], 4
	s_cmp_eq_u32 s16, 2
	s_cselect_b32 s7, s11, s23
	v_cvt_f32_u32_e32 v1, s7
	s_cmp_eq_u32 s16, 1
	s_cselect_b32 s11, s11, s22
	v_cvt_f32_u32_e32 v2, s11
	v_rcp_iflag_f32_e32 v1, v1
	s_add_u32 s8, s20, s8
	s_addc_u32 s9, s21, s9
	v_rcp_iflag_f32_e32 v2, v2
	v_mul_f32_e32 v1, 0x4f7ffffe, v1
	v_cvt_u32_f32_e32 v1, v1
	s_sub_i32 s12, 0, s7
	v_mul_f32_e32 v2, 0x4f7ffffe, v2
	v_cvt_u32_f32_e32 v4, v2
	v_mul_lo_u32 v3, s12, v1
	v_mul_hi_u32 v3, v1, v3
	s_sub_i32 s13, 0, s11
	v_add_u32_e32 v2, v1, v3
	v_mul_lo_u32 v3, s13, v4
	v_mul_hi_u32 v3, v4, v3
	s_mov_b64 s[0:1], 0
	s_mul_i32 s10, s25, s15
	v_mov_b32_e32 v1, 0
	v_add_u32_e32 v3, v4, v3
.LBB30_2:                               ; =>This Inner Loop Header: Depth=1
	v_lshl_add_u64 v[4:5], v[0:1], 4, s[2:3]
	global_load_dwordx4 v[4:7], v[4:5], off
	v_mul_hi_u32 v8, v2, v0
	v_mul_lo_u32 v10, s7, v8
	v_not_b32_e32 v11, v8
	v_sub_u32_e32 v13, v0, v10
	v_add_u32_e32 v12, 1, v8
	v_mad_u64_u32 v[10:11], s[16:17], s7, v11, v[0:1]
	v_cmp_le_u32_e32 vcc, s7, v13
	v_mov_b32_e32 v9, v1
	s_nop 0
	v_cndmask_b32_e32 v8, v8, v12, vcc
	v_cndmask_b32_e32 v10, v13, v10, vcc
	v_add_u32_e32 v11, 1, v8
	v_cmp_le_u32_e32 vcc, s7, v10
	s_nop 1
	v_cndmask_b32_e32 v8, v8, v11, vcc
	v_mad_u64_u32 v[10:11], s[16:17], s12, v8, v[0:1]
	v_mul_hi_u32 v11, v8, v3
	v_add_u32_e32 v0, s10, v0
	v_mul_lo_u32 v12, v11, s11
	v_cmp_le_u32_e32 vcc, s14, v0
	v_sub_u32_e32 v12, v8, v12
	v_add_u32_e32 v13, 1, v11
	s_or_b64 s[0:1], vcc, s[0:1]
	v_cmp_le_u32_e32 vcc, s11, v12
	v_mul_lo_u32 v10, v10, s6
	s_nop 0
	v_cndmask_b32_e32 v11, v11, v13, vcc
	v_subrev_u32_e32 v13, s11, v12
	v_cndmask_b32_e32 v12, v12, v13, vcc
	v_add_u32_e32 v13, 1, v11
	v_cmp_le_u32_e32 vcc, s11, v12
	s_nop 1
	v_cndmask_b32_e32 v11, v11, v13, vcc
	v_mul_lo_u32 v12, v11, s11
	v_sub_u32_e32 v8, v8, v12
	v_mul_lo_u32 v11, v11, s4
	v_mul_lo_u32 v8, v8, s5
	v_add3_u32 v8, v10, v11, v8
	v_lshl_add_u64 v[8:9], v[8:9], 4, s[8:9]
	s_waitcnt vmcnt(0)
	global_store_dwordx4 v[8:9], v[4:7], off
	s_andn2_b64 exec, exec, s[0:1]
	s_cbranch_execnz .LBB30_2
.LBB30_3:
	s_endpgm
	.section	.rodata,"a",@progbits
	.p2align	6, 0x0
	.amdhsa_kernel _ZN2at6native12_GLOBAL__N_130CatArrayBatchedCopy_vectorizedINS1_10OpaqueTypeILj2EEEjLi3ELi128ELi1ELi16ELi8EEEvPcNS1_25CatArrInputTensorMetadataIT_T0_XT2_EXT3_EEENS1_16TensorSizeStrideIS8_Lj4EEEiS8_
		.amdhsa_group_segment_fixed_size 0
		.amdhsa_private_segment_fixed_size 0
		.amdhsa_kernarg_size 3024
		.amdhsa_user_sgpr_count 2
		.amdhsa_user_sgpr_dispatch_ptr 0
		.amdhsa_user_sgpr_queue_ptr 0
		.amdhsa_user_sgpr_kernarg_segment_ptr 1
		.amdhsa_user_sgpr_dispatch_id 0
		.amdhsa_user_sgpr_kernarg_preload_length 0
		.amdhsa_user_sgpr_kernarg_preload_offset 0
		.amdhsa_user_sgpr_private_segment_size 0
		.amdhsa_uses_dynamic_stack 0
		.amdhsa_enable_private_segment 0
		.amdhsa_system_sgpr_workgroup_id_x 1
		.amdhsa_system_sgpr_workgroup_id_y 1
		.amdhsa_system_sgpr_workgroup_id_z 0
		.amdhsa_system_sgpr_workgroup_info 0
		.amdhsa_system_vgpr_workitem_id 0
		.amdhsa_next_free_vgpr 14
		.amdhsa_next_free_sgpr 26
		.amdhsa_accum_offset 16
		.amdhsa_reserve_vcc 1
		.amdhsa_float_round_mode_32 0
		.amdhsa_float_round_mode_16_64 0
		.amdhsa_float_denorm_mode_32 3
		.amdhsa_float_denorm_mode_16_64 3
		.amdhsa_dx10_clamp 1
		.amdhsa_ieee_mode 1
		.amdhsa_fp16_overflow 0
		.amdhsa_tg_split 0
		.amdhsa_exception_fp_ieee_invalid_op 0
		.amdhsa_exception_fp_denorm_src 0
		.amdhsa_exception_fp_ieee_div_zero 0
		.amdhsa_exception_fp_ieee_overflow 0
		.amdhsa_exception_fp_ieee_underflow 0
		.amdhsa_exception_fp_ieee_inexact 0
		.amdhsa_exception_int_div_zero 0
	.end_amdhsa_kernel
	.section	.text._ZN2at6native12_GLOBAL__N_130CatArrayBatchedCopy_vectorizedINS1_10OpaqueTypeILj2EEEjLi3ELi128ELi1ELi16ELi8EEEvPcNS1_25CatArrInputTensorMetadataIT_T0_XT2_EXT3_EEENS1_16TensorSizeStrideIS8_Lj4EEEiS8_,"axG",@progbits,_ZN2at6native12_GLOBAL__N_130CatArrayBatchedCopy_vectorizedINS1_10OpaqueTypeILj2EEEjLi3ELi128ELi1ELi16ELi8EEEvPcNS1_25CatArrInputTensorMetadataIT_T0_XT2_EXT3_EEENS1_16TensorSizeStrideIS8_Lj4EEEiS8_,comdat
.Lfunc_end30:
	.size	_ZN2at6native12_GLOBAL__N_130CatArrayBatchedCopy_vectorizedINS1_10OpaqueTypeILj2EEEjLi3ELi128ELi1ELi16ELi8EEEvPcNS1_25CatArrInputTensorMetadataIT_T0_XT2_EXT3_EEENS1_16TensorSizeStrideIS8_Lj4EEEiS8_, .Lfunc_end30-_ZN2at6native12_GLOBAL__N_130CatArrayBatchedCopy_vectorizedINS1_10OpaqueTypeILj2EEEjLi3ELi128ELi1ELi16ELi8EEEvPcNS1_25CatArrInputTensorMetadataIT_T0_XT2_EXT3_EEENS1_16TensorSizeStrideIS8_Lj4EEEiS8_
                                        ; -- End function
	.set _ZN2at6native12_GLOBAL__N_130CatArrayBatchedCopy_vectorizedINS1_10OpaqueTypeILj2EEEjLi3ELi128ELi1ELi16ELi8EEEvPcNS1_25CatArrInputTensorMetadataIT_T0_XT2_EXT3_EEENS1_16TensorSizeStrideIS8_Lj4EEEiS8_.num_vgpr, 14
	.set _ZN2at6native12_GLOBAL__N_130CatArrayBatchedCopy_vectorizedINS1_10OpaqueTypeILj2EEEjLi3ELi128ELi1ELi16ELi8EEEvPcNS1_25CatArrInputTensorMetadataIT_T0_XT2_EXT3_EEENS1_16TensorSizeStrideIS8_Lj4EEEiS8_.num_agpr, 0
	.set _ZN2at6native12_GLOBAL__N_130CatArrayBatchedCopy_vectorizedINS1_10OpaqueTypeILj2EEEjLi3ELi128ELi1ELi16ELi8EEEvPcNS1_25CatArrInputTensorMetadataIT_T0_XT2_EXT3_EEENS1_16TensorSizeStrideIS8_Lj4EEEiS8_.numbered_sgpr, 26
	.set _ZN2at6native12_GLOBAL__N_130CatArrayBatchedCopy_vectorizedINS1_10OpaqueTypeILj2EEEjLi3ELi128ELi1ELi16ELi8EEEvPcNS1_25CatArrInputTensorMetadataIT_T0_XT2_EXT3_EEENS1_16TensorSizeStrideIS8_Lj4EEEiS8_.num_named_barrier, 0
	.set _ZN2at6native12_GLOBAL__N_130CatArrayBatchedCopy_vectorizedINS1_10OpaqueTypeILj2EEEjLi3ELi128ELi1ELi16ELi8EEEvPcNS1_25CatArrInputTensorMetadataIT_T0_XT2_EXT3_EEENS1_16TensorSizeStrideIS8_Lj4EEEiS8_.private_seg_size, 0
	.set _ZN2at6native12_GLOBAL__N_130CatArrayBatchedCopy_vectorizedINS1_10OpaqueTypeILj2EEEjLi3ELi128ELi1ELi16ELi8EEEvPcNS1_25CatArrInputTensorMetadataIT_T0_XT2_EXT3_EEENS1_16TensorSizeStrideIS8_Lj4EEEiS8_.uses_vcc, 1
	.set _ZN2at6native12_GLOBAL__N_130CatArrayBatchedCopy_vectorizedINS1_10OpaqueTypeILj2EEEjLi3ELi128ELi1ELi16ELi8EEEvPcNS1_25CatArrInputTensorMetadataIT_T0_XT2_EXT3_EEENS1_16TensorSizeStrideIS8_Lj4EEEiS8_.uses_flat_scratch, 0
	.set _ZN2at6native12_GLOBAL__N_130CatArrayBatchedCopy_vectorizedINS1_10OpaqueTypeILj2EEEjLi3ELi128ELi1ELi16ELi8EEEvPcNS1_25CatArrInputTensorMetadataIT_T0_XT2_EXT3_EEENS1_16TensorSizeStrideIS8_Lj4EEEiS8_.has_dyn_sized_stack, 0
	.set _ZN2at6native12_GLOBAL__N_130CatArrayBatchedCopy_vectorizedINS1_10OpaqueTypeILj2EEEjLi3ELi128ELi1ELi16ELi8EEEvPcNS1_25CatArrInputTensorMetadataIT_T0_XT2_EXT3_EEENS1_16TensorSizeStrideIS8_Lj4EEEiS8_.has_recursion, 0
	.set _ZN2at6native12_GLOBAL__N_130CatArrayBatchedCopy_vectorizedINS1_10OpaqueTypeILj2EEEjLi3ELi128ELi1ELi16ELi8EEEvPcNS1_25CatArrInputTensorMetadataIT_T0_XT2_EXT3_EEENS1_16TensorSizeStrideIS8_Lj4EEEiS8_.has_indirect_call, 0
	.section	.AMDGPU.csdata,"",@progbits
; Kernel info:
; codeLenInByte = 580
; TotalNumSgprs: 32
; NumVgprs: 14
; NumAgprs: 0
; TotalNumVgprs: 14
; ScratchSize: 0
; MemoryBound: 0
; FloatMode: 240
; IeeeMode: 1
; LDSByteSize: 0 bytes/workgroup (compile time only)
; SGPRBlocks: 3
; VGPRBlocks: 1
; NumSGPRsForWavesPerEU: 32
; NumVGPRsForWavesPerEU: 14
; AccumOffset: 16
; Occupancy: 8
; WaveLimiterHint : 1
; COMPUTE_PGM_RSRC2:SCRATCH_EN: 0
; COMPUTE_PGM_RSRC2:USER_SGPR: 2
; COMPUTE_PGM_RSRC2:TRAP_HANDLER: 0
; COMPUTE_PGM_RSRC2:TGID_X_EN: 1
; COMPUTE_PGM_RSRC2:TGID_Y_EN: 1
; COMPUTE_PGM_RSRC2:TGID_Z_EN: 0
; COMPUTE_PGM_RSRC2:TIDIG_COMP_CNT: 0
; COMPUTE_PGM_RSRC3_GFX90A:ACCUM_OFFSET: 3
; COMPUTE_PGM_RSRC3_GFX90A:TG_SPLIT: 0
	.section	.text._ZN2at6native12_GLOBAL__N_135CatArrayBatchedCopy_alignedK_contigINS1_10OpaqueTypeILj2EEEjLi3ELi128ELi1ELi16EEEvPT_NS1_25CatArrInputTensorMetadataIS5_T0_XT2_EXT3_EEENS1_16TensorSizeStrideIS8_Lj4EEEiS8_,"axG",@progbits,_ZN2at6native12_GLOBAL__N_135CatArrayBatchedCopy_alignedK_contigINS1_10OpaqueTypeILj2EEEjLi3ELi128ELi1ELi16EEEvPT_NS1_25CatArrInputTensorMetadataIS5_T0_XT2_EXT3_EEENS1_16TensorSizeStrideIS8_Lj4EEEiS8_,comdat
	.globl	_ZN2at6native12_GLOBAL__N_135CatArrayBatchedCopy_alignedK_contigINS1_10OpaqueTypeILj2EEEjLi3ELi128ELi1ELi16EEEvPT_NS1_25CatArrInputTensorMetadataIS5_T0_XT2_EXT3_EEENS1_16TensorSizeStrideIS8_Lj4EEEiS8_ ; -- Begin function _ZN2at6native12_GLOBAL__N_135CatArrayBatchedCopy_alignedK_contigINS1_10OpaqueTypeILj2EEEjLi3ELi128ELi1ELi16EEEvPT_NS1_25CatArrInputTensorMetadataIS5_T0_XT2_EXT3_EEENS1_16TensorSizeStrideIS8_Lj4EEEiS8_
	.p2align	8
	.type	_ZN2at6native12_GLOBAL__N_135CatArrayBatchedCopy_alignedK_contigINS1_10OpaqueTypeILj2EEEjLi3ELi128ELi1ELi16EEEvPT_NS1_25CatArrInputTensorMetadataIS5_T0_XT2_EXT3_EEENS1_16TensorSizeStrideIS8_Lj4EEEiS8_,@function
_ZN2at6native12_GLOBAL__N_135CatArrayBatchedCopy_alignedK_contigINS1_10OpaqueTypeILj2EEEjLi3ELi128ELi1ELi16EEEvPT_NS1_25CatArrInputTensorMetadataIS5_T0_XT2_EXT3_EEENS1_16TensorSizeStrideIS8_Lj4EEEiS8_: ; @_ZN2at6native12_GLOBAL__N_135CatArrayBatchedCopy_alignedK_contigINS1_10OpaqueTypeILj2EEEjLi3ELi128ELi1ELi16EEEvPT_NS1_25CatArrInputTensorMetadataIS5_T0_XT2_EXT3_EEENS1_16TensorSizeStrideIS8_Lj4EEEiS8_
; %bb.0:
	s_mov_b32 s6, s3
	s_load_dword s3, s[0:1], 0xadc
	s_add_u32 s4, s0, 0xad0
	s_mov_b32 s7, 0
	s_addc_u32 s5, s1, 0
	s_lshl_b64 s[6:7], s[6:7], 2
	s_waitcnt lgkmcnt(0)
	s_and_b32 s3, s3, 0xffff
	s_add_u32 s8, s0, s6
	s_addc_u32 s9, s1, s7
	s_load_dword s33, s[8:9], 0x808
	s_mul_i32 s2, s2, s3
	v_add_lshl_u32 v0, s2, v0, 3
	s_add_u32 s2, s8, 8
	s_addc_u32 s8, s9, 0
	s_waitcnt lgkmcnt(0)
	v_cmp_gt_u32_e32 vcc, s33, v0
	s_and_saveexec_b64 s[10:11], vcc
	s_cbranch_execz .LBB31_8
; %bb.1:
	s_add_u32 s10, s2, s6
	s_addc_u32 s11, s8, s7
	s_sub_u32 s2, 0, s6
	s_load_dwordx2 s[24:25], s[0:1], 0xac8
	s_load_dwordx4 s[16:19], s[0:1], 0xab8
	s_subb_u32 s7, 0, s7
	s_add_u32 s6, s10, s2
	s_addc_u32 s7, s11, s7
	s_waitcnt lgkmcnt(0)
	s_load_dword s19, s[6:7], 0x400
	s_load_dwordx2 s[20:21], s[0:1], 0x0
	s_load_dwordx2 s[26:27], s[0:1], 0xaac
	;; [unrolled: 1-line block ×3, first 2 shown]
	s_load_dword s34, s[6:7], 0x600
	v_add_u32_e32 v1, 8, v0
	s_mov_b64 s[28:29], 0
	s_waitcnt lgkmcnt(0)
	s_mul_i32 s19, s19, s25
	v_cmp_ge_u32_e32 vcc, s33, v1
	s_and_saveexec_b64 s[30:31], vcc
	s_cbranch_execz .LBB31_5
; %bb.2:
	s_load_dword s0, s[4:5], 0x0
	v_mov_b32_e32 v1, 0
	v_add_u32_e32 v9, 7, v0
	v_add_u32_e32 v11, 6, v0
	;; [unrolled: 1-line block ×3, first 2 shown]
	s_waitcnt lgkmcnt(0)
	s_mul_i32 s0, s0, s3
	s_lshl_b32 s25, s0, 3
	s_cmp_eq_u32 s24, 2
	s_cselect_b32 s35, s34, s27
	s_cmp_eq_u32 s24, 1
	v_cvt_f32_u32_e32 v2, s35
	s_cselect_b32 s36, s34, s26
	v_cvt_f32_u32_e32 v3, s36
	s_sub_i32 s37, 0, s35
	v_rcp_iflag_f32_e32 v2, v2
	s_sub_i32 s0, 0, s36
	v_rcp_iflag_f32_e32 v3, v3
	v_add_u32_e32 v20, 4, v0
	v_mul_f32_e32 v2, 0x4f7ffffe, v2
	v_cvt_u32_f32_e32 v2, v2
	v_mul_f32_e32 v3, 0x4f7ffffe, v3
	v_cvt_u32_f32_e32 v3, v3
	v_add_u32_e32 v21, 3, v0
	v_mul_lo_u32 v4, s37, v2
	v_mul_hi_u32 v4, v2, v4
	v_mul_lo_u32 v5, s0, v3
	v_add_u32_e32 v13, v2, v4
	v_mul_hi_u32 v2, v3, v5
	v_add_u32_e32 v18, v3, v2
	v_add_u32_e32 v22, 2, v0
	;; [unrolled: 1-line block ×3, first 2 shown]
.LBB31_3:                               ; =>This Inner Loop Header: Depth=1
	v_mul_hi_u32 v25, v13, v0
	v_mul_hi_u32 v15, v13, v9
	;; [unrolled: 1-line block ×4, first 2 shown]
	v_add_u32_e32 v14, 1, v0
	v_add_u32_e32 v6, 4, v0
	v_mov_b32_e32 v7, v1
	v_not_b32_e32 v38, v25
	v_mad_u64_u32 v[32:33], s[0:1], s37, v25, v[0:1]
	v_not_b32_e32 v46, v30
	v_add_u32_e32 v33, 1, v25
	v_mul_hi_u32 v47, v14, v13
	v_mad_u64_u32 v[30:31], s[0:1], s37, v30, v[14:15]
	v_mad_u64_u32 v[36:37], s[0:1], s37, v27, v[6:7]
	v_cmp_le_u32_e32 vcc, s35, v32
	v_mad_u64_u32 v[38:39], s[0:1], s35, v38, v[0:1]
	v_mul_hi_u32 v24, v13, v11
	v_mul_hi_u32 v29, v13, v22
	v_add_u32_e32 v2, 2, v0
	v_add_u32_e32 v10, 6, v0
	v_add_u32_e32 v12, 7, v0
	v_mov_b32_e32 v3, v1
	v_cndmask_b32_e32 v37, v25, v33, vcc
	v_cndmask_b32_e32 v38, v32, v38, vcc
	v_mad_u64_u32 v[32:33], s[0:1], s35, v46, v[14:15]
	v_add_u32_e32 v14, 1, v47
	v_cmp_le_u32_e32 vcc, s35, v30
	v_not_b32_e32 v40, v15
	v_not_b32_e32 v41, v24
	v_mul_hi_u32 v31, v2, v13
	v_mad_u64_u32 v[34:35], s[0:1], s37, v29, v[2:3]
	v_cndmask_b32_e32 v46, v47, v14, vcc
	v_mad_u64_u32 v[24:25], s[0:1], s37, v24, v[10:11]
	v_mad_u64_u32 v[14:15], s[0:1], s37, v15, v[12:13]
	v_mul_hi_u32 v28, v13, v21
	v_not_b32_e32 v45, v29
	v_cndmask_b32_e32 v25, v30, v32, vcc
	v_add_u32_e32 v15, 1, v31
	v_cmp_le_u32_e32 vcc, s35, v34
	v_add_u32_e32 v4, 3, v0
	v_mov_b32_e32 v5, v1
	v_not_b32_e32 v44, v28
	v_cndmask_b32_e32 v49, v31, v15, vcc
	v_mad_u64_u32 v[30:31], s[0:1], s35, v45, v[2:3]
	v_mul_hi_u32 v26, v13, v19
	v_mul_hi_u32 v35, v4, v13
	v_mad_u64_u32 v[28:29], s[0:1], s37, v28, v[4:5]
	v_mul_hi_u32 v48, v6, v13
	v_cndmask_b32_e32 v15, v34, v30, vcc
	v_mad_u64_u32 v[30:31], s[0:1], s35, v44, v[4:5]
	v_add_u32_e32 v8, 5, v0
	v_not_b32_e32 v42, v26
	v_not_b32_e32 v43, v27
	v_add_u32_e32 v29, 1, v35
	v_add_u32_e32 v31, 1, v48
	v_cmp_le_u32_e32 vcc, s35, v28
	v_cmp_le_u32_e64 s[2:3], s35, v36
	v_mul_hi_u32 v39, v8, v13
	v_mad_u64_u32 v[26:27], s[0:1], s37, v26, v[8:9]
	v_cndmask_b32_e32 v34, v35, v29, vcc
	v_mad_u64_u32 v[32:33], s[0:1], s35, v43, v[6:7]
	v_cndmask_b32_e32 v35, v28, v30, vcc
	v_mad_u64_u32 v[28:29], s[0:1], s35, v42, v[8:9]
	v_cndmask_b32_e64 v42, v48, v31, s[2:3]
	v_mad_u64_u32 v[30:31], s[4:5], s35, v41, v[10:11]
	v_mul_hi_u32 v27, v10, v13
	v_add_u32_e32 v43, 1, v39
	v_cmp_le_u32_e32 vcc, s35, v26
	v_cndmask_b32_e64 v31, v36, v32, s[2:3]
	v_mad_u64_u32 v[32:33], s[4:5], s35, v40, v[12:13]
	v_add_u32_e32 v29, 1, v27
	v_cmp_le_u32_e64 s[0:1], s35, v24
	v_cmp_le_u32_e64 s[2:3], s35, v14
	v_add_u32_e32 v33, 1, v37
	v_cndmask_b32_e32 v39, v39, v43, vcc
	v_cndmask_b32_e32 v26, v26, v28, vcc
	v_cmp_le_u32_e32 vcc, s35, v38
	v_mul_hi_u32 v47, v12, v13
	v_cndmask_b32_e64 v27, v27, v29, s[0:1]
	v_cndmask_b32_e64 v24, v24, v30, s[0:1]
	;; [unrolled: 1-line block ×3, first 2 shown]
	v_cndmask_b32_e32 v30, v37, v33, vcc
	v_add_u32_e32 v29, 1, v46
	v_cmp_le_u32_e32 vcc, s35, v25
	v_add_u32_e32 v25, 1, v49
	v_cmp_le_u32_e64 s[0:1], s35, v15
	v_add_u32_e32 v36, 1, v47
	v_cmp_le_u32_e64 s[4:5], s35, v31
	;; [unrolled: 2-line block ×3, first 2 shown]
	v_cmp_le_u32_e64 s[10:11], s35, v14
	v_mad_u64_u32 v[14:15], s[12:13], s37, v30, v[0:1]
	v_cndmask_b32_e32 v43, v46, v29, vcc
	v_cndmask_b32_e64 v46, v49, v25, s[0:1]
	v_cndmask_b32_e64 v28, v47, v36, s[2:3]
	v_add_u32_e32 v32, 1, v34
	v_cmp_le_u32_e64 s[2:3], s35, v35
	v_add_u32_e32 v26, 1, v27
	v_cmp_le_u32_e64 s[8:9], s35, v24
	v_mul_hi_u32 v15, v30, v18
	v_cndmask_b32_e64 v49, v39, v31, s[6:7]
	v_mul_hi_u32 v31, v46, v18
	v_add_u32_e32 v24, 1, v28
	v_cndmask_b32_e64 v47, v34, v32, s[2:3]
	v_cndmask_b32_e64 v26, v27, v26, s[8:9]
	v_mul_lo_u32 v27, v15, s36
	v_mul_lo_u32 v38, v31, s36
	v_cndmask_b32_e64 v28, v28, v24, s[10:11]
	v_mad_u64_u32 v[24:25], s[0:1], s37, v43, v[0:1]
	v_mul_hi_u32 v32, v47, v18
	v_sub_u32_e32 v27, v30, v27
	v_sub_u32_e32 v38, v46, v38
	v_lshl_add_u64 v[16:17], v[0:1], 1, s[22:23]
	v_add_u32_e32 v29, 1, v15
	v_mul_hi_u32 v35, v26, v18
	v_add_u32_e32 v0, s25, v0
	v_add_u32_e32 v39, 1, v31
	v_mul_lo_u32 v40, v32, s36
	v_cmp_le_u32_e64 s[0:1], s36, v27
	v_cmp_le_u32_e64 s[2:3], s36, v38
	v_add_u32_e32 v33, 1, v42
	v_cndmask_b32_e64 v15, v15, v29, s[0:1]
	v_add_u32_e32 v29, 8, v0
	v_cndmask_b32_e64 v31, v31, v39, s[2:3]
	v_mul_lo_u32 v39, v35, s36
	v_sub_u32_e32 v40, v47, v40
	v_cndmask_b32_e64 v48, v42, v33, s[4:5]
	v_mul_hi_u32 v25, v43, v18
	v_add_u32_e32 v41, 1, v32
	v_cmp_lt_u32_e32 vcc, s33, v29
	v_subrev_u32_e32 v29, s36, v27
	v_cmp_le_u32_e64 s[4:5], s36, v40
	v_sub_u32_e32 v39, v26, v39
	v_mul_lo_u32 v42, s18, v24
	v_mul_lo_u32 v24, v25, s36
	v_cndmask_b32_e64 v27, v27, v29, s[0:1]
	v_cndmask_b32_e64 v32, v32, v41, s[4:5]
	v_add_u32_e32 v41, 1, v35
	v_cmp_le_u32_e64 s[10:11], s36, v39
	v_mul_hi_u32 v33, v48, v18
	v_sub_u32_e32 v24, v43, v24
	v_cndmask_b32_e64 v35, v35, v41, s[10:11]
	v_add_u32_e32 v41, 1, v15
	v_cmp_le_u32_e64 s[14:15], s36, v27
	v_mul_hi_u32 v34, v49, v18
	v_mul_lo_u32 v44, v33, s36
	v_cmp_le_u32_e64 s[0:1], s36, v24
	v_cndmask_b32_e64 v50, v15, v41, s[14:15]
	v_subrev_u32_e32 v15, s36, v24
	v_mul_lo_u32 v29, v34, s36
	v_sub_u32_e32 v44, v48, v44
	v_cndmask_b32_e64 v15, v24, v15, s[0:1]
	v_subrev_u32_e32 v24, s36, v38
	v_subrev_u32_e32 v27, s36, v40
	v_mul_hi_u32 v36, v28, v18
	v_add_u32_e32 v45, 1, v33
	v_cmp_le_u32_e64 s[6:7], s36, v44
	v_sub_u32_e32 v29, v49, v29
	v_cndmask_b32_e64 v24, v38, v24, s[2:3]
	v_cndmask_b32_e64 v38, v40, v27, s[4:5]
	v_subrev_u32_e32 v27, s36, v44
	v_cndmask_b32_e64 v33, v33, v45, s[6:7]
	v_mul_lo_u32 v45, v36, s36
	v_cmp_le_u32_e64 s[8:9], s36, v29
	v_cndmask_b32_e64 v40, v44, v27, s[6:7]
	v_subrev_u32_e32 v27, s36, v29
	v_add_u32_e32 v37, 1, v25
	v_sub_u32_e32 v45, v28, v45
	v_cndmask_b32_e64 v41, v29, v27, s[8:9]
	v_subrev_u32_e32 v27, s36, v39
	v_cndmask_b32_e64 v37, v25, v37, s[0:1]
	v_cmp_le_u32_e64 s[12:13], s36, v45
	v_cndmask_b32_e64 v39, v39, v27, s[10:11]
	v_subrev_u32_e32 v27, s36, v45
	v_cndmask_b32_e64 v44, v45, v27, s[12:13]
	v_add_u32_e32 v27, 1, v37
	v_cmp_le_u32_e64 s[0:1], s36, v15
	v_add_u32_e32 v15, 1, v31
	v_add_u32_e32 v25, 1, v34
	v_cndmask_b32_e64 v45, v37, v27, s[0:1]
	v_cmp_le_u32_e64 s[0:1], s36, v24
	v_cndmask_b32_e64 v34, v34, v25, s[8:9]
	v_add_u32_e32 v24, 1, v33
	v_cndmask_b32_e64 v51, v31, v15, s[0:1]
	v_add_u32_e32 v15, 1, v32
	v_cmp_le_u32_e64 s[0:1], s36, v38
	v_add_u32_e32 v25, 1, v36
	v_cndmask_b32_e64 v36, v36, v25, s[12:13]
	v_cndmask_b32_e64 v52, v32, v15, s[0:1]
	v_cmp_le_u32_e64 s[0:1], s36, v40
	v_add_u32_e32 v15, 1, v34
	v_mov_b32_e32 v25, v1
	v_cndmask_b32_e64 v53, v33, v24, s[0:1]
	v_cmp_le_u32_e64 s[0:1], s36, v41
	v_add_u32_e32 v24, 1, v35
	v_add_u32_e32 v11, s25, v11
	v_cndmask_b32_e64 v54, v34, v15, s[0:1]
	v_cmp_le_u32_e64 s[0:1], s36, v39
	v_add_u32_e32 v15, 1, v36
	v_mov_b32_e32 v27, v1
	v_cndmask_b32_e64 v55, v35, v24, s[0:1]
	v_cmp_le_u32_e64 s[0:1], s36, v44
	v_mul_lo_u32 v24, v50, s16
	v_mov_b32_e32 v29, v1
	v_cndmask_b32_e64 v56, v36, v15, s[0:1]
	v_mad_u64_u32 v[32:33], s[0:1], v14, s18, v[24:25]
	global_load_dwordx4 v[14:17], v[16:17], off
	v_mad_u64_u32 v[34:35], s[0:1], s37, v46, v[2:3]
	v_mul_lo_u32 v2, v50, s36
	v_mad_u64_u32 v[38:39], s[0:1], s37, v48, v[6:7]
	v_sub_u32_e32 v6, v30, v2
	v_mul_lo_u32 v2, v45, s36
	v_mad_u64_u32 v[40:41], s[0:1], s37, v49, v[8:9]
	v_sub_u32_e32 v8, v43, v2
	v_mul_lo_u32 v2, v51, s16
	v_mad_u64_u32 v[36:37], s[0:1], s37, v47, v[4:5]
	v_mad_u64_u32 v[34:35], s[0:1], v34, s18, v[2:3]
	v_mul_lo_u32 v2, v52, s16
	v_mad_u64_u32 v[36:37], s[0:1], v36, s18, v[2:3]
	v_mul_lo_u32 v2, v53, s16
	;; [unrolled: 2-line block ×3, first 2 shown]
	v_mul_lo_u32 v4, v45, s16
	v_mad_u64_u32 v[40:41], s[0:1], v40, s18, v[2:3]
	v_mul_lo_u32 v2, v51, s36
	v_add3_u32 v24, v42, s18, v4
	v_mad_u64_u32 v[42:43], s[0:1], s37, v26, v[10:11]
	v_mad_u64_u32 v[44:45], s[0:1], s37, v28, v[12:13]
	v_mul_lo_u32 v4, v52, s36
	v_mul_lo_u32 v10, v53, s36
	;; [unrolled: 1-line block ×3, first 2 shown]
	v_sub_u32_e32 v30, v46, v2
	v_mul_lo_u32 v35, v55, s36
	v_mul_lo_u32 v2, v55, s16
	;; [unrolled: 1-line block ×3, first 2 shown]
	v_sub_u32_e32 v37, v47, v4
	v_sub_u32_e32 v10, v48, v10
	v_sub_u32_e32 v12, v49, v12
	v_mul_lo_u32 v4, v56, s16
	v_mul_lo_u32 v6, v6, s17
	v_sub_u32_e32 v26, v26, v35
	v_mad_u64_u32 v[42:43], s[0:1], v42, s18, v[2:3]
	v_sub_u32_e32 v2, v28, v39
	v_mad_u64_u32 v[44:45], s[0:1], v44, s18, v[4:5]
	v_mul_lo_u32 v8, v8, s17
	v_mul_lo_u32 v28, v30, s17
	;; [unrolled: 1-line block ×7, first 2 shown]
	v_add3_u32 v4, v32, v6, s19
	v_mov_b32_e32 v31, v1
	v_mov_b32_e32 v33, v1
	v_add_u32_e32 v9, s25, v9
	v_add_u32_e32 v19, s25, v19
	;; [unrolled: 1-line block ×6, first 2 shown]
	s_or_b64 s[28:29], vcc, s[28:29]
	v_lshl_add_u64 v[4:5], v[4:5], 1, s[20:21]
	v_add3_u32 v2, v24, v8, s19
	v_add3_u32 v6, v34, v28, s19
	;; [unrolled: 1-line block ×7, first 2 shown]
	v_lshl_add_u64 v[2:3], v[2:3], 1, s[20:21]
	v_lshl_add_u64 v[6:7], v[6:7], 1, s[20:21]
	;; [unrolled: 1-line block ×7, first 2 shown]
	s_waitcnt vmcnt(0)
	global_store_short v[4:5], v14, off
	global_store_short_d16_hi v[2:3], v14, off
	global_store_short v[6:7], v15, off
	global_store_short_d16_hi v[24:25], v15, off
	;; [unrolled: 2-line block ×4, first 2 shown]
	s_andn2_b64 exec, exec, s[28:29]
	s_cbranch_execnz .LBB31_3
; %bb.4:
	s_or_b64 exec, exec, s[28:29]
.LBB31_5:
	s_or_b64 exec, exec, s[30:31]
	v_cmp_gt_u32_e32 vcc, s33, v0
	s_and_b64 exec, exec, vcc
	s_cbranch_execz .LBB31_8
; %bb.6:
	s_cmp_eq_u32 s24, 2
	s_cselect_b32 s4, s34, s27
	v_cvt_f32_u32_e32 v1, s4
	s_cmp_eq_u32 s24, 1
	s_cselect_b32 s5, s34, s26
	v_cvt_f32_u32_e32 v2, s5
	v_rcp_iflag_f32_e32 v1, v1
	s_sub_i32 s0, 0, s4
	v_mov_b32_e32 v3, 0
	v_rcp_iflag_f32_e32 v2, v2
	v_mul_f32_e32 v1, 0x4f7ffffe, v1
	v_cvt_u32_f32_e32 v1, v1
	v_mov_b32_e32 v5, v3
	v_mul_f32_e32 v2, 0x4f7ffffe, v2
	v_cvt_u32_f32_e32 v2, v2
	v_mul_lo_u32 v4, s0, v1
	v_mul_hi_u32 v4, v1, v4
	s_sub_i32 s0, 0, s5
	v_add_u32_e32 v4, v1, v4
	v_mul_lo_u32 v1, s0, v2
	v_mul_hi_u32 v1, v2, v1
	v_add_u32_e32 v10, v2, v1
	v_mov_b32_e32 v1, v3
	v_mad_u64_u32 v[6:7], s[0:1], v0, v4, 0
	v_lshl_add_u64 v[8:9], v[0:1], 1, s[22:23]
	s_mov_b64 s[2:3], 0
.LBB31_7:                               ; =>This Inner Loop Header: Depth=1
	global_load_ushort v1, v[8:9], off
	v_mul_lo_u32 v2, s4, v7
	v_not_b32_e32 v11, v7
	v_sub_u32_e32 v2, v0, v2
	v_add_u32_e32 v14, 1, v7
	v_cmp_le_u32_e32 vcc, s4, v2
	v_lshl_add_u64 v[8:9], v[8:9], 0, 2
	s_waitcnt vmcnt(0)
	v_mad_u64_u32 v[12:13], s[0:1], s4, v11, v[0:1]
	v_cndmask_b32_e32 v11, v7, v14, vcc
	v_cndmask_b32_e32 v2, v2, v12, vcc
	v_add_u32_e32 v12, 1, v11
	v_cmp_le_u32_e32 vcc, s4, v2
	v_lshl_add_u64 v[6:7], v[6:7], 0, v[4:5]
	s_nop 0
	v_cndmask_b32_e32 v11, v11, v12, vcc
	v_mul_hi_u32 v2, v11, v10
	v_mul_lo_u32 v13, v2, s5
	v_sub_u32_e32 v13, v11, v13
	v_mul_lo_u32 v12, v11, s4
	v_add_u32_e32 v14, 1, v2
	v_cmp_le_u32_e64 s[0:1], s5, v13
	v_sub_u32_e32 v12, v0, v12
	v_add_u32_e32 v0, 1, v0
	v_cndmask_b32_e64 v2, v2, v14, s[0:1]
	v_subrev_u32_e32 v14, s5, v13
	v_cmp_le_u32_e32 vcc, s33, v0
	v_cndmask_b32_e64 v13, v13, v14, s[0:1]
	s_or_b64 s[2:3], vcc, s[2:3]
	v_add_u32_e32 v14, 1, v2
	v_cmp_le_u32_e32 vcc, s5, v13
	s_nop 1
	v_cndmask_b32_e32 v2, v2, v14, vcc
	v_mul_lo_u32 v13, v2, s5
	v_mul_lo_u32 v2, v2, s16
	v_sub_u32_e32 v11, v11, v13
	v_mad_u64_u32 v[12:13], s[0:1], v12, s18, v[2:3]
	v_mul_lo_u32 v2, v11, s17
	v_add3_u32 v2, v12, v2, s19
	v_lshl_add_u64 v[12:13], v[2:3], 1, s[20:21]
	global_store_short v[12:13], v1, off
	s_andn2_b64 exec, exec, s[2:3]
	s_cbranch_execnz .LBB31_7
.LBB31_8:
	s_endpgm
	.section	.rodata,"a",@progbits
	.p2align	6, 0x0
	.amdhsa_kernel _ZN2at6native12_GLOBAL__N_135CatArrayBatchedCopy_alignedK_contigINS1_10OpaqueTypeILj2EEEjLi3ELi128ELi1ELi16EEEvPT_NS1_25CatArrInputTensorMetadataIS5_T0_XT2_EXT3_EEENS1_16TensorSizeStrideIS8_Lj4EEEiS8_
		.amdhsa_group_segment_fixed_size 0
		.amdhsa_private_segment_fixed_size 0
		.amdhsa_kernarg_size 3024
		.amdhsa_user_sgpr_count 2
		.amdhsa_user_sgpr_dispatch_ptr 0
		.amdhsa_user_sgpr_queue_ptr 0
		.amdhsa_user_sgpr_kernarg_segment_ptr 1
		.amdhsa_user_sgpr_dispatch_id 0
		.amdhsa_user_sgpr_kernarg_preload_length 0
		.amdhsa_user_sgpr_kernarg_preload_offset 0
		.amdhsa_user_sgpr_private_segment_size 0
		.amdhsa_uses_dynamic_stack 0
		.amdhsa_enable_private_segment 0
		.amdhsa_system_sgpr_workgroup_id_x 1
		.amdhsa_system_sgpr_workgroup_id_y 1
		.amdhsa_system_sgpr_workgroup_id_z 0
		.amdhsa_system_sgpr_workgroup_info 0
		.amdhsa_system_vgpr_workitem_id 0
		.amdhsa_next_free_vgpr 57
		.amdhsa_next_free_sgpr 38
		.amdhsa_accum_offset 60
		.amdhsa_reserve_vcc 1
		.amdhsa_float_round_mode_32 0
		.amdhsa_float_round_mode_16_64 0
		.amdhsa_float_denorm_mode_32 3
		.amdhsa_float_denorm_mode_16_64 3
		.amdhsa_dx10_clamp 1
		.amdhsa_ieee_mode 1
		.amdhsa_fp16_overflow 0
		.amdhsa_tg_split 0
		.amdhsa_exception_fp_ieee_invalid_op 0
		.amdhsa_exception_fp_denorm_src 0
		.amdhsa_exception_fp_ieee_div_zero 0
		.amdhsa_exception_fp_ieee_overflow 0
		.amdhsa_exception_fp_ieee_underflow 0
		.amdhsa_exception_fp_ieee_inexact 0
		.amdhsa_exception_int_div_zero 0
	.end_amdhsa_kernel
	.section	.text._ZN2at6native12_GLOBAL__N_135CatArrayBatchedCopy_alignedK_contigINS1_10OpaqueTypeILj2EEEjLi3ELi128ELi1ELi16EEEvPT_NS1_25CatArrInputTensorMetadataIS5_T0_XT2_EXT3_EEENS1_16TensorSizeStrideIS8_Lj4EEEiS8_,"axG",@progbits,_ZN2at6native12_GLOBAL__N_135CatArrayBatchedCopy_alignedK_contigINS1_10OpaqueTypeILj2EEEjLi3ELi128ELi1ELi16EEEvPT_NS1_25CatArrInputTensorMetadataIS5_T0_XT2_EXT3_EEENS1_16TensorSizeStrideIS8_Lj4EEEiS8_,comdat
.Lfunc_end31:
	.size	_ZN2at6native12_GLOBAL__N_135CatArrayBatchedCopy_alignedK_contigINS1_10OpaqueTypeILj2EEEjLi3ELi128ELi1ELi16EEEvPT_NS1_25CatArrInputTensorMetadataIS5_T0_XT2_EXT3_EEENS1_16TensorSizeStrideIS8_Lj4EEEiS8_, .Lfunc_end31-_ZN2at6native12_GLOBAL__N_135CatArrayBatchedCopy_alignedK_contigINS1_10OpaqueTypeILj2EEEjLi3ELi128ELi1ELi16EEEvPT_NS1_25CatArrInputTensorMetadataIS5_T0_XT2_EXT3_EEENS1_16TensorSizeStrideIS8_Lj4EEEiS8_
                                        ; -- End function
	.set _ZN2at6native12_GLOBAL__N_135CatArrayBatchedCopy_alignedK_contigINS1_10OpaqueTypeILj2EEEjLi3ELi128ELi1ELi16EEEvPT_NS1_25CatArrInputTensorMetadataIS5_T0_XT2_EXT3_EEENS1_16TensorSizeStrideIS8_Lj4EEEiS8_.num_vgpr, 57
	.set _ZN2at6native12_GLOBAL__N_135CatArrayBatchedCopy_alignedK_contigINS1_10OpaqueTypeILj2EEEjLi3ELi128ELi1ELi16EEEvPT_NS1_25CatArrInputTensorMetadataIS5_T0_XT2_EXT3_EEENS1_16TensorSizeStrideIS8_Lj4EEEiS8_.num_agpr, 0
	.set _ZN2at6native12_GLOBAL__N_135CatArrayBatchedCopy_alignedK_contigINS1_10OpaqueTypeILj2EEEjLi3ELi128ELi1ELi16EEEvPT_NS1_25CatArrInputTensorMetadataIS5_T0_XT2_EXT3_EEENS1_16TensorSizeStrideIS8_Lj4EEEiS8_.numbered_sgpr, 38
	.set _ZN2at6native12_GLOBAL__N_135CatArrayBatchedCopy_alignedK_contigINS1_10OpaqueTypeILj2EEEjLi3ELi128ELi1ELi16EEEvPT_NS1_25CatArrInputTensorMetadataIS5_T0_XT2_EXT3_EEENS1_16TensorSizeStrideIS8_Lj4EEEiS8_.num_named_barrier, 0
	.set _ZN2at6native12_GLOBAL__N_135CatArrayBatchedCopy_alignedK_contigINS1_10OpaqueTypeILj2EEEjLi3ELi128ELi1ELi16EEEvPT_NS1_25CatArrInputTensorMetadataIS5_T0_XT2_EXT3_EEENS1_16TensorSizeStrideIS8_Lj4EEEiS8_.private_seg_size, 0
	.set _ZN2at6native12_GLOBAL__N_135CatArrayBatchedCopy_alignedK_contigINS1_10OpaqueTypeILj2EEEjLi3ELi128ELi1ELi16EEEvPT_NS1_25CatArrInputTensorMetadataIS5_T0_XT2_EXT3_EEENS1_16TensorSizeStrideIS8_Lj4EEEiS8_.uses_vcc, 1
	.set _ZN2at6native12_GLOBAL__N_135CatArrayBatchedCopy_alignedK_contigINS1_10OpaqueTypeILj2EEEjLi3ELi128ELi1ELi16EEEvPT_NS1_25CatArrInputTensorMetadataIS5_T0_XT2_EXT3_EEENS1_16TensorSizeStrideIS8_Lj4EEEiS8_.uses_flat_scratch, 0
	.set _ZN2at6native12_GLOBAL__N_135CatArrayBatchedCopy_alignedK_contigINS1_10OpaqueTypeILj2EEEjLi3ELi128ELi1ELi16EEEvPT_NS1_25CatArrInputTensorMetadataIS5_T0_XT2_EXT3_EEENS1_16TensorSizeStrideIS8_Lj4EEEiS8_.has_dyn_sized_stack, 0
	.set _ZN2at6native12_GLOBAL__N_135CatArrayBatchedCopy_alignedK_contigINS1_10OpaqueTypeILj2EEEjLi3ELi128ELi1ELi16EEEvPT_NS1_25CatArrInputTensorMetadataIS5_T0_XT2_EXT3_EEENS1_16TensorSizeStrideIS8_Lj4EEEiS8_.has_recursion, 0
	.set _ZN2at6native12_GLOBAL__N_135CatArrayBatchedCopy_alignedK_contigINS1_10OpaqueTypeILj2EEEjLi3ELi128ELi1ELi16EEEvPT_NS1_25CatArrInputTensorMetadataIS5_T0_XT2_EXT3_EEENS1_16TensorSizeStrideIS8_Lj4EEEiS8_.has_indirect_call, 0
	.section	.AMDGPU.csdata,"",@progbits
; Kernel info:
; codeLenInByte = 2616
; TotalNumSgprs: 44
; NumVgprs: 57
; NumAgprs: 0
; TotalNumVgprs: 57
; ScratchSize: 0
; MemoryBound: 0
; FloatMode: 240
; IeeeMode: 1
; LDSByteSize: 0 bytes/workgroup (compile time only)
; SGPRBlocks: 5
; VGPRBlocks: 7
; NumSGPRsForWavesPerEU: 44
; NumVGPRsForWavesPerEU: 57
; AccumOffset: 60
; Occupancy: 8
; WaveLimiterHint : 1
; COMPUTE_PGM_RSRC2:SCRATCH_EN: 0
; COMPUTE_PGM_RSRC2:USER_SGPR: 2
; COMPUTE_PGM_RSRC2:TRAP_HANDLER: 0
; COMPUTE_PGM_RSRC2:TGID_X_EN: 1
; COMPUTE_PGM_RSRC2:TGID_Y_EN: 1
; COMPUTE_PGM_RSRC2:TGID_Z_EN: 0
; COMPUTE_PGM_RSRC2:TIDIG_COMP_CNT: 0
; COMPUTE_PGM_RSRC3_GFX90A:ACCUM_OFFSET: 14
; COMPUTE_PGM_RSRC3_GFX90A:TG_SPLIT: 0
	.section	.text._ZN2at6native12_GLOBAL__N_135CatArrayBatchedCopy_alignedK_contigINS1_10OpaqueTypeILj2EEEjLi3ELi128ELi1ELi8EEEvPT_NS1_25CatArrInputTensorMetadataIS5_T0_XT2_EXT3_EEENS1_16TensorSizeStrideIS8_Lj4EEEiS8_,"axG",@progbits,_ZN2at6native12_GLOBAL__N_135CatArrayBatchedCopy_alignedK_contigINS1_10OpaqueTypeILj2EEEjLi3ELi128ELi1ELi8EEEvPT_NS1_25CatArrInputTensorMetadataIS5_T0_XT2_EXT3_EEENS1_16TensorSizeStrideIS8_Lj4EEEiS8_,comdat
	.globl	_ZN2at6native12_GLOBAL__N_135CatArrayBatchedCopy_alignedK_contigINS1_10OpaqueTypeILj2EEEjLi3ELi128ELi1ELi8EEEvPT_NS1_25CatArrInputTensorMetadataIS5_T0_XT2_EXT3_EEENS1_16TensorSizeStrideIS8_Lj4EEEiS8_ ; -- Begin function _ZN2at6native12_GLOBAL__N_135CatArrayBatchedCopy_alignedK_contigINS1_10OpaqueTypeILj2EEEjLi3ELi128ELi1ELi8EEEvPT_NS1_25CatArrInputTensorMetadataIS5_T0_XT2_EXT3_EEENS1_16TensorSizeStrideIS8_Lj4EEEiS8_
	.p2align	8
	.type	_ZN2at6native12_GLOBAL__N_135CatArrayBatchedCopy_alignedK_contigINS1_10OpaqueTypeILj2EEEjLi3ELi128ELi1ELi8EEEvPT_NS1_25CatArrInputTensorMetadataIS5_T0_XT2_EXT3_EEENS1_16TensorSizeStrideIS8_Lj4EEEiS8_,@function
_ZN2at6native12_GLOBAL__N_135CatArrayBatchedCopy_alignedK_contigINS1_10OpaqueTypeILj2EEEjLi3ELi128ELi1ELi8EEEvPT_NS1_25CatArrInputTensorMetadataIS5_T0_XT2_EXT3_EEENS1_16TensorSizeStrideIS8_Lj4EEEiS8_: ; @_ZN2at6native12_GLOBAL__N_135CatArrayBatchedCopy_alignedK_contigINS1_10OpaqueTypeILj2EEEjLi3ELi128ELi1ELi8EEEvPT_NS1_25CatArrInputTensorMetadataIS5_T0_XT2_EXT3_EEENS1_16TensorSizeStrideIS8_Lj4EEEiS8_
; %bb.0:
	s_mov_b32 s6, s3
	s_load_dword s3, s[0:1], 0xadc
	s_add_u32 s4, s0, 0xad0
	s_mov_b32 s7, 0
	s_addc_u32 s5, s1, 0
	s_lshl_b64 s[6:7], s[6:7], 2
	s_waitcnt lgkmcnt(0)
	s_and_b32 s3, s3, 0xffff
	s_add_u32 s8, s0, s6
	s_addc_u32 s9, s1, s7
	s_load_dword s22, s[8:9], 0x808
	s_mul_i32 s2, s2, s3
	v_add_lshl_u32 v0, s2, v0, 2
	s_add_u32 s2, s8, 8
	s_addc_u32 s12, s9, 0
	s_waitcnt lgkmcnt(0)
	v_cmp_gt_u32_e32 vcc, s22, v0
	s_and_saveexec_b64 s[8:9], vcc
	s_cbranch_execz .LBB32_8
; %bb.1:
	s_add_u32 s18, s2, s6
	s_addc_u32 s19, s12, s7
	s_sub_u32 s2, 0, s6
	s_load_dwordx2 s[14:15], s[0:1], 0xac8
	s_load_dwordx4 s[8:11], s[0:1], 0xab8
	s_subb_u32 s6, 0, s7
	s_add_u32 s20, s18, s2
	s_addc_u32 s21, s19, s6
	s_waitcnt lgkmcnt(0)
	s_load_dword s11, s[20:21], 0x400
	s_load_dwordx2 s[6:7], s[0:1], 0x0
	s_load_dwordx2 s[16:17], s[0:1], 0xaac
	;; [unrolled: 1-line block ×3, first 2 shown]
	s_load_dword s23, s[20:21], 0x600
	v_add_u32_e32 v1, 4, v0
	s_mov_b64 s[18:19], 0
	s_waitcnt lgkmcnt(0)
	s_mul_i32 s11, s11, s15
	v_cmp_ge_u32_e32 vcc, s22, v1
	s_and_saveexec_b64 s[20:21], vcc
	s_cbranch_execz .LBB32_5
; %bb.2:
	s_load_dword s0, s[4:5], 0x0
	v_mov_b32_e32 v1, 0
	v_add_u32_e32 v10, 3, v0
	v_add_u32_e32 v11, 2, v0
	;; [unrolled: 1-line block ×3, first 2 shown]
	s_waitcnt lgkmcnt(0)
	s_mul_i32 s0, s0, s3
	s_lshl_b32 s15, s0, 2
	s_cmp_eq_u32 s14, 2
	s_cselect_b32 s24, s23, s17
	s_cmp_eq_u32 s14, 1
	v_cvt_f32_u32_e32 v2, s24
	s_cselect_b32 s25, s23, s16
	v_cvt_f32_u32_e32 v3, s25
	s_sub_i32 s26, 0, s24
	v_rcp_iflag_f32_e32 v2, v2
	s_sub_i32 s0, 0, s25
	v_rcp_iflag_f32_e32 v3, v3
	v_mul_f32_e32 v2, 0x4f7ffffe, v2
	v_cvt_u32_f32_e32 v2, v2
	v_mul_f32_e32 v3, 0x4f7ffffe, v3
	v_cvt_u32_f32_e32 v3, v3
	v_mul_lo_u32 v4, s26, v2
	v_mul_hi_u32 v4, v2, v4
	v_mul_lo_u32 v5, s0, v3
	v_add_u32_e32 v12, v2, v4
	v_mul_hi_u32 v2, v3, v5
	v_add_u32_e32 v13, v3, v2
.LBB32_3:                               ; =>This Inner Loop Header: Depth=1
	v_lshl_add_u64 v[16:17], v[0:1], 1, s[12:13]
	global_load_dwordx2 v[16:17], v[16:17], off
	v_mul_hi_u32 v8, v12, v0
	v_mul_hi_u32 v22, v12, v11
	;; [unrolled: 1-line block ×3, first 2 shown]
	v_add_u32_e32 v4, 1, v0
	v_add_u32_e32 v2, 2, v0
	v_mov_b32_e32 v3, v1
	v_mov_b32_e32 v5, v1
	v_not_b32_e32 v26, v8
	v_mad_u64_u32 v[18:19], s[0:1], s26, v8, v[0:1]
	v_mul_hi_u32 v15, v12, v10
	v_add_u32_e32 v6, 3, v0
	v_mov_b32_e32 v7, v1
	v_not_b32_e32 v30, v22
	v_not_b32_e32 v28, v20
	v_add_u32_e32 v19, 1, v8
	v_mad_u64_u32 v[20:21], s[0:1], s26, v20, v[4:5]
	v_mad_u64_u32 v[22:23], s[0:1], s26, v22, v[2:3]
	v_cmp_le_u32_e32 vcc, s24, v18
	v_mad_u64_u32 v[26:27], s[0:1], s24, v26, v[0:1]
	v_not_b32_e32 v32, v15
	v_mul_hi_u32 v34, v4, v12
	v_mul_hi_u32 v21, v2, v12
	;; [unrolled: 1-line block ×3, first 2 shown]
	v_mad_u64_u32 v[24:25], s[0:1], s26, v15, v[6:7]
	v_cndmask_b32_e32 v8, v8, v19, vcc
	v_mad_u64_u32 v[28:29], s[2:3], s24, v28, v[4:5]
	v_mad_u64_u32 v[30:31], s[4:5], s24, v30, v[2:3]
	v_cndmask_b32_e32 v18, v18, v26, vcc
	v_add_u32_e32 v15, 1, v34
	v_cmp_le_u32_e64 s[0:1], s24, v20
	v_add_u32_e32 v4, 1, v21
	v_cmp_le_u32_e64 s[2:3], s24, v22
	v_add_u32_e32 v19, 1, v23
	v_cmp_le_u32_e64 s[4:5], s24, v24
	v_mad_u64_u32 v[32:33], s[28:29], s24, v32, v[6:7]
	v_add_u32_e32 v25, 1, v8
	v_cmp_le_u32_e32 vcc, s24, v18
	v_cndmask_b32_e64 v15, v34, v15, s[0:1]
	v_cndmask_b32_e64 v20, v20, v28, s[0:1]
	;; [unrolled: 1-line block ×6, first 2 shown]
	v_cndmask_b32_e32 v8, v8, v25, vcc
	v_add_u32_e32 v23, 1, v15
	v_cmp_le_u32_e32 vcc, s24, v20
	v_cmp_le_u32_e64 s[2:3], s24, v19
	v_mad_u64_u32 v[18:19], s[4:5], s26, v8, v[0:1]
	v_add_u32_e32 v20, 1, v4
	v_cmp_le_u32_e64 s[0:1], s24, v21
	v_add_u32_e32 v21, 1, v22
	v_mul_hi_u32 v19, v8, v13
	v_cndmask_b32_e32 v15, v15, v23, vcc
	v_cndmask_b32_e64 v26, v4, v20, s[0:1]
	v_cndmask_b32_e64 v27, v22, v21, s[2:3]
	v_mul_lo_u32 v4, v19, s25
	v_mad_u64_u32 v[20:21], s[0:1], s26, v15, v[0:1]
	v_mul_hi_u32 v21, v15, v13
	v_mad_u64_u32 v[22:23], s[0:1], s26, v26, v[2:3]
	v_sub_u32_e32 v4, v8, v4
	v_add_u32_e32 v28, 1, v19
	v_mul_hi_u32 v2, v26, v13
	v_add_u32_e32 v0, s15, v0
	v_mul_lo_u32 v23, v21, s25
	v_cmp_le_u32_e32 vcc, s25, v4
	v_mad_u64_u32 v[24:25], s[0:1], s26, v27, v[6:7]
	v_mul_hi_u32 v6, v27, v13
	v_mul_lo_u32 v29, v2, s25
	v_add_u32_e32 v33, 4, v0
	v_cndmask_b32_e32 v19, v19, v28, vcc
	v_subrev_u32_e32 v28, s25, v4
	v_sub_u32_e32 v23, v15, v23
	v_add_u32_e32 v25, 1, v21
	v_mul_lo_u32 v31, v6, s25
	v_sub_u32_e32 v29, v26, v29
	v_cmp_lt_u32_e64 s[0:1], s22, v33
	v_cndmask_b32_e32 v4, v4, v28, vcc
	v_cmp_le_u32_e32 vcc, s25, v23
	v_add_u32_e32 v30, 1, v2
	v_sub_u32_e32 v31, v27, v31
	v_add_u32_e32 v28, 1, v19
	v_cndmask_b32_e32 v21, v21, v25, vcc
	v_subrev_u32_e32 v25, s25, v23
	v_cmp_le_u32_e64 s[2:3], s25, v29
	s_or_b64 s[18:19], s[0:1], s[18:19]
	v_cmp_le_u32_e64 s[0:1], s25, v4
	v_add_u32_e32 v32, 1, v6
	v_cndmask_b32_e64 v30, v2, v30, s[2:3]
	v_subrev_u32_e32 v2, s25, v29
	v_cmp_le_u32_e64 s[4:5], s25, v31
	v_cndmask_b32_e64 v4, v19, v28, s[0:1]
	v_cndmask_b32_e32 v19, v23, v25, vcc
	v_cndmask_b32_e64 v6, v6, v32, s[4:5]
	v_subrev_u32_e32 v32, s25, v31
	v_add_u32_e32 v23, 1, v21
	v_cndmask_b32_e64 v25, v29, v2, s[2:3]
	v_cmp_le_u32_e32 vcc, s25, v19
	v_add_u32_e32 v28, 1, v30
	v_cndmask_b32_e64 v29, v31, v32, s[4:5]
	v_mul_lo_u32 v32, v4, s25
	v_mul_lo_u32 v2, v4, s8
	v_cndmask_b32_e32 v4, v21, v23, vcc
	v_cmp_le_u32_e32 vcc, s25, v25
	v_add_u32_e32 v31, 1, v6
	v_mad_u64_u32 v[18:19], s[0:1], v18, s10, v[2:3]
	v_cndmask_b32_e32 v21, v30, v28, vcc
	v_cmp_le_u32_e32 vcc, s25, v29
	v_mul_lo_u32 v20, s10, v20
	v_sub_u32_e32 v8, v8, v32
	v_cndmask_b32_e32 v6, v6, v31, vcc
	v_mul_lo_u32 v19, v4, s25
	v_mul_lo_u32 v23, v4, s8
	;; [unrolled: 1-line block ×7, first 2 shown]
	v_sub_u32_e32 v8, v15, v19
	v_add3_u32 v15, v20, s10, v23
	v_sub_u32_e32 v19, v26, v25
	v_mad_u64_u32 v[20:21], s[0:1], v22, s10, v[2:3]
	v_sub_u32_e32 v2, v27, v28
	v_mad_u64_u32 v[22:23], s[0:1], v24, s10, v[4:5]
	v_mul_lo_u32 v4, v8, s9
	v_mul_lo_u32 v8, v19, s9
	v_mul_lo_u32 v19, v2, s9
	v_add3_u32 v2, v18, v6, s11
	v_mov_b32_e32 v9, v1
	v_add_u32_e32 v10, s15, v10
	v_add_u32_e32 v11, s15, v11
	;; [unrolled: 1-line block ×3, first 2 shown]
	v_lshl_add_u64 v[2:3], v[2:3], 1, s[6:7]
	v_add3_u32 v4, v15, v4, s11
	v_add3_u32 v6, v20, v8, s11
	;; [unrolled: 1-line block ×3, first 2 shown]
	v_lshl_add_u64 v[4:5], v[4:5], 1, s[6:7]
	v_lshl_add_u64 v[6:7], v[6:7], 1, s[6:7]
	;; [unrolled: 1-line block ×3, first 2 shown]
	s_waitcnt vmcnt(0)
	global_store_short v[2:3], v16, off
	global_store_short_d16_hi v[4:5], v16, off
	global_store_short v[6:7], v17, off
	global_store_short_d16_hi v[8:9], v17, off
	s_andn2_b64 exec, exec, s[18:19]
	s_cbranch_execnz .LBB32_3
; %bb.4:
	s_or_b64 exec, exec, s[18:19]
.LBB32_5:
	s_or_b64 exec, exec, s[20:21]
	v_cmp_gt_u32_e32 vcc, s22, v0
	s_and_b64 exec, exec, vcc
	s_cbranch_execz .LBB32_8
; %bb.6:
	s_cmp_eq_u32 s14, 2
	s_cselect_b32 s4, s23, s17
	v_cvt_f32_u32_e32 v1, s4
	s_cmp_eq_u32 s14, 1
	s_cselect_b32 s5, s23, s16
	v_cvt_f32_u32_e32 v2, s5
	v_rcp_iflag_f32_e32 v1, v1
	s_sub_i32 s0, 0, s4
	v_mov_b32_e32 v3, 0
	v_rcp_iflag_f32_e32 v2, v2
	v_mul_f32_e32 v1, 0x4f7ffffe, v1
	v_cvt_u32_f32_e32 v1, v1
	v_mov_b32_e32 v5, v3
	v_mul_f32_e32 v2, 0x4f7ffffe, v2
	v_cvt_u32_f32_e32 v2, v2
	v_mul_lo_u32 v4, s0, v1
	v_mul_hi_u32 v4, v1, v4
	s_sub_i32 s0, 0, s5
	v_add_u32_e32 v4, v1, v4
	v_mul_lo_u32 v1, s0, v2
	v_mul_hi_u32 v1, v2, v1
	v_add_u32_e32 v10, v2, v1
	v_mov_b32_e32 v1, v3
	v_mad_u64_u32 v[6:7], s[0:1], v0, v4, 0
	v_lshl_add_u64 v[8:9], v[0:1], 1, s[12:13]
	s_mov_b64 s[2:3], 0
.LBB32_7:                               ; =>This Inner Loop Header: Depth=1
	global_load_ushort v1, v[8:9], off
	v_mul_lo_u32 v2, s4, v7
	v_not_b32_e32 v11, v7
	v_sub_u32_e32 v2, v0, v2
	v_add_u32_e32 v14, 1, v7
	v_cmp_le_u32_e32 vcc, s4, v2
	v_lshl_add_u64 v[8:9], v[8:9], 0, 2
	s_waitcnt vmcnt(0)
	v_mad_u64_u32 v[12:13], s[0:1], s4, v11, v[0:1]
	v_cndmask_b32_e32 v11, v7, v14, vcc
	v_cndmask_b32_e32 v2, v2, v12, vcc
	v_add_u32_e32 v12, 1, v11
	v_cmp_le_u32_e32 vcc, s4, v2
	v_lshl_add_u64 v[6:7], v[6:7], 0, v[4:5]
	s_nop 0
	v_cndmask_b32_e32 v11, v11, v12, vcc
	v_mul_hi_u32 v2, v11, v10
	v_mul_lo_u32 v13, v2, s5
	v_sub_u32_e32 v13, v11, v13
	v_mul_lo_u32 v12, v11, s4
	v_add_u32_e32 v14, 1, v2
	v_cmp_le_u32_e64 s[0:1], s5, v13
	v_sub_u32_e32 v12, v0, v12
	v_add_u32_e32 v0, 1, v0
	v_cndmask_b32_e64 v2, v2, v14, s[0:1]
	v_subrev_u32_e32 v14, s5, v13
	v_cmp_le_u32_e32 vcc, s22, v0
	v_cndmask_b32_e64 v13, v13, v14, s[0:1]
	s_or_b64 s[2:3], vcc, s[2:3]
	v_add_u32_e32 v14, 1, v2
	v_cmp_le_u32_e32 vcc, s5, v13
	s_nop 1
	v_cndmask_b32_e32 v2, v2, v14, vcc
	v_mul_lo_u32 v13, v2, s5
	v_mul_lo_u32 v2, v2, s8
	v_sub_u32_e32 v11, v11, v13
	v_mad_u64_u32 v[12:13], s[0:1], v12, s10, v[2:3]
	v_mul_lo_u32 v2, v11, s9
	v_add3_u32 v2, v12, v2, s11
	v_lshl_add_u64 v[12:13], v[2:3], 1, s[6:7]
	global_store_short v[12:13], v1, off
	s_andn2_b64 exec, exec, s[2:3]
	s_cbranch_execnz .LBB32_7
.LBB32_8:
	s_endpgm
	.section	.rodata,"a",@progbits
	.p2align	6, 0x0
	.amdhsa_kernel _ZN2at6native12_GLOBAL__N_135CatArrayBatchedCopy_alignedK_contigINS1_10OpaqueTypeILj2EEEjLi3ELi128ELi1ELi8EEEvPT_NS1_25CatArrInputTensorMetadataIS5_T0_XT2_EXT3_EEENS1_16TensorSizeStrideIS8_Lj4EEEiS8_
		.amdhsa_group_segment_fixed_size 0
		.amdhsa_private_segment_fixed_size 0
		.amdhsa_kernarg_size 3024
		.amdhsa_user_sgpr_count 2
		.amdhsa_user_sgpr_dispatch_ptr 0
		.amdhsa_user_sgpr_queue_ptr 0
		.amdhsa_user_sgpr_kernarg_segment_ptr 1
		.amdhsa_user_sgpr_dispatch_id 0
		.amdhsa_user_sgpr_kernarg_preload_length 0
		.amdhsa_user_sgpr_kernarg_preload_offset 0
		.amdhsa_user_sgpr_private_segment_size 0
		.amdhsa_uses_dynamic_stack 0
		.amdhsa_enable_private_segment 0
		.amdhsa_system_sgpr_workgroup_id_x 1
		.amdhsa_system_sgpr_workgroup_id_y 1
		.amdhsa_system_sgpr_workgroup_id_z 0
		.amdhsa_system_sgpr_workgroup_info 0
		.amdhsa_system_vgpr_workitem_id 0
		.amdhsa_next_free_vgpr 35
		.amdhsa_next_free_sgpr 30
		.amdhsa_accum_offset 36
		.amdhsa_reserve_vcc 1
		.amdhsa_float_round_mode_32 0
		.amdhsa_float_round_mode_16_64 0
		.amdhsa_float_denorm_mode_32 3
		.amdhsa_float_denorm_mode_16_64 3
		.amdhsa_dx10_clamp 1
		.amdhsa_ieee_mode 1
		.amdhsa_fp16_overflow 0
		.amdhsa_tg_split 0
		.amdhsa_exception_fp_ieee_invalid_op 0
		.amdhsa_exception_fp_denorm_src 0
		.amdhsa_exception_fp_ieee_div_zero 0
		.amdhsa_exception_fp_ieee_overflow 0
		.amdhsa_exception_fp_ieee_underflow 0
		.amdhsa_exception_fp_ieee_inexact 0
		.amdhsa_exception_int_div_zero 0
	.end_amdhsa_kernel
	.section	.text._ZN2at6native12_GLOBAL__N_135CatArrayBatchedCopy_alignedK_contigINS1_10OpaqueTypeILj2EEEjLi3ELi128ELi1ELi8EEEvPT_NS1_25CatArrInputTensorMetadataIS5_T0_XT2_EXT3_EEENS1_16TensorSizeStrideIS8_Lj4EEEiS8_,"axG",@progbits,_ZN2at6native12_GLOBAL__N_135CatArrayBatchedCopy_alignedK_contigINS1_10OpaqueTypeILj2EEEjLi3ELi128ELi1ELi8EEEvPT_NS1_25CatArrInputTensorMetadataIS5_T0_XT2_EXT3_EEENS1_16TensorSizeStrideIS8_Lj4EEEiS8_,comdat
.Lfunc_end32:
	.size	_ZN2at6native12_GLOBAL__N_135CatArrayBatchedCopy_alignedK_contigINS1_10OpaqueTypeILj2EEEjLi3ELi128ELi1ELi8EEEvPT_NS1_25CatArrInputTensorMetadataIS5_T0_XT2_EXT3_EEENS1_16TensorSizeStrideIS8_Lj4EEEiS8_, .Lfunc_end32-_ZN2at6native12_GLOBAL__N_135CatArrayBatchedCopy_alignedK_contigINS1_10OpaqueTypeILj2EEEjLi3ELi128ELi1ELi8EEEvPT_NS1_25CatArrInputTensorMetadataIS5_T0_XT2_EXT3_EEENS1_16TensorSizeStrideIS8_Lj4EEEiS8_
                                        ; -- End function
	.set _ZN2at6native12_GLOBAL__N_135CatArrayBatchedCopy_alignedK_contigINS1_10OpaqueTypeILj2EEEjLi3ELi128ELi1ELi8EEEvPT_NS1_25CatArrInputTensorMetadataIS5_T0_XT2_EXT3_EEENS1_16TensorSizeStrideIS8_Lj4EEEiS8_.num_vgpr, 35
	.set _ZN2at6native12_GLOBAL__N_135CatArrayBatchedCopy_alignedK_contigINS1_10OpaqueTypeILj2EEEjLi3ELi128ELi1ELi8EEEvPT_NS1_25CatArrInputTensorMetadataIS5_T0_XT2_EXT3_EEENS1_16TensorSizeStrideIS8_Lj4EEEiS8_.num_agpr, 0
	.set _ZN2at6native12_GLOBAL__N_135CatArrayBatchedCopy_alignedK_contigINS1_10OpaqueTypeILj2EEEjLi3ELi128ELi1ELi8EEEvPT_NS1_25CatArrInputTensorMetadataIS5_T0_XT2_EXT3_EEENS1_16TensorSizeStrideIS8_Lj4EEEiS8_.numbered_sgpr, 30
	.set _ZN2at6native12_GLOBAL__N_135CatArrayBatchedCopy_alignedK_contigINS1_10OpaqueTypeILj2EEEjLi3ELi128ELi1ELi8EEEvPT_NS1_25CatArrInputTensorMetadataIS5_T0_XT2_EXT3_EEENS1_16TensorSizeStrideIS8_Lj4EEEiS8_.num_named_barrier, 0
	.set _ZN2at6native12_GLOBAL__N_135CatArrayBatchedCopy_alignedK_contigINS1_10OpaqueTypeILj2EEEjLi3ELi128ELi1ELi8EEEvPT_NS1_25CatArrInputTensorMetadataIS5_T0_XT2_EXT3_EEENS1_16TensorSizeStrideIS8_Lj4EEEiS8_.private_seg_size, 0
	.set _ZN2at6native12_GLOBAL__N_135CatArrayBatchedCopy_alignedK_contigINS1_10OpaqueTypeILj2EEEjLi3ELi128ELi1ELi8EEEvPT_NS1_25CatArrInputTensorMetadataIS5_T0_XT2_EXT3_EEENS1_16TensorSizeStrideIS8_Lj4EEEiS8_.uses_vcc, 1
	.set _ZN2at6native12_GLOBAL__N_135CatArrayBatchedCopy_alignedK_contigINS1_10OpaqueTypeILj2EEEjLi3ELi128ELi1ELi8EEEvPT_NS1_25CatArrInputTensorMetadataIS5_T0_XT2_EXT3_EEENS1_16TensorSizeStrideIS8_Lj4EEEiS8_.uses_flat_scratch, 0
	.set _ZN2at6native12_GLOBAL__N_135CatArrayBatchedCopy_alignedK_contigINS1_10OpaqueTypeILj2EEEjLi3ELi128ELi1ELi8EEEvPT_NS1_25CatArrInputTensorMetadataIS5_T0_XT2_EXT3_EEENS1_16TensorSizeStrideIS8_Lj4EEEiS8_.has_dyn_sized_stack, 0
	.set _ZN2at6native12_GLOBAL__N_135CatArrayBatchedCopy_alignedK_contigINS1_10OpaqueTypeILj2EEEjLi3ELi128ELi1ELi8EEEvPT_NS1_25CatArrInputTensorMetadataIS5_T0_XT2_EXT3_EEENS1_16TensorSizeStrideIS8_Lj4EEEiS8_.has_recursion, 0
	.set _ZN2at6native12_GLOBAL__N_135CatArrayBatchedCopy_alignedK_contigINS1_10OpaqueTypeILj2EEEjLi3ELi128ELi1ELi8EEEvPT_NS1_25CatArrInputTensorMetadataIS5_T0_XT2_EXT3_EEENS1_16TensorSizeStrideIS8_Lj4EEEiS8_.has_indirect_call, 0
	.section	.AMDGPU.csdata,"",@progbits
; Kernel info:
; codeLenInByte = 1660
; TotalNumSgprs: 36
; NumVgprs: 35
; NumAgprs: 0
; TotalNumVgprs: 35
; ScratchSize: 0
; MemoryBound: 0
; FloatMode: 240
; IeeeMode: 1
; LDSByteSize: 0 bytes/workgroup (compile time only)
; SGPRBlocks: 4
; VGPRBlocks: 4
; NumSGPRsForWavesPerEU: 36
; NumVGPRsForWavesPerEU: 35
; AccumOffset: 36
; Occupancy: 8
; WaveLimiterHint : 1
; COMPUTE_PGM_RSRC2:SCRATCH_EN: 0
; COMPUTE_PGM_RSRC2:USER_SGPR: 2
; COMPUTE_PGM_RSRC2:TRAP_HANDLER: 0
; COMPUTE_PGM_RSRC2:TGID_X_EN: 1
; COMPUTE_PGM_RSRC2:TGID_Y_EN: 1
; COMPUTE_PGM_RSRC2:TGID_Z_EN: 0
; COMPUTE_PGM_RSRC2:TIDIG_COMP_CNT: 0
; COMPUTE_PGM_RSRC3_GFX90A:ACCUM_OFFSET: 8
; COMPUTE_PGM_RSRC3_GFX90A:TG_SPLIT: 0
	.section	.text._ZN2at6native12_GLOBAL__N_126CatArrayBatchedCopy_contigINS1_10OpaqueTypeILj2EEEjLi3ELi128ELi1EEEvPT_NS1_25CatArrInputTensorMetadataIS5_T0_XT2_EXT3_EEENS1_16TensorSizeStrideIS8_Lj4EEEiS8_,"axG",@progbits,_ZN2at6native12_GLOBAL__N_126CatArrayBatchedCopy_contigINS1_10OpaqueTypeILj2EEEjLi3ELi128ELi1EEEvPT_NS1_25CatArrInputTensorMetadataIS5_T0_XT2_EXT3_EEENS1_16TensorSizeStrideIS8_Lj4EEEiS8_,comdat
	.globl	_ZN2at6native12_GLOBAL__N_126CatArrayBatchedCopy_contigINS1_10OpaqueTypeILj2EEEjLi3ELi128ELi1EEEvPT_NS1_25CatArrInputTensorMetadataIS5_T0_XT2_EXT3_EEENS1_16TensorSizeStrideIS8_Lj4EEEiS8_ ; -- Begin function _ZN2at6native12_GLOBAL__N_126CatArrayBatchedCopy_contigINS1_10OpaqueTypeILj2EEEjLi3ELi128ELi1EEEvPT_NS1_25CatArrInputTensorMetadataIS5_T0_XT2_EXT3_EEENS1_16TensorSizeStrideIS8_Lj4EEEiS8_
	.p2align	8
	.type	_ZN2at6native12_GLOBAL__N_126CatArrayBatchedCopy_contigINS1_10OpaqueTypeILj2EEEjLi3ELi128ELi1EEEvPT_NS1_25CatArrInputTensorMetadataIS5_T0_XT2_EXT3_EEENS1_16TensorSizeStrideIS8_Lj4EEEiS8_,@function
_ZN2at6native12_GLOBAL__N_126CatArrayBatchedCopy_contigINS1_10OpaqueTypeILj2EEEjLi3ELi128ELi1EEEvPT_NS1_25CatArrInputTensorMetadataIS5_T0_XT2_EXT3_EEENS1_16TensorSizeStrideIS8_Lj4EEEiS8_: ; @_ZN2at6native12_GLOBAL__N_126CatArrayBatchedCopy_contigINS1_10OpaqueTypeILj2EEEjLi3ELi128ELi1EEEvPT_NS1_25CatArrInputTensorMetadataIS5_T0_XT2_EXT3_EEENS1_16TensorSizeStrideIS8_Lj4EEEiS8_
; %bb.0:
	s_mov_b32 s4, s3
	s_load_dword s3, s[0:1], 0xadc
	s_add_u32 s10, s0, 0xad0
	s_mov_b32 s5, 0
	s_addc_u32 s11, s1, 0
	s_lshl_b64 s[8:9], s[4:5], 2
	s_waitcnt lgkmcnt(0)
	s_and_b32 s15, s3, 0xffff
	s_add_u32 s4, s0, s8
	s_addc_u32 s5, s1, s9
	s_load_dword s12, s[4:5], 0x808
	s_mul_i32 s2, s2, s15
	v_add_u32_e32 v0, s2, v0
	s_add_u32 s13, s4, 8
	s_addc_u32 s14, s5, 0
	s_waitcnt lgkmcnt(0)
	v_cmp_gt_u32_e32 vcc, s12, v0
	s_and_saveexec_b64 s[2:3], vcc
	s_cbranch_execz .LBB33_3
; %bb.1:
	s_load_dwordx2 s[16:17], s[0:1], 0xac8
	s_load_dwordx4 s[4:7], s[0:1], 0xab8
	s_load_dwordx2 s[2:3], s[0:1], 0x0
	s_load_dwordx2 s[18:19], s[0:1], 0xaac
	s_add_u32 s0, s13, s8
	s_addc_u32 s1, s14, s9
	s_waitcnt lgkmcnt(0)
	s_sub_u32 s7, 0, s8
	s_subb_u32 s8, 0, s9
	s_add_u32 s20, s0, s7
	s_addc_u32 s21, s1, s8
	s_load_dwordx2 s[8:9], s[0:1], 0x0
	s_load_dword s22, s[20:21], 0x600
	s_load_dword s23, s[20:21], 0x400
	s_cmp_eq_u32 s16, 2
	s_load_dword s0, s[10:11], 0x0
	s_mov_b32 s13, s6
	s_waitcnt lgkmcnt(0)
	s_cselect_b32 s14, s22, s19
	v_cvt_f32_u32_e32 v1, s14
	s_cmp_eq_u32 s16, 1
	s_cselect_b32 s11, s22, s18
	v_cvt_f32_u32_e32 v2, s11
	v_rcp_iflag_f32_e32 v1, v1
	s_mul_i32 s15, s0, s15
	s_sub_i32 s0, 0, s14
	v_rcp_iflag_f32_e32 v2, v2
	v_mul_f32_e32 v1, 0x4f7ffffe, v1
	v_cvt_u32_f32_e32 v1, v1
	s_mov_b64 s[6:7], 0
	v_mul_f32_e32 v2, 0x4f7ffffe, v2
	v_cvt_u32_f32_e32 v4, v2
	v_mul_lo_u32 v3, s0, v1
	v_mul_hi_u32 v3, v1, v3
	s_sub_i32 s0, 0, s11
	v_add_u32_e32 v2, v1, v3
	v_mul_lo_u32 v3, s0, v4
	v_mul_hi_u32 v3, v4, v3
	s_mul_i32 s10, s23, s17
	v_mov_b32_e32 v1, 0
	v_add_u32_e32 v3, v4, v3
.LBB33_2:                               ; =>This Inner Loop Header: Depth=1
	v_lshl_add_u64 v[4:5], v[0:1], 1, s[8:9]
	global_load_ushort v8, v[4:5], off
	v_mul_hi_u32 v4, v2, v0
	v_mul_lo_u32 v6, s14, v4
	v_not_b32_e32 v7, v4
	v_sub_u32_e32 v10, v0, v6
	v_add_u32_e32 v9, 1, v4
	v_mad_u64_u32 v[6:7], s[0:1], s14, v7, v[0:1]
	v_cmp_le_u32_e32 vcc, s14, v10
	v_mov_b32_e32 v5, v1
	s_nop 0
	v_cndmask_b32_e32 v4, v4, v9, vcc
	v_cndmask_b32_e32 v6, v10, v6, vcc
	v_add_u32_e32 v7, 1, v4
	v_cmp_le_u32_e32 vcc, s14, v6
	s_nop 1
	v_cndmask_b32_e32 v4, v4, v7, vcc
	v_mul_hi_u32 v6, v4, v3
	v_mul_lo_u32 v9, v6, s11
	v_sub_u32_e32 v9, v4, v9
	v_mul_lo_u32 v7, v4, s14
	v_add_u32_e32 v10, 1, v6
	v_cmp_le_u32_e64 s[0:1], s11, v9
	v_sub_u32_e32 v7, v0, v7
	v_add_u32_e32 v0, s15, v0
	v_cndmask_b32_e64 v6, v6, v10, s[0:1]
	v_subrev_u32_e32 v10, s11, v9
	v_cmp_le_u32_e32 vcc, s12, v0
	v_cndmask_b32_e64 v9, v9, v10, s[0:1]
	s_or_b64 s[6:7], vcc, s[6:7]
	v_add_u32_e32 v10, 1, v6
	v_cmp_le_u32_e32 vcc, s11, v9
	v_mul_lo_u32 v7, v7, s13
	s_nop 0
	v_cndmask_b32_e32 v6, v6, v10, vcc
	v_mul_lo_u32 v9, v6, s11
	v_mul_lo_u32 v6, v6, s4
	v_sub_u32_e32 v4, v4, v9
	v_add_u32_e32 v6, s10, v6
	v_mul_lo_u32 v4, v4, s5
	v_add3_u32 v4, v6, v7, v4
	v_lshl_add_u64 v[4:5], v[4:5], 1, s[2:3]
	s_waitcnt vmcnt(0)
	global_store_short v[4:5], v8, off
	s_andn2_b64 exec, exec, s[6:7]
	s_cbranch_execnz .LBB33_2
.LBB33_3:
	s_endpgm
	.section	.rodata,"a",@progbits
	.p2align	6, 0x0
	.amdhsa_kernel _ZN2at6native12_GLOBAL__N_126CatArrayBatchedCopy_contigINS1_10OpaqueTypeILj2EEEjLi3ELi128ELi1EEEvPT_NS1_25CatArrInputTensorMetadataIS5_T0_XT2_EXT3_EEENS1_16TensorSizeStrideIS8_Lj4EEEiS8_
		.amdhsa_group_segment_fixed_size 0
		.amdhsa_private_segment_fixed_size 0
		.amdhsa_kernarg_size 3024
		.amdhsa_user_sgpr_count 2
		.amdhsa_user_sgpr_dispatch_ptr 0
		.amdhsa_user_sgpr_queue_ptr 0
		.amdhsa_user_sgpr_kernarg_segment_ptr 1
		.amdhsa_user_sgpr_dispatch_id 0
		.amdhsa_user_sgpr_kernarg_preload_length 0
		.amdhsa_user_sgpr_kernarg_preload_offset 0
		.amdhsa_user_sgpr_private_segment_size 0
		.amdhsa_uses_dynamic_stack 0
		.amdhsa_enable_private_segment 0
		.amdhsa_system_sgpr_workgroup_id_x 1
		.amdhsa_system_sgpr_workgroup_id_y 1
		.amdhsa_system_sgpr_workgroup_id_z 0
		.amdhsa_system_sgpr_workgroup_info 0
		.amdhsa_system_vgpr_workitem_id 0
		.amdhsa_next_free_vgpr 11
		.amdhsa_next_free_sgpr 24
		.amdhsa_accum_offset 12
		.amdhsa_reserve_vcc 1
		.amdhsa_float_round_mode_32 0
		.amdhsa_float_round_mode_16_64 0
		.amdhsa_float_denorm_mode_32 3
		.amdhsa_float_denorm_mode_16_64 3
		.amdhsa_dx10_clamp 1
		.amdhsa_ieee_mode 1
		.amdhsa_fp16_overflow 0
		.amdhsa_tg_split 0
		.amdhsa_exception_fp_ieee_invalid_op 0
		.amdhsa_exception_fp_denorm_src 0
		.amdhsa_exception_fp_ieee_div_zero 0
		.amdhsa_exception_fp_ieee_overflow 0
		.amdhsa_exception_fp_ieee_underflow 0
		.amdhsa_exception_fp_ieee_inexact 0
		.amdhsa_exception_int_div_zero 0
	.end_amdhsa_kernel
	.section	.text._ZN2at6native12_GLOBAL__N_126CatArrayBatchedCopy_contigINS1_10OpaqueTypeILj2EEEjLi3ELi128ELi1EEEvPT_NS1_25CatArrInputTensorMetadataIS5_T0_XT2_EXT3_EEENS1_16TensorSizeStrideIS8_Lj4EEEiS8_,"axG",@progbits,_ZN2at6native12_GLOBAL__N_126CatArrayBatchedCopy_contigINS1_10OpaqueTypeILj2EEEjLi3ELi128ELi1EEEvPT_NS1_25CatArrInputTensorMetadataIS5_T0_XT2_EXT3_EEENS1_16TensorSizeStrideIS8_Lj4EEEiS8_,comdat
.Lfunc_end33:
	.size	_ZN2at6native12_GLOBAL__N_126CatArrayBatchedCopy_contigINS1_10OpaqueTypeILj2EEEjLi3ELi128ELi1EEEvPT_NS1_25CatArrInputTensorMetadataIS5_T0_XT2_EXT3_EEENS1_16TensorSizeStrideIS8_Lj4EEEiS8_, .Lfunc_end33-_ZN2at6native12_GLOBAL__N_126CatArrayBatchedCopy_contigINS1_10OpaqueTypeILj2EEEjLi3ELi128ELi1EEEvPT_NS1_25CatArrInputTensorMetadataIS5_T0_XT2_EXT3_EEENS1_16TensorSizeStrideIS8_Lj4EEEiS8_
                                        ; -- End function
	.set _ZN2at6native12_GLOBAL__N_126CatArrayBatchedCopy_contigINS1_10OpaqueTypeILj2EEEjLi3ELi128ELi1EEEvPT_NS1_25CatArrInputTensorMetadataIS5_T0_XT2_EXT3_EEENS1_16TensorSizeStrideIS8_Lj4EEEiS8_.num_vgpr, 11
	.set _ZN2at6native12_GLOBAL__N_126CatArrayBatchedCopy_contigINS1_10OpaqueTypeILj2EEEjLi3ELi128ELi1EEEvPT_NS1_25CatArrInputTensorMetadataIS5_T0_XT2_EXT3_EEENS1_16TensorSizeStrideIS8_Lj4EEEiS8_.num_agpr, 0
	.set _ZN2at6native12_GLOBAL__N_126CatArrayBatchedCopy_contigINS1_10OpaqueTypeILj2EEEjLi3ELi128ELi1EEEvPT_NS1_25CatArrInputTensorMetadataIS5_T0_XT2_EXT3_EEENS1_16TensorSizeStrideIS8_Lj4EEEiS8_.numbered_sgpr, 24
	.set _ZN2at6native12_GLOBAL__N_126CatArrayBatchedCopy_contigINS1_10OpaqueTypeILj2EEEjLi3ELi128ELi1EEEvPT_NS1_25CatArrInputTensorMetadataIS5_T0_XT2_EXT3_EEENS1_16TensorSizeStrideIS8_Lj4EEEiS8_.num_named_barrier, 0
	.set _ZN2at6native12_GLOBAL__N_126CatArrayBatchedCopy_contigINS1_10OpaqueTypeILj2EEEjLi3ELi128ELi1EEEvPT_NS1_25CatArrInputTensorMetadataIS5_T0_XT2_EXT3_EEENS1_16TensorSizeStrideIS8_Lj4EEEiS8_.private_seg_size, 0
	.set _ZN2at6native12_GLOBAL__N_126CatArrayBatchedCopy_contigINS1_10OpaqueTypeILj2EEEjLi3ELi128ELi1EEEvPT_NS1_25CatArrInputTensorMetadataIS5_T0_XT2_EXT3_EEENS1_16TensorSizeStrideIS8_Lj4EEEiS8_.uses_vcc, 1
	.set _ZN2at6native12_GLOBAL__N_126CatArrayBatchedCopy_contigINS1_10OpaqueTypeILj2EEEjLi3ELi128ELi1EEEvPT_NS1_25CatArrInputTensorMetadataIS5_T0_XT2_EXT3_EEENS1_16TensorSizeStrideIS8_Lj4EEEiS8_.uses_flat_scratch, 0
	.set _ZN2at6native12_GLOBAL__N_126CatArrayBatchedCopy_contigINS1_10OpaqueTypeILj2EEEjLi3ELi128ELi1EEEvPT_NS1_25CatArrInputTensorMetadataIS5_T0_XT2_EXT3_EEENS1_16TensorSizeStrideIS8_Lj4EEEiS8_.has_dyn_sized_stack, 0
	.set _ZN2at6native12_GLOBAL__N_126CatArrayBatchedCopy_contigINS1_10OpaqueTypeILj2EEEjLi3ELi128ELi1EEEvPT_NS1_25CatArrInputTensorMetadataIS5_T0_XT2_EXT3_EEENS1_16TensorSizeStrideIS8_Lj4EEEiS8_.has_recursion, 0
	.set _ZN2at6native12_GLOBAL__N_126CatArrayBatchedCopy_contigINS1_10OpaqueTypeILj2EEEjLi3ELi128ELi1EEEvPT_NS1_25CatArrInputTensorMetadataIS5_T0_XT2_EXT3_EEENS1_16TensorSizeStrideIS8_Lj4EEEiS8_.has_indirect_call, 0
	.section	.AMDGPU.csdata,"",@progbits
; Kernel info:
; codeLenInByte = 572
; TotalNumSgprs: 30
; NumVgprs: 11
; NumAgprs: 0
; TotalNumVgprs: 11
; ScratchSize: 0
; MemoryBound: 0
; FloatMode: 240
; IeeeMode: 1
; LDSByteSize: 0 bytes/workgroup (compile time only)
; SGPRBlocks: 3
; VGPRBlocks: 1
; NumSGPRsForWavesPerEU: 30
; NumVGPRsForWavesPerEU: 11
; AccumOffset: 12
; Occupancy: 8
; WaveLimiterHint : 1
; COMPUTE_PGM_RSRC2:SCRATCH_EN: 0
; COMPUTE_PGM_RSRC2:USER_SGPR: 2
; COMPUTE_PGM_RSRC2:TRAP_HANDLER: 0
; COMPUTE_PGM_RSRC2:TGID_X_EN: 1
; COMPUTE_PGM_RSRC2:TGID_Y_EN: 1
; COMPUTE_PGM_RSRC2:TGID_Z_EN: 0
; COMPUTE_PGM_RSRC2:TIDIG_COMP_CNT: 0
; COMPUTE_PGM_RSRC3_GFX90A:ACCUM_OFFSET: 2
; COMPUTE_PGM_RSRC3_GFX90A:TG_SPLIT: 0
	.section	.text._ZN2at6native12_GLOBAL__N_119CatArrayBatchedCopyINS1_10OpaqueTypeILj2EEEjLi3ELi128ELi1EEEvPT_NS1_25CatArrInputTensorMetadataIS5_T0_XT2_EXT3_EEENS1_16TensorSizeStrideIS8_Lj4EEEiS8_,"axG",@progbits,_ZN2at6native12_GLOBAL__N_119CatArrayBatchedCopyINS1_10OpaqueTypeILj2EEEjLi3ELi128ELi1EEEvPT_NS1_25CatArrInputTensorMetadataIS5_T0_XT2_EXT3_EEENS1_16TensorSizeStrideIS8_Lj4EEEiS8_,comdat
	.globl	_ZN2at6native12_GLOBAL__N_119CatArrayBatchedCopyINS1_10OpaqueTypeILj2EEEjLi3ELi128ELi1EEEvPT_NS1_25CatArrInputTensorMetadataIS5_T0_XT2_EXT3_EEENS1_16TensorSizeStrideIS8_Lj4EEEiS8_ ; -- Begin function _ZN2at6native12_GLOBAL__N_119CatArrayBatchedCopyINS1_10OpaqueTypeILj2EEEjLi3ELi128ELi1EEEvPT_NS1_25CatArrInputTensorMetadataIS5_T0_XT2_EXT3_EEENS1_16TensorSizeStrideIS8_Lj4EEEiS8_
	.p2align	8
	.type	_ZN2at6native12_GLOBAL__N_119CatArrayBatchedCopyINS1_10OpaqueTypeILj2EEEjLi3ELi128ELi1EEEvPT_NS1_25CatArrInputTensorMetadataIS5_T0_XT2_EXT3_EEENS1_16TensorSizeStrideIS8_Lj4EEEiS8_,@function
_ZN2at6native12_GLOBAL__N_119CatArrayBatchedCopyINS1_10OpaqueTypeILj2EEEjLi3ELi128ELi1EEEvPT_NS1_25CatArrInputTensorMetadataIS5_T0_XT2_EXT3_EEENS1_16TensorSizeStrideIS8_Lj4EEEiS8_: ; @_ZN2at6native12_GLOBAL__N_119CatArrayBatchedCopyINS1_10OpaqueTypeILj2EEEjLi3ELi128ELi1EEEvPT_NS1_25CatArrInputTensorMetadataIS5_T0_XT2_EXT3_EEENS1_16TensorSizeStrideIS8_Lj4EEEiS8_
; %bb.0:
	s_mov_b32 s12, s3
	s_load_dword s3, s[0:1], 0xadc
	s_or_b32 s18, s0, 8
	s_add_u32 s16, s0, 0xad0
	s_mov_b32 s13, 0
	s_addc_u32 s17, s1, 0
	s_waitcnt lgkmcnt(0)
	s_and_b32 s21, s3, 0xffff
	s_lshl_b64 s[14:15], s[12:13], 2
	s_add_u32 s4, s18, s14
	s_addc_u32 s5, s1, s15
	s_load_dword s20, s[4:5], 0x800
	s_mul_i32 s2, s2, s21
	v_add_u32_e32 v0, s2, v0
	s_waitcnt lgkmcnt(0)
	v_cmp_gt_u32_e32 vcc, s20, v0
	s_and_saveexec_b64 s[2:3], vcc
	s_cbranch_execz .LBB34_5
; %bb.1:
	s_add_u32 s22, s18, s12
	s_addc_u32 s23, s1, 0
	v_mov_b32_e32 v1, 0
	global_load_ubyte v2, v1, s[22:23] offset:2560
	s_mov_b32 s19, s1
	s_load_dwordx2 s[24:25], s[0:1], 0xac8
	s_load_dwordx4 s[4:7], s[0:1], 0xab8
	s_load_dwordx4 s[8:11], s[18:19], 0xa90
	s_waitcnt lgkmcnt(0)
	s_load_dword s7, s[18:19], 0xa94
	s_load_dwordx2 s[2:3], s[0:1], 0x0
	s_load_dwordx2 s[26:27], s[0:1], 0xa8c
	;; [unrolled: 1-line block ×3, first 2 shown]
	s_load_dword s30, s[16:17], 0x0
	s_mul_i32 s16, s12, 7
	s_mul_hi_u32 s11, s12, 7
	s_mov_b64 s[12:13], 0
	s_mov_b32 s9, s10
	s_waitcnt vmcnt(0)
	v_and_b32_e32 v2, 1, v2
	v_cmp_eq_u32_e32 vcc, 1, v2
	s_xor_b64 s[0:1], vcc, -1
	s_add_u32 s16, s22, s16
	s_addc_u32 s17, s23, s11
	s_sub_u32 s10, 0, s14
	s_subb_u32 s11, 0, s15
	s_add_u32 s14, s16, s10
	s_addc_u32 s15, s17, s11
	s_load_dwordx2 s[10:11], s[16:17], 0x0
	s_load_dword s18, s[14:15], 0x400
	s_load_dword s19, s[14:15], 0x600
	s_cmp_eq_u32 s24, 2
	s_waitcnt lgkmcnt(0)
	s_mul_i32 s14, s30, s21
	v_cndmask_b32_e64 v2, 0, 1, s[0:1]
	s_mul_i32 s15, s18, s25
	s_cselect_b32 s16, s19, s29
	s_cselect_b32 s17, s19, s27
	s_cmp_eq_u32 s24, 1
	s_cselect_b32 s18, s19, s28
	s_cselect_b32 s19, s19, s26
	v_cvt_f32_u32_e32 v3, s16
	v_cvt_f32_u32_e32 v4, s17
	;; [unrolled: 1-line block ×4, first 2 shown]
	v_rcp_iflag_f32_e32 v3, v3
	v_rcp_iflag_f32_e32 v4, v4
	;; [unrolled: 1-line block ×4, first 2 shown]
	v_mul_f32_e32 v3, 0x4f7ffffe, v3
	v_mul_f32_e32 v4, 0x4f7ffffe, v4
	v_cvt_u32_f32_e32 v3, v3
	v_mul_f32_e32 v5, 0x4f7ffffe, v5
	v_cvt_u32_f32_e32 v7, v4
	;; [unrolled: 2-line block ×3, first 2 shown]
	v_cvt_u32_f32_e32 v8, v4
	s_sub_i32 s21, 0, s16
	s_sub_i32 s22, 0, s17
	;; [unrolled: 1-line block ×4, first 2 shown]
	v_mul_lo_u32 v4, s21, v3
	v_mul_lo_u32 v5, s22, v7
	v_mul_hi_u32 v4, v3, v4
	v_mul_lo_u32 v9, s0, v6
	v_mul_hi_u32 v5, v7, v5
	v_mul_lo_u32 v10, s1, v8
	v_add_u32_e32 v4, v3, v4
	v_mul_hi_u32 v3, v6, v9
	v_add_u32_e32 v5, v7, v5
	v_mul_hi_u32 v7, v8, v10
	v_add_u32_e32 v6, v6, v3
	v_add_u32_e32 v7, v8, v7
	v_cmp_ne_u32_e64 s[0:1], 1, v2
	s_branch .LBB34_3
.LBB34_2:                               ;   in Loop: Header=BB34_3 Depth=1
	v_lshl_add_u64 v[2:3], v[2:3], 1, s[10:11]
	global_load_ushort v10, v[2:3], off
	v_mul_hi_u32 v8, v4, v0
	v_mad_u64_u32 v[2:3], s[24:25], s21, v8, v[0:1]
	v_not_b32_e32 v9, v8
	v_add_u32_e32 v3, 1, v8
	v_cmp_le_u32_e32 vcc, s16, v2
	s_nop 1
	v_cndmask_b32_e32 v3, v8, v3, vcc
	v_mad_u64_u32 v[8:9], s[24:25], s16, v9, v[0:1]
	v_cndmask_b32_e32 v2, v2, v8, vcc
	v_add_u32_e32 v8, 1, v3
	v_cmp_le_u32_e32 vcc, s16, v2
	s_nop 1
	v_cndmask_b32_e32 v8, v3, v8, vcc
	v_mad_u64_u32 v[2:3], s[24:25], s21, v8, v[0:1]
	v_mul_hi_u32 v3, v8, v6
	v_mul_lo_u32 v9, v3, s18
	v_sub_u32_e32 v9, v8, v9
	v_add_u32_e32 v11, 1, v3
	v_cmp_le_u32_e32 vcc, s18, v9
	v_add_u32_e32 v0, s14, v0
	s_nop 0
	v_cndmask_b32_e32 v3, v3, v11, vcc
	v_subrev_u32_e32 v11, s18, v9
	v_cndmask_b32_e32 v9, v9, v11, vcc
	v_add_u32_e32 v11, 1, v3
	v_cmp_le_u32_e32 vcc, s18, v9
	s_nop 1
	v_cndmask_b32_e32 v3, v3, v11, vcc
	v_mul_lo_u32 v9, v3, s18
	v_sub_u32_e32 v8, v8, v9
	v_mul_lo_u32 v9, v8, s5
	v_mul_lo_u32 v8, v3, s4
	v_mad_u64_u32 v[2:3], s[24:25], v2, s6, v[8:9]
	v_add3_u32 v2, v2, v9, s15
	v_mov_b32_e32 v3, v1
	v_cmp_le_u32_e32 vcc, s20, v0
	v_lshl_add_u64 v[2:3], v[2:3], 1, s[2:3]
	s_or_b64 s[12:13], vcc, s[12:13]
	s_waitcnt vmcnt(0)
	global_store_short v[2:3], v10, off
	s_andn2_b64 exec, exec, s[12:13]
	s_cbranch_execz .LBB34_5
.LBB34_3:                               ; =>This Inner Loop Header: Depth=1
	s_and_b64 vcc, exec, s[0:1]
	v_mov_b64_e32 v[2:3], v[0:1]
	s_cbranch_vccnz .LBB34_2
; %bb.4:                                ;   in Loop: Header=BB34_3 Depth=1
	v_mul_hi_u32 v8, v5, v0
	v_mad_u64_u32 v[2:3], s[24:25], s22, v8, v[0:1]
	v_not_b32_e32 v9, v8
	v_add_u32_e32 v3, 1, v8
	v_cmp_le_u32_e32 vcc, s17, v2
	s_nop 1
	v_cndmask_b32_e32 v3, v8, v3, vcc
	v_mad_u64_u32 v[8:9], s[24:25], s17, v9, v[0:1]
	v_cndmask_b32_e32 v2, v2, v8, vcc
	v_add_u32_e32 v8, 1, v3
	v_cmp_le_u32_e32 vcc, s17, v2
	s_nop 1
	v_cndmask_b32_e32 v8, v3, v8, vcc
	v_mad_u64_u32 v[2:3], s[24:25], s22, v8, v[0:1]
	v_mul_hi_u32 v3, v8, v7
	v_mul_lo_u32 v9, v3, s19
	v_sub_u32_e32 v9, v8, v9
	v_add_u32_e32 v10, 1, v3
	v_cmp_le_u32_e32 vcc, s19, v9
	v_mul_lo_u32 v2, v2, s9
	s_nop 0
	v_cndmask_b32_e32 v3, v3, v10, vcc
	v_subrev_u32_e32 v10, s19, v9
	v_cndmask_b32_e32 v9, v9, v10, vcc
	v_add_u32_e32 v10, 1, v3
	v_cmp_le_u32_e32 vcc, s19, v9
	s_nop 1
	v_cndmask_b32_e32 v3, v3, v10, vcc
	v_mul_lo_u32 v9, v3, s19
	v_sub_u32_e32 v8, v8, v9
	v_mul_lo_u32 v8, v8, s7
	v_mul_lo_u32 v3, v3, s8
	v_add3_u32 v2, v2, v3, v8
	v_mov_b32_e32 v3, v1
	s_branch .LBB34_2
.LBB34_5:
	s_endpgm
	.section	.rodata,"a",@progbits
	.p2align	6, 0x0
	.amdhsa_kernel _ZN2at6native12_GLOBAL__N_119CatArrayBatchedCopyINS1_10OpaqueTypeILj2EEEjLi3ELi128ELi1EEEvPT_NS1_25CatArrInputTensorMetadataIS5_T0_XT2_EXT3_EEENS1_16TensorSizeStrideIS8_Lj4EEEiS8_
		.amdhsa_group_segment_fixed_size 0
		.amdhsa_private_segment_fixed_size 0
		.amdhsa_kernarg_size 3024
		.amdhsa_user_sgpr_count 2
		.amdhsa_user_sgpr_dispatch_ptr 0
		.amdhsa_user_sgpr_queue_ptr 0
		.amdhsa_user_sgpr_kernarg_segment_ptr 1
		.amdhsa_user_sgpr_dispatch_id 0
		.amdhsa_user_sgpr_kernarg_preload_length 0
		.amdhsa_user_sgpr_kernarg_preload_offset 0
		.amdhsa_user_sgpr_private_segment_size 0
		.amdhsa_uses_dynamic_stack 0
		.amdhsa_enable_private_segment 0
		.amdhsa_system_sgpr_workgroup_id_x 1
		.amdhsa_system_sgpr_workgroup_id_y 1
		.amdhsa_system_sgpr_workgroup_id_z 0
		.amdhsa_system_sgpr_workgroup_info 0
		.amdhsa_system_vgpr_workitem_id 0
		.amdhsa_next_free_vgpr 12
		.amdhsa_next_free_sgpr 31
		.amdhsa_accum_offset 12
		.amdhsa_reserve_vcc 1
		.amdhsa_float_round_mode_32 0
		.amdhsa_float_round_mode_16_64 0
		.amdhsa_float_denorm_mode_32 3
		.amdhsa_float_denorm_mode_16_64 3
		.amdhsa_dx10_clamp 1
		.amdhsa_ieee_mode 1
		.amdhsa_fp16_overflow 0
		.amdhsa_tg_split 0
		.amdhsa_exception_fp_ieee_invalid_op 0
		.amdhsa_exception_fp_denorm_src 0
		.amdhsa_exception_fp_ieee_div_zero 0
		.amdhsa_exception_fp_ieee_overflow 0
		.amdhsa_exception_fp_ieee_underflow 0
		.amdhsa_exception_fp_ieee_inexact 0
		.amdhsa_exception_int_div_zero 0
	.end_amdhsa_kernel
	.section	.text._ZN2at6native12_GLOBAL__N_119CatArrayBatchedCopyINS1_10OpaqueTypeILj2EEEjLi3ELi128ELi1EEEvPT_NS1_25CatArrInputTensorMetadataIS5_T0_XT2_EXT3_EEENS1_16TensorSizeStrideIS8_Lj4EEEiS8_,"axG",@progbits,_ZN2at6native12_GLOBAL__N_119CatArrayBatchedCopyINS1_10OpaqueTypeILj2EEEjLi3ELi128ELi1EEEvPT_NS1_25CatArrInputTensorMetadataIS5_T0_XT2_EXT3_EEENS1_16TensorSizeStrideIS8_Lj4EEEiS8_,comdat
.Lfunc_end34:
	.size	_ZN2at6native12_GLOBAL__N_119CatArrayBatchedCopyINS1_10OpaqueTypeILj2EEEjLi3ELi128ELi1EEEvPT_NS1_25CatArrInputTensorMetadataIS5_T0_XT2_EXT3_EEENS1_16TensorSizeStrideIS8_Lj4EEEiS8_, .Lfunc_end34-_ZN2at6native12_GLOBAL__N_119CatArrayBatchedCopyINS1_10OpaqueTypeILj2EEEjLi3ELi128ELi1EEEvPT_NS1_25CatArrInputTensorMetadataIS5_T0_XT2_EXT3_EEENS1_16TensorSizeStrideIS8_Lj4EEEiS8_
                                        ; -- End function
	.set _ZN2at6native12_GLOBAL__N_119CatArrayBatchedCopyINS1_10OpaqueTypeILj2EEEjLi3ELi128ELi1EEEvPT_NS1_25CatArrInputTensorMetadataIS5_T0_XT2_EXT3_EEENS1_16TensorSizeStrideIS8_Lj4EEEiS8_.num_vgpr, 12
	.set _ZN2at6native12_GLOBAL__N_119CatArrayBatchedCopyINS1_10OpaqueTypeILj2EEEjLi3ELi128ELi1EEEvPT_NS1_25CatArrInputTensorMetadataIS5_T0_XT2_EXT3_EEENS1_16TensorSizeStrideIS8_Lj4EEEiS8_.num_agpr, 0
	.set _ZN2at6native12_GLOBAL__N_119CatArrayBatchedCopyINS1_10OpaqueTypeILj2EEEjLi3ELi128ELi1EEEvPT_NS1_25CatArrInputTensorMetadataIS5_T0_XT2_EXT3_EEENS1_16TensorSizeStrideIS8_Lj4EEEiS8_.numbered_sgpr, 31
	.set _ZN2at6native12_GLOBAL__N_119CatArrayBatchedCopyINS1_10OpaqueTypeILj2EEEjLi3ELi128ELi1EEEvPT_NS1_25CatArrInputTensorMetadataIS5_T0_XT2_EXT3_EEENS1_16TensorSizeStrideIS8_Lj4EEEiS8_.num_named_barrier, 0
	.set _ZN2at6native12_GLOBAL__N_119CatArrayBatchedCopyINS1_10OpaqueTypeILj2EEEjLi3ELi128ELi1EEEvPT_NS1_25CatArrInputTensorMetadataIS5_T0_XT2_EXT3_EEENS1_16TensorSizeStrideIS8_Lj4EEEiS8_.private_seg_size, 0
	.set _ZN2at6native12_GLOBAL__N_119CatArrayBatchedCopyINS1_10OpaqueTypeILj2EEEjLi3ELi128ELi1EEEvPT_NS1_25CatArrInputTensorMetadataIS5_T0_XT2_EXT3_EEENS1_16TensorSizeStrideIS8_Lj4EEEiS8_.uses_vcc, 1
	.set _ZN2at6native12_GLOBAL__N_119CatArrayBatchedCopyINS1_10OpaqueTypeILj2EEEjLi3ELi128ELi1EEEvPT_NS1_25CatArrInputTensorMetadataIS5_T0_XT2_EXT3_EEENS1_16TensorSizeStrideIS8_Lj4EEEiS8_.uses_flat_scratch, 0
	.set _ZN2at6native12_GLOBAL__N_119CatArrayBatchedCopyINS1_10OpaqueTypeILj2EEEjLi3ELi128ELi1EEEvPT_NS1_25CatArrInputTensorMetadataIS5_T0_XT2_EXT3_EEENS1_16TensorSizeStrideIS8_Lj4EEEiS8_.has_dyn_sized_stack, 0
	.set _ZN2at6native12_GLOBAL__N_119CatArrayBatchedCopyINS1_10OpaqueTypeILj2EEEjLi3ELi128ELi1EEEvPT_NS1_25CatArrInputTensorMetadataIS5_T0_XT2_EXT3_EEENS1_16TensorSizeStrideIS8_Lj4EEEiS8_.has_recursion, 0
	.set _ZN2at6native12_GLOBAL__N_119CatArrayBatchedCopyINS1_10OpaqueTypeILj2EEEjLi3ELi128ELi1EEEvPT_NS1_25CatArrInputTensorMetadataIS5_T0_XT2_EXT3_EEENS1_16TensorSizeStrideIS8_Lj4EEEiS8_.has_indirect_call, 0
	.section	.AMDGPU.csdata,"",@progbits
; Kernel info:
; codeLenInByte = 928
; TotalNumSgprs: 37
; NumVgprs: 12
; NumAgprs: 0
; TotalNumVgprs: 12
; ScratchSize: 0
; MemoryBound: 0
; FloatMode: 240
; IeeeMode: 1
; LDSByteSize: 0 bytes/workgroup (compile time only)
; SGPRBlocks: 4
; VGPRBlocks: 1
; NumSGPRsForWavesPerEU: 37
; NumVGPRsForWavesPerEU: 12
; AccumOffset: 12
; Occupancy: 8
; WaveLimiterHint : 1
; COMPUTE_PGM_RSRC2:SCRATCH_EN: 0
; COMPUTE_PGM_RSRC2:USER_SGPR: 2
; COMPUTE_PGM_RSRC2:TRAP_HANDLER: 0
; COMPUTE_PGM_RSRC2:TGID_X_EN: 1
; COMPUTE_PGM_RSRC2:TGID_Y_EN: 1
; COMPUTE_PGM_RSRC2:TGID_Z_EN: 0
; COMPUTE_PGM_RSRC2:TIDIG_COMP_CNT: 0
; COMPUTE_PGM_RSRC3_GFX90A:ACCUM_OFFSET: 2
; COMPUTE_PGM_RSRC3_GFX90A:TG_SPLIT: 0
	.section	.text._ZN2at6native12_GLOBAL__N_130CatArrayBatchedCopy_vectorizedINS1_10OpaqueTypeILj2EEEjLi4ELi128ELi1ELi16ELi8EEEvPcNS1_25CatArrInputTensorMetadataIT_T0_XT2_EXT3_EEENS1_16TensorSizeStrideIS8_Lj4EEEiS8_,"axG",@progbits,_ZN2at6native12_GLOBAL__N_130CatArrayBatchedCopy_vectorizedINS1_10OpaqueTypeILj2EEEjLi4ELi128ELi1ELi16ELi8EEEvPcNS1_25CatArrInputTensorMetadataIT_T0_XT2_EXT3_EEENS1_16TensorSizeStrideIS8_Lj4EEEiS8_,comdat
	.globl	_ZN2at6native12_GLOBAL__N_130CatArrayBatchedCopy_vectorizedINS1_10OpaqueTypeILj2EEEjLi4ELi128ELi1ELi16ELi8EEEvPcNS1_25CatArrInputTensorMetadataIT_T0_XT2_EXT3_EEENS1_16TensorSizeStrideIS8_Lj4EEEiS8_ ; -- Begin function _ZN2at6native12_GLOBAL__N_130CatArrayBatchedCopy_vectorizedINS1_10OpaqueTypeILj2EEEjLi4ELi128ELi1ELi16ELi8EEEvPcNS1_25CatArrInputTensorMetadataIT_T0_XT2_EXT3_EEENS1_16TensorSizeStrideIS8_Lj4EEEiS8_
	.p2align	8
	.type	_ZN2at6native12_GLOBAL__N_130CatArrayBatchedCopy_vectorizedINS1_10OpaqueTypeILj2EEEjLi4ELi128ELi1ELi16ELi8EEEvPcNS1_25CatArrInputTensorMetadataIT_T0_XT2_EXT3_EEENS1_16TensorSizeStrideIS8_Lj4EEEiS8_,@function
_ZN2at6native12_GLOBAL__N_130CatArrayBatchedCopy_vectorizedINS1_10OpaqueTypeILj2EEEjLi4ELi128ELi1ELi16ELi8EEEvPcNS1_25CatArrInputTensorMetadataIT_T0_XT2_EXT3_EEENS1_16TensorSizeStrideIS8_Lj4EEEiS8_: ; @_ZN2at6native12_GLOBAL__N_130CatArrayBatchedCopy_vectorizedINS1_10OpaqueTypeILj2EEEjLi4ELi128ELi1ELi16ELi8EEEvPcNS1_25CatArrInputTensorMetadataIT_T0_XT2_EXT3_EEENS1_16TensorSizeStrideIS8_Lj4EEEiS8_
; %bb.0:
	s_mov_b32 s12, s3
	s_load_dword s3, s[0:1], 0xadc
	s_add_u32 s14, s0, 0xad0
	s_mov_b32 s13, 0
	s_addc_u32 s15, s1, 0
	s_lshl_b64 s[16:17], s[12:13], 2
	s_waitcnt lgkmcnt(0)
	s_and_b32 s19, s3, 0xffff
	s_add_u32 s4, s0, s16
	s_addc_u32 s5, s1, s17
	s_load_dword s6, s[4:5], 0x808
	s_mul_i32 s2, s2, s19
	v_add_u32_e32 v0, s2, v0
	s_add_u32 s2, s4, 8
	s_addc_u32 s3, s5, 0
	s_waitcnt lgkmcnt(0)
	s_lshr_b32 s18, s6, 3
	v_cmp_gt_u32_e32 vcc, s18, v0
	s_and_saveexec_b64 s[4:5], vcc
	s_cbranch_execz .LBB35_3
; %bb.1:
	s_add_u32 s2, s2, s16
	s_addc_u32 s3, s3, s17
	s_load_dwordx4 s[4:7], s[0:1], 0xab8
	s_load_dwordx2 s[20:21], s[0:1], 0xac8
	s_load_dwordx2 s[22:23], s[0:1], 0x0
	s_load_dwordx4 s[8:11], s[0:1], 0xaac
	s_sub_u32 s0, 0, s16
	s_subb_u32 s1, 0, s17
	s_add_u32 s16, s2, s0
	s_addc_u32 s17, s3, s1
	s_waitcnt lgkmcnt(0)
	s_load_dword s11, s[16:17], 0x400
	s_load_dwordx2 s[0:1], s[2:3], 0x0
	s_load_dword s24, s[16:17], 0x600
	s_load_dword s25, s[14:15], 0x0
	s_mov_b64 s[2:3], 0
	s_waitcnt lgkmcnt(0)
	s_mul_i32 s11, s11, s21
	s_lshr_b32 s12, s11, 3
	s_mul_i32 s24, s24, s21
	s_lshr_b32 s16, s24, 3
	s_lshl_b64 s[14:15], s[12:13], 4
	s_cmp_eq_u32 s20, 3
	s_cselect_b32 s10, s16, s10
	v_cvt_f32_u32_e32 v1, s10
	s_cmp_eq_u32 s20, 2
	s_cselect_b32 s12, s16, s9
	s_cmp_eq_u32 s20, 1
	v_rcp_iflag_f32_e32 v1, v1
	v_cvt_f32_u32_e32 v2, s12
	s_cselect_b32 s13, s16, s8
	s_add_u32 s8, s22, s14
	v_mul_f32_e32 v1, 0x4f7ffffe, v1
	v_cvt_u32_f32_e32 v1, v1
	s_addc_u32 s9, s23, s15
	s_sub_i32 s14, 0, s10
	v_rcp_iflag_f32_e32 v4, v2
	v_mul_lo_u32 v3, s14, v1
	v_mul_hi_u32 v2, v1, v3
	v_cvt_f32_u32_e32 v3, s13
	v_add_u32_e32 v2, v1, v2
	v_mul_f32_e32 v1, 0x4f7ffffe, v4
	v_cvt_u32_f32_e32 v4, v1
	v_rcp_iflag_f32_e32 v3, v3
	s_sub_i32 s15, 0, s12
	s_mul_i32 s11, s25, s19
	v_mul_lo_u32 v5, s15, v4
	v_mul_f32_e32 v3, 0x4f7ffffe, v3
	v_cvt_u32_f32_e32 v6, v3
	v_mul_hi_u32 v3, v4, v5
	s_sub_i32 s15, 0, s13
	v_add_u32_e32 v3, v4, v3
	v_mul_lo_u32 v4, s15, v6
	v_mul_hi_u32 v4, v6, v4
	v_mov_b32_e32 v1, 0
	v_add_u32_e32 v4, v6, v4
.LBB35_2:                               ; =>This Inner Loop Header: Depth=1
	v_lshl_add_u64 v[6:7], v[0:1], 4, s[0:1]
	global_load_dwordx4 v[6:9], v[6:7], off
	v_mul_hi_u32 v5, v2, v0
	v_mul_lo_u32 v10, s10, v5
	v_not_b32_e32 v12, v5
	v_sub_u32_e32 v10, v0, v10
	v_add_u32_e32 v14, 1, v5
	v_mad_u64_u32 v[12:13], s[16:17], s10, v12, v[0:1]
	v_cmp_le_u32_e32 vcc, s10, v10
	v_mov_b32_e32 v11, v1
	s_nop 0
	v_cndmask_b32_e32 v5, v5, v14, vcc
	v_cndmask_b32_e32 v10, v10, v12, vcc
	v_add_u32_e32 v12, 1, v5
	v_cmp_le_u32_e32 vcc, s10, v10
	s_nop 1
	v_cndmask_b32_e32 v5, v5, v12, vcc
	v_mul_hi_u32 v14, v5, v3
	v_mad_u64_u32 v[12:13], s[16:17], s14, v5, v[0:1]
	v_add_u32_e32 v0, s11, v0
	v_mul_lo_u32 v13, v14, s12
	v_mul_lo_u32 v10, v12, s7
	v_cmp_le_u32_e32 vcc, s18, v0
	v_sub_u32_e32 v12, v5, v13
	v_add_u32_e32 v15, 1, v14
	s_or_b64 s[2:3], vcc, s[2:3]
	v_cmp_le_u32_e32 vcc, s12, v12
	s_nop 1
	v_cndmask_b32_e32 v13, v14, v15, vcc
	v_subrev_u32_e32 v14, s12, v12
	v_cndmask_b32_e32 v12, v12, v14, vcc
	v_add_u32_e32 v14, 1, v13
	v_cmp_le_u32_e32 vcc, s12, v12
	s_nop 1
	v_cndmask_b32_e32 v14, v13, v14, vcc
	v_mul_lo_u32 v12, v14, s12
	v_mul_hi_u32 v13, v14, v4
	v_sub_u32_e32 v5, v5, v12
	v_mul_lo_u32 v12, v13, s13
	v_sub_u32_e32 v12, v14, v12
	v_add_u32_e32 v15, 1, v13
	v_cmp_le_u32_e32 vcc, s13, v12
	v_mul_lo_u32 v5, v5, s6
	s_nop 0
	v_cndmask_b32_e32 v13, v13, v15, vcc
	v_subrev_u32_e32 v15, s13, v12
	v_cndmask_b32_e32 v12, v12, v15, vcc
	v_add_u32_e32 v15, 1, v13
	v_cmp_le_u32_e32 vcc, s13, v12
	s_nop 1
	v_cndmask_b32_e32 v12, v13, v15, vcc
	v_mul_lo_u32 v15, v12, s13
	v_mad_u64_u32 v[12:13], s[16:17], v12, s4, v[10:11]
	v_sub_u32_e32 v10, v14, v15
	v_mul_lo_u32 v10, v10, s5
	v_add3_u32 v10, v12, v5, v10
	v_lshl_add_u64 v[10:11], v[10:11], 4, s[8:9]
	s_waitcnt vmcnt(0)
	global_store_dwordx4 v[10:11], v[6:9], off
	s_andn2_b64 exec, exec, s[2:3]
	s_cbranch_execnz .LBB35_2
.LBB35_3:
	s_endpgm
	.section	.rodata,"a",@progbits
	.p2align	6, 0x0
	.amdhsa_kernel _ZN2at6native12_GLOBAL__N_130CatArrayBatchedCopy_vectorizedINS1_10OpaqueTypeILj2EEEjLi4ELi128ELi1ELi16ELi8EEEvPcNS1_25CatArrInputTensorMetadataIT_T0_XT2_EXT3_EEENS1_16TensorSizeStrideIS8_Lj4EEEiS8_
		.amdhsa_group_segment_fixed_size 0
		.amdhsa_private_segment_fixed_size 0
		.amdhsa_kernarg_size 3024
		.amdhsa_user_sgpr_count 2
		.amdhsa_user_sgpr_dispatch_ptr 0
		.amdhsa_user_sgpr_queue_ptr 0
		.amdhsa_user_sgpr_kernarg_segment_ptr 1
		.amdhsa_user_sgpr_dispatch_id 0
		.amdhsa_user_sgpr_kernarg_preload_length 0
		.amdhsa_user_sgpr_kernarg_preload_offset 0
		.amdhsa_user_sgpr_private_segment_size 0
		.amdhsa_uses_dynamic_stack 0
		.amdhsa_enable_private_segment 0
		.amdhsa_system_sgpr_workgroup_id_x 1
		.amdhsa_system_sgpr_workgroup_id_y 1
		.amdhsa_system_sgpr_workgroup_id_z 0
		.amdhsa_system_sgpr_workgroup_info 0
		.amdhsa_system_vgpr_workitem_id 0
		.amdhsa_next_free_vgpr 16
		.amdhsa_next_free_sgpr 26
		.amdhsa_accum_offset 16
		.amdhsa_reserve_vcc 1
		.amdhsa_float_round_mode_32 0
		.amdhsa_float_round_mode_16_64 0
		.amdhsa_float_denorm_mode_32 3
		.amdhsa_float_denorm_mode_16_64 3
		.amdhsa_dx10_clamp 1
		.amdhsa_ieee_mode 1
		.amdhsa_fp16_overflow 0
		.amdhsa_tg_split 0
		.amdhsa_exception_fp_ieee_invalid_op 0
		.amdhsa_exception_fp_denorm_src 0
		.amdhsa_exception_fp_ieee_div_zero 0
		.amdhsa_exception_fp_ieee_overflow 0
		.amdhsa_exception_fp_ieee_underflow 0
		.amdhsa_exception_fp_ieee_inexact 0
		.amdhsa_exception_int_div_zero 0
	.end_amdhsa_kernel
	.section	.text._ZN2at6native12_GLOBAL__N_130CatArrayBatchedCopy_vectorizedINS1_10OpaqueTypeILj2EEEjLi4ELi128ELi1ELi16ELi8EEEvPcNS1_25CatArrInputTensorMetadataIT_T0_XT2_EXT3_EEENS1_16TensorSizeStrideIS8_Lj4EEEiS8_,"axG",@progbits,_ZN2at6native12_GLOBAL__N_130CatArrayBatchedCopy_vectorizedINS1_10OpaqueTypeILj2EEEjLi4ELi128ELi1ELi16ELi8EEEvPcNS1_25CatArrInputTensorMetadataIT_T0_XT2_EXT3_EEENS1_16TensorSizeStrideIS8_Lj4EEEiS8_,comdat
.Lfunc_end35:
	.size	_ZN2at6native12_GLOBAL__N_130CatArrayBatchedCopy_vectorizedINS1_10OpaqueTypeILj2EEEjLi4ELi128ELi1ELi16ELi8EEEvPcNS1_25CatArrInputTensorMetadataIT_T0_XT2_EXT3_EEENS1_16TensorSizeStrideIS8_Lj4EEEiS8_, .Lfunc_end35-_ZN2at6native12_GLOBAL__N_130CatArrayBatchedCopy_vectorizedINS1_10OpaqueTypeILj2EEEjLi4ELi128ELi1ELi16ELi8EEEvPcNS1_25CatArrInputTensorMetadataIT_T0_XT2_EXT3_EEENS1_16TensorSizeStrideIS8_Lj4EEEiS8_
                                        ; -- End function
	.set _ZN2at6native12_GLOBAL__N_130CatArrayBatchedCopy_vectorizedINS1_10OpaqueTypeILj2EEEjLi4ELi128ELi1ELi16ELi8EEEvPcNS1_25CatArrInputTensorMetadataIT_T0_XT2_EXT3_EEENS1_16TensorSizeStrideIS8_Lj4EEEiS8_.num_vgpr, 16
	.set _ZN2at6native12_GLOBAL__N_130CatArrayBatchedCopy_vectorizedINS1_10OpaqueTypeILj2EEEjLi4ELi128ELi1ELi16ELi8EEEvPcNS1_25CatArrInputTensorMetadataIT_T0_XT2_EXT3_EEENS1_16TensorSizeStrideIS8_Lj4EEEiS8_.num_agpr, 0
	.set _ZN2at6native12_GLOBAL__N_130CatArrayBatchedCopy_vectorizedINS1_10OpaqueTypeILj2EEEjLi4ELi128ELi1ELi16ELi8EEEvPcNS1_25CatArrInputTensorMetadataIT_T0_XT2_EXT3_EEENS1_16TensorSizeStrideIS8_Lj4EEEiS8_.numbered_sgpr, 26
	.set _ZN2at6native12_GLOBAL__N_130CatArrayBatchedCopy_vectorizedINS1_10OpaqueTypeILj2EEEjLi4ELi128ELi1ELi16ELi8EEEvPcNS1_25CatArrInputTensorMetadataIT_T0_XT2_EXT3_EEENS1_16TensorSizeStrideIS8_Lj4EEEiS8_.num_named_barrier, 0
	.set _ZN2at6native12_GLOBAL__N_130CatArrayBatchedCopy_vectorizedINS1_10OpaqueTypeILj2EEEjLi4ELi128ELi1ELi16ELi8EEEvPcNS1_25CatArrInputTensorMetadataIT_T0_XT2_EXT3_EEENS1_16TensorSizeStrideIS8_Lj4EEEiS8_.private_seg_size, 0
	.set _ZN2at6native12_GLOBAL__N_130CatArrayBatchedCopy_vectorizedINS1_10OpaqueTypeILj2EEEjLi4ELi128ELi1ELi16ELi8EEEvPcNS1_25CatArrInputTensorMetadataIT_T0_XT2_EXT3_EEENS1_16TensorSizeStrideIS8_Lj4EEEiS8_.uses_vcc, 1
	.set _ZN2at6native12_GLOBAL__N_130CatArrayBatchedCopy_vectorizedINS1_10OpaqueTypeILj2EEEjLi4ELi128ELi1ELi16ELi8EEEvPcNS1_25CatArrInputTensorMetadataIT_T0_XT2_EXT3_EEENS1_16TensorSizeStrideIS8_Lj4EEEiS8_.uses_flat_scratch, 0
	.set _ZN2at6native12_GLOBAL__N_130CatArrayBatchedCopy_vectorizedINS1_10OpaqueTypeILj2EEEjLi4ELi128ELi1ELi16ELi8EEEvPcNS1_25CatArrInputTensorMetadataIT_T0_XT2_EXT3_EEENS1_16TensorSizeStrideIS8_Lj4EEEiS8_.has_dyn_sized_stack, 0
	.set _ZN2at6native12_GLOBAL__N_130CatArrayBatchedCopy_vectorizedINS1_10OpaqueTypeILj2EEEjLi4ELi128ELi1ELi16ELi8EEEvPcNS1_25CatArrInputTensorMetadataIT_T0_XT2_EXT3_EEENS1_16TensorSizeStrideIS8_Lj4EEEiS8_.has_recursion, 0
	.set _ZN2at6native12_GLOBAL__N_130CatArrayBatchedCopy_vectorizedINS1_10OpaqueTypeILj2EEEjLi4ELi128ELi1ELi16ELi8EEEvPcNS1_25CatArrInputTensorMetadataIT_T0_XT2_EXT3_EEENS1_16TensorSizeStrideIS8_Lj4EEEiS8_.has_indirect_call, 0
	.section	.AMDGPU.csdata,"",@progbits
; Kernel info:
; codeLenInByte = 712
; TotalNumSgprs: 32
; NumVgprs: 16
; NumAgprs: 0
; TotalNumVgprs: 16
; ScratchSize: 0
; MemoryBound: 0
; FloatMode: 240
; IeeeMode: 1
; LDSByteSize: 0 bytes/workgroup (compile time only)
; SGPRBlocks: 3
; VGPRBlocks: 1
; NumSGPRsForWavesPerEU: 32
; NumVGPRsForWavesPerEU: 16
; AccumOffset: 16
; Occupancy: 8
; WaveLimiterHint : 1
; COMPUTE_PGM_RSRC2:SCRATCH_EN: 0
; COMPUTE_PGM_RSRC2:USER_SGPR: 2
; COMPUTE_PGM_RSRC2:TRAP_HANDLER: 0
; COMPUTE_PGM_RSRC2:TGID_X_EN: 1
; COMPUTE_PGM_RSRC2:TGID_Y_EN: 1
; COMPUTE_PGM_RSRC2:TGID_Z_EN: 0
; COMPUTE_PGM_RSRC2:TIDIG_COMP_CNT: 0
; COMPUTE_PGM_RSRC3_GFX90A:ACCUM_OFFSET: 3
; COMPUTE_PGM_RSRC3_GFX90A:TG_SPLIT: 0
	.section	.text._ZN2at6native12_GLOBAL__N_135CatArrayBatchedCopy_alignedK_contigINS1_10OpaqueTypeILj2EEEjLi4ELi128ELi1ELi16EEEvPT_NS1_25CatArrInputTensorMetadataIS5_T0_XT2_EXT3_EEENS1_16TensorSizeStrideIS8_Lj4EEEiS8_,"axG",@progbits,_ZN2at6native12_GLOBAL__N_135CatArrayBatchedCopy_alignedK_contigINS1_10OpaqueTypeILj2EEEjLi4ELi128ELi1ELi16EEEvPT_NS1_25CatArrInputTensorMetadataIS5_T0_XT2_EXT3_EEENS1_16TensorSizeStrideIS8_Lj4EEEiS8_,comdat
	.globl	_ZN2at6native12_GLOBAL__N_135CatArrayBatchedCopy_alignedK_contigINS1_10OpaqueTypeILj2EEEjLi4ELi128ELi1ELi16EEEvPT_NS1_25CatArrInputTensorMetadataIS5_T0_XT2_EXT3_EEENS1_16TensorSizeStrideIS8_Lj4EEEiS8_ ; -- Begin function _ZN2at6native12_GLOBAL__N_135CatArrayBatchedCopy_alignedK_contigINS1_10OpaqueTypeILj2EEEjLi4ELi128ELi1ELi16EEEvPT_NS1_25CatArrInputTensorMetadataIS5_T0_XT2_EXT3_EEENS1_16TensorSizeStrideIS8_Lj4EEEiS8_
	.p2align	8
	.type	_ZN2at6native12_GLOBAL__N_135CatArrayBatchedCopy_alignedK_contigINS1_10OpaqueTypeILj2EEEjLi4ELi128ELi1ELi16EEEvPT_NS1_25CatArrInputTensorMetadataIS5_T0_XT2_EXT3_EEENS1_16TensorSizeStrideIS8_Lj4EEEiS8_,@function
_ZN2at6native12_GLOBAL__N_135CatArrayBatchedCopy_alignedK_contigINS1_10OpaqueTypeILj2EEEjLi4ELi128ELi1ELi16EEEvPT_NS1_25CatArrInputTensorMetadataIS5_T0_XT2_EXT3_EEENS1_16TensorSizeStrideIS8_Lj4EEEiS8_: ; @_ZN2at6native12_GLOBAL__N_135CatArrayBatchedCopy_alignedK_contigINS1_10OpaqueTypeILj2EEEjLi4ELi128ELi1ELi16EEEvPT_NS1_25CatArrInputTensorMetadataIS5_T0_XT2_EXT3_EEENS1_16TensorSizeStrideIS8_Lj4EEEiS8_
; %bb.0:
	s_mov_b32 s4, s3
	s_load_dword s3, s[0:1], 0xadc
	s_add_u32 s18, s0, 0xad0
	s_mov_b32 s5, 0
	s_addc_u32 s19, s1, 0
	s_lshl_b64 s[4:5], s[4:5], 2
	s_waitcnt lgkmcnt(0)
	s_and_b32 s20, s3, 0xffff
	s_add_u32 s6, s0, s4
	s_addc_u32 s7, s1, s5
	s_load_dword s22, s[6:7], 0x808
	s_mul_i32 s2, s2, s20
	v_add_lshl_u32 v10, s2, v0, 3
	s_add_u32 s6, s6, 8
	s_addc_u32 s7, s7, 0
	s_waitcnt lgkmcnt(0)
	v_cmp_gt_u32_e32 vcc, s22, v10
	s_and_saveexec_b64 s[2:3], vcc
	s_cbranch_execz .LBB36_10
; %bb.1:
	s_add_u32 s14, s6, s4
	s_addc_u32 s15, s7, s5
	s_sub_u32 s4, 0, s4
	s_load_dwordx2 s[2:3], s[0:1], 0x0
	s_subb_u32 s5, 0, s5
	s_add_u32 s16, s14, s4
	s_addc_u32 s17, s15, s5
	s_load_dword s21, s[0:1], 0xacc
	s_load_dword s23, s[16:17], 0x400
	s_load_dwordx8 s[4:11], s[0:1], 0xaac
	s_load_dwordx2 s[12:13], s[14:15], 0x0
	s_load_dword s24, s[16:17], 0x600
	v_add_u32_e32 v0, 8, v10
	s_mov_b64 s[14:15], 0
	s_waitcnt lgkmcnt(0)
	s_mul_i32 s23, s23, s21
	v_cmp_ge_u32_e32 vcc, s22, v0
	s_and_saveexec_b64 s[16:17], vcc
	s_cbranch_execz .LBB36_7
; %bb.2:
	s_load_dword s0, s[18:19], 0x0
	v_mov_b32_e32 v1, 0
	v_mov_b32_e32 v5, v1
	;; [unrolled: 1-line block ×4, first 2 shown]
	s_waitcnt lgkmcnt(0)
	s_mul_i32 s0, s0, s20
	s_lshl_b32 s18, s0, 3
	s_cmp_eq_u32 s11, 3
	s_cselect_b32 s25, s24, s6
	s_cmp_eq_u32 s11, 2
	v_cvt_f32_u32_e32 v0, s25
	s_cselect_b32 s26, s24, s5
	s_cmp_eq_u32 s11, 1
	v_cvt_f32_u32_e32 v2, s26
	s_cselect_b32 s27, s24, s4
	v_rcp_iflag_f32_e32 v0, v0
	v_cvt_f32_u32_e32 v3, s27
	v_rcp_iflag_f32_e32 v2, v2
	s_sub_i32 s28, 0, s25
	v_mul_f32_e32 v0, 0x4f7ffffe, v0
	v_rcp_iflag_f32_e32 v3, v3
	v_cvt_u32_f32_e32 v0, v0
	v_mul_f32_e32 v2, 0x4f7ffffe, v2
	v_cvt_u32_f32_e32 v2, v2
	v_mul_f32_e32 v3, 0x4f7ffffe, v3
	v_mul_lo_u32 v4, s28, v0
	v_cvt_u32_f32_e32 v3, v3
	v_mul_hi_u32 v4, v0, v4
	s_sub_i32 s0, 0, s26
	v_add_u32_e32 v12, v0, v4
	v_mul_lo_u32 v0, s0, v2
	v_mul_hi_u32 v0, v2, v0
	s_sub_i32 s0, 0, s27
	v_add_u32_e32 v13, v2, v0
	v_mul_lo_u32 v0, s0, v3
	v_mul_hi_u32 v0, v3, v0
	v_add_u32_e32 v14, v3, v0
	v_mov_b32_e32 v2, v1
	v_mov_b32_e32 v3, v1
	;; [unrolled: 1-line block ×4, first 2 shown]
	v_mov_b64_e32 v[8:9], v[6:7]
	s_mov_b32 s19, 0
	v_add_u32_e32 v15, 1, v10
	v_mov_b32_e32 v11, v1
	v_mov_b64_e32 v[6:7], v[4:5]
	v_mov_b64_e32 v[4:5], v[2:3]
	;; [unrolled: 1-line block ×3, first 2 shown]
.LBB36_3:                               ; =>This Loop Header: Depth=1
                                        ;     Child Loop BB36_4 Depth 2
	s_mov_b64 s[20:21], 0
	v_mov_b32_e32 v16, v10
	v_mov_b32_e32 v17, v15
.LBB36_4:                               ;   Parent Loop BB36_3 Depth=1
                                        ; =>  This Inner Loop Header: Depth=2
	v_mul_hi_u32 v18, v12, v17
	v_mul_hi_u32 v19, v12, v16
	v_add_u32_e32 v0, s20, v10
	v_mul_lo_u32 v20, s25, v18
	v_not_b32_e32 v21, v18
	v_not_b32_e32 v22, v19
	v_mul_hi_u32 v23, v0, v12
	v_mad_u64_u32 v[18:19], s[0:1], s28, v19, v[0:1]
	v_add_u32_e32 v19, 1, v0
	v_sub_u32_e32 v24, v15, v20
	v_mul_lo_u32 v25, s25, v21
	v_add_u32_e32 v26, 1, v23
	v_mad_u64_u32 v[20:21], s[0:1], s25, v22, v[0:1]
	v_cmp_le_u32_e32 vcc, s25, v18
	v_mul_hi_u32 v19, v19, v12
	v_add_u32_e32 v22, 1, v19
	v_cndmask_b32_e32 v21, v23, v26, vcc
	v_cndmask_b32_e32 v18, v18, v20, vcc
	v_add_u32_e32 v20, s20, v24
	v_add3_u32 v23, v15, v25, s20
	v_add_u32_e32 v24, 1, v21
	v_cmp_le_u32_e32 vcc, s25, v20
	v_cmp_le_u32_e64 s[0:1], s25, v18
	s_cmp_eq_u32 s20, 0
	v_cndmask_b32_e32 v22, v19, v22, vcc
	v_cndmask_b32_e64 v24, v21, v24, s[0:1]
	v_cndmask_b32_e32 v20, v20, v23, vcc
	v_add_u32_e32 v21, 1, v22
	v_mul_hi_u32 v23, v24, v13
	v_mad_u64_u32 v[18:19], s[0:1], s28, v24, v[0:1]
	v_cmp_le_u32_e32 vcc, s25, v20
	v_add_u32_e32 v25, 1, v23
	v_mul_lo_u32 v18, v18, s10
	v_cndmask_b32_e32 v19, v22, v21, vcc
	v_mul_lo_u32 v22, v23, s26
	v_mul_hi_u32 v26, v19, v13
	v_mad_u64_u32 v[20:21], s[0:1], s28, v19, v[0:1]
	v_sub_u32_e32 v0, v24, v22
	v_mul_lo_u32 v21, v26, s26
	v_cmp_le_u32_e32 vcc, s26, v0
	v_sub_u32_e32 v21, v19, v21
	v_add_u32_e32 v22, 1, v26
	v_cndmask_b32_e32 v23, v23, v25, vcc
	v_subrev_u32_e32 v25, s26, v0
	v_cndmask_b32_e32 v0, v0, v25, vcc
	v_cmp_le_u32_e32 vcc, s26, v21
	v_add_u32_e32 v25, 1, v23
	v_cmp_le_u32_e64 s[0:1], s26, v0
	v_cndmask_b32_e32 v22, v26, v22, vcc
	v_subrev_u32_e32 v26, s26, v21
	v_cndmask_b32_e64 v0, v23, v25, s[0:1]
	v_cndmask_b32_e32 v21, v21, v26, vcc
	v_add_u32_e32 v23, 1, v22
	v_mul_hi_u32 v26, v0, v14
	v_cmp_le_u32_e32 vcc, s26, v21
	v_mul_lo_u32 v25, v0, s26
	v_mul_lo_u32 v20, s10, v20
	v_cndmask_b32_e32 v21, v22, v23, vcc
	v_mul_lo_u32 v23, v26, s27
	v_sub_u32_e32 v23, v0, v23
	v_sub_u32_e32 v22, v24, v25
	v_add_u32_e32 v24, 1, v26
	v_mul_lo_u32 v25, v21, s26
	v_mul_hi_u32 v27, v21, v14
	v_cmp_le_u32_e32 vcc, s27, v23
	v_sub_u32_e32 v19, v19, v25
	v_mul_lo_u32 v25, v27, s27
	v_cndmask_b32_e32 v24, v26, v24, vcc
	v_subrev_u32_e32 v26, s27, v23
	v_mul_lo_u32 v29, v19, s9
	v_sub_u32_e32 v19, v21, v25
	v_cndmask_b32_e32 v23, v23, v26, vcc
	v_add_u32_e32 v28, 1, v27
	v_add_u32_e32 v25, 1, v24
	v_cmp_le_u32_e32 vcc, s27, v19
	v_cmp_le_u32_e64 s[0:1], s27, v23
	v_mul_lo_u32 v22, v22, s9
	v_cndmask_b32_e32 v26, v27, v28, vcc
	v_subrev_u32_e32 v27, s27, v19
	v_cndmask_b32_e64 v23, v24, v25, s[0:1]
	v_cndmask_b32_e32 v24, v19, v27, vcc
	v_mul_lo_u32 v27, v23, s27
	v_sub_u32_e32 v0, v0, v27
	v_add_u32_e32 v25, 1, v26
	v_mad_u64_u32 v[18:19], s[0:1], v23, s7, v[18:19]
	v_cmp_le_u32_e32 vcc, s27, v24
	v_mul_lo_u32 v0, v0, s8
	v_add3_u32 v0, v18, v22, v0
	v_cndmask_b32_e32 v19, v26, v25, vcc
	s_cselect_b64 vcc, -1, 0
	s_cmp_eq_u32 s20, 1
	v_cndmask_b32_e32 v2, v2, v0, vcc
	s_cselect_b64 vcc, -1, 0
	s_cmp_eq_u32 s20, 2
	;; [unrolled: 3-line block ×6, first 2 shown]
	v_mul_lo_u32 v23, v19, s27
	v_cndmask_b32_e32 v7, v7, v0, vcc
	s_cselect_b64 vcc, -1, 0
	s_cmp_eq_u32 s20, 7
	v_mul_lo_u32 v19, v19, s7
	v_sub_u32_e32 v21, v21, v23
	v_cndmask_b32_e32 v8, v8, v0, vcc
	s_cselect_b64 vcc, -1, 0
	s_add_i32 s0, s20, 1
	v_add3_u32 v19, v20, s10, v19
	v_mul_lo_u32 v18, v21, s8
	s_cmp_eq_u32 s0, 7
	v_add3_u32 v18, v19, v29, v18
	v_cndmask_b32_e32 v0, v9, v0, vcc
	s_cselect_b64 vcc, -1, 0
	s_cmp_eq_u32 s0, 6
	v_cndmask_b32_e32 v9, v0, v18, vcc
	s_cselect_b64 vcc, -1, 0
	s_cmp_eq_u32 s0, 5
	v_cndmask_b32_e32 v8, v8, v18, vcc
	s_cselect_b64 vcc, -1, 0
	s_cmp_eq_u32 s0, 4
	v_cndmask_b32_e32 v7, v7, v18, vcc
	s_cselect_b64 vcc, -1, 0
	s_cmp_eq_u32 s0, 3
	v_cndmask_b32_e32 v6, v6, v18, vcc
	s_cselect_b64 vcc, -1, 0
	s_cmp_eq_u32 s0, 2
	v_cndmask_b32_e32 v5, v5, v18, vcc
	s_cselect_b64 vcc, -1, 0
	s_cmp_eq_u32 s0, 1
	v_cndmask_b32_e32 v4, v4, v18, vcc
	s_cselect_b64 vcc, -1, 0
	s_cmp_eq_u32 s0, 0
	v_cndmask_b32_e32 v3, v3, v18, vcc
	s_cselect_b64 vcc, -1, 0
	s_add_u32 s20, s20, 2
	s_addc_u32 s21, s21, 0
	v_add_u32_e32 v17, 2, v17
	v_add_u32_e32 v16, 2, v16
	s_cmp_eq_u32 s20, 8
	v_cndmask_b32_e32 v2, v2, v18, vcc
	s_cbranch_scc0 .LBB36_4
; %bb.5:                                ;   in Loop: Header=BB36_3 Depth=1
	v_mov_b32_e32 v0, v10
	v_lshl_add_u64 v[16:17], v[0:1], 1, s[12:13]
	global_load_dwordx4 v[16:19], v[16:17], off
	v_lshl_add_u64 v[10:11], v[10:11], 0, s[18:19]
	v_add_u32_e32 v0, s23, v2
	v_add_u32_e32 v22, 8, v10
	v_lshl_add_u64 v[20:21], v[0:1], 1, s[2:3]
	v_add_u32_e32 v0, s23, v3
	v_cmp_lt_u32_e32 vcc, s22, v22
	v_lshl_add_u64 v[22:23], v[0:1], 1, s[2:3]
	v_add_u32_e32 v0, s23, v4
	v_lshl_add_u64 v[24:25], v[0:1], 1, s[2:3]
	v_add_u32_e32 v0, s23, v5
	;; [unrolled: 2-line block ×5, first 2 shown]
	s_or_b64 s[14:15], vcc, s[14:15]
	v_lshl_add_u64 v[32:33], v[0:1], 1, s[2:3]
	v_add_u32_e32 v0, s23, v9
	v_add_u32_e32 v15, s18, v15
	v_lshl_add_u64 v[34:35], v[0:1], 1, s[2:3]
	s_waitcnt vmcnt(0)
	global_store_short v[20:21], v16, off
	global_store_short_d16_hi v[22:23], v16, off
	global_store_short v[24:25], v17, off
	global_store_short_d16_hi v[26:27], v17, off
	;; [unrolled: 2-line block ×4, first 2 shown]
	s_andn2_b64 exec, exec, s[14:15]
	s_cbranch_execnz .LBB36_3
; %bb.6:
	s_or_b64 exec, exec, s[14:15]
.LBB36_7:
	s_or_b64 exec, exec, s[16:17]
	v_cmp_gt_u32_e32 vcc, s22, v10
	s_and_b64 exec, exec, vcc
	s_cbranch_execz .LBB36_10
; %bb.8:
	s_cmp_eq_u32 s11, 3
	s_cselect_b32 s6, s24, s6
	v_cvt_f32_u32_e32 v0, s6
	s_cmp_eq_u32 s11, 2
	s_cselect_b32 s5, s24, s5
	v_cvt_f32_u32_e32 v2, s5
	v_rcp_iflag_f32_e32 v0, v0
	s_cmp_eq_u32 s11, 1
	s_cselect_b32 s4, s24, s4
	v_cvt_f32_u32_e32 v3, s4
	v_mul_f32_e32 v0, 0x4f7ffffe, v0
	v_cvt_u32_f32_e32 v0, v0
	v_rcp_iflag_f32_e32 v4, v2
	s_sub_i32 s11, 0, s6
	s_sub_i32 s0, 0, s5
	v_mul_lo_u32 v2, s11, v0
	v_mul_hi_u32 v2, v0, v2
	v_add_u32_e32 v2, v0, v2
	v_mul_f32_e32 v0, 0x4f7ffffe, v4
	v_rcp_iflag_f32_e32 v4, v3
	v_cvt_u32_f32_e32 v0, v0
	v_mov_b32_e32 v1, 0
	v_mov_b32_e32 v11, v1
	v_mul_f32_e32 v4, 0x4f7ffffe, v4
	v_cvt_u32_f32_e32 v4, v4
	v_mul_lo_u32 v5, s0, v0
	v_mul_hi_u32 v5, v0, v5
	s_sub_i32 s0, 0, s4
	v_add_u32_e32 v8, v0, v5
	v_mul_lo_u32 v0, s0, v4
	v_mul_hi_u32 v0, v4, v0
	v_add_u32_e32 v9, v4, v0
	v_mad_u64_u32 v[4:5], s[0:1], v10, v2, 0
	v_mov_b32_e32 v3, v1
	v_lshl_add_u64 v[6:7], v[10:11], 1, s[12:13]
	s_mov_b64 s[0:1], 0
.LBB36_9:                               ; =>This Inner Loop Header: Depth=1
	global_load_ushort v11, v[6:7], off
	v_mul_lo_u32 v0, s6, v5
	v_not_b32_e32 v12, v5
	v_sub_u32_e32 v0, v10, v0
	v_add_u32_e32 v14, 1, v5
	v_cmp_le_u32_e32 vcc, s6, v0
	v_lshl_add_u64 v[6:7], v[6:7], 0, 2
	s_waitcnt vmcnt(0)
	v_mad_u64_u32 v[12:13], s[12:13], s6, v12, v[10:11]
	v_cndmask_b32_e32 v13, v5, v14, vcc
	v_cndmask_b32_e32 v0, v0, v12, vcc
	v_add_u32_e32 v12, 1, v13
	v_cmp_le_u32_e32 vcc, s6, v0
	v_lshl_add_u64 v[4:5], v[4:5], 0, v[2:3]
	s_nop 0
	v_cndmask_b32_e32 v0, v13, v12, vcc
	v_mul_hi_u32 v14, v0, v8
	v_mad_u64_u32 v[12:13], s[12:13], s11, v0, v[10:11]
	v_add_u32_e32 v10, 1, v10
	v_mul_lo_u32 v13, v14, s5
	v_cmp_le_u32_e32 vcc, s22, v10
	v_sub_u32_e32 v13, v0, v13
	v_add_u32_e32 v15, 1, v14
	s_or_b64 s[0:1], vcc, s[0:1]
	v_cmp_le_u32_e32 vcc, s5, v13
	v_mul_lo_u32 v12, v12, s10
	s_nop 0
	v_cndmask_b32_e32 v14, v14, v15, vcc
	v_subrev_u32_e32 v15, s5, v13
	v_cndmask_b32_e32 v13, v13, v15, vcc
	v_add_u32_e32 v15, 1, v14
	v_cmp_le_u32_e32 vcc, s5, v13
	s_nop 1
	v_cndmask_b32_e32 v13, v14, v15, vcc
	v_mul_hi_u32 v14, v13, v9
	v_mul_lo_u32 v15, v13, s5
	v_mul_lo_u32 v16, v14, s4
	v_sub_u32_e32 v0, v0, v15
	v_sub_u32_e32 v15, v13, v16
	v_add_u32_e32 v17, 1, v14
	v_cmp_le_u32_e32 vcc, s4, v15
	v_subrev_u32_e32 v16, s4, v15
	v_mul_lo_u32 v0, v0, s9
	v_cndmask_b32_e32 v14, v14, v17, vcc
	v_cndmask_b32_e32 v15, v15, v16, vcc
	v_add_u32_e32 v16, 1, v14
	v_cmp_le_u32_e32 vcc, s4, v15
	s_nop 1
	v_cndmask_b32_e32 v14, v14, v16, vcc
	v_mul_lo_u32 v15, v14, s4
	v_mul_lo_u32 v14, v14, s7
	v_sub_u32_e32 v13, v13, v15
	v_add3_u32 v0, v14, v12, v0
	v_mul_lo_u32 v12, v13, s8
	v_add3_u32 v0, v0, v12, s23
	v_lshl_add_u64 v[12:13], v[0:1], 1, s[2:3]
	global_store_short v[12:13], v11, off
	s_andn2_b64 exec, exec, s[0:1]
	s_cbranch_execnz .LBB36_9
.LBB36_10:
	s_endpgm
	.section	.rodata,"a",@progbits
	.p2align	6, 0x0
	.amdhsa_kernel _ZN2at6native12_GLOBAL__N_135CatArrayBatchedCopy_alignedK_contigINS1_10OpaqueTypeILj2EEEjLi4ELi128ELi1ELi16EEEvPT_NS1_25CatArrInputTensorMetadataIS5_T0_XT2_EXT3_EEENS1_16TensorSizeStrideIS8_Lj4EEEiS8_
		.amdhsa_group_segment_fixed_size 0
		.amdhsa_private_segment_fixed_size 0
		.amdhsa_kernarg_size 3024
		.amdhsa_user_sgpr_count 2
		.amdhsa_user_sgpr_dispatch_ptr 0
		.amdhsa_user_sgpr_queue_ptr 0
		.amdhsa_user_sgpr_kernarg_segment_ptr 1
		.amdhsa_user_sgpr_dispatch_id 0
		.amdhsa_user_sgpr_kernarg_preload_length 0
		.amdhsa_user_sgpr_kernarg_preload_offset 0
		.amdhsa_user_sgpr_private_segment_size 0
		.amdhsa_uses_dynamic_stack 0
		.amdhsa_enable_private_segment 0
		.amdhsa_system_sgpr_workgroup_id_x 1
		.amdhsa_system_sgpr_workgroup_id_y 1
		.amdhsa_system_sgpr_workgroup_id_z 0
		.amdhsa_system_sgpr_workgroup_info 0
		.amdhsa_system_vgpr_workitem_id 0
		.amdhsa_next_free_vgpr 36
		.amdhsa_next_free_sgpr 29
		.amdhsa_accum_offset 36
		.amdhsa_reserve_vcc 1
		.amdhsa_float_round_mode_32 0
		.amdhsa_float_round_mode_16_64 0
		.amdhsa_float_denorm_mode_32 3
		.amdhsa_float_denorm_mode_16_64 3
		.amdhsa_dx10_clamp 1
		.amdhsa_ieee_mode 1
		.amdhsa_fp16_overflow 0
		.amdhsa_tg_split 0
		.amdhsa_exception_fp_ieee_invalid_op 0
		.amdhsa_exception_fp_denorm_src 0
		.amdhsa_exception_fp_ieee_div_zero 0
		.amdhsa_exception_fp_ieee_overflow 0
		.amdhsa_exception_fp_ieee_underflow 0
		.amdhsa_exception_fp_ieee_inexact 0
		.amdhsa_exception_int_div_zero 0
	.end_amdhsa_kernel
	.section	.text._ZN2at6native12_GLOBAL__N_135CatArrayBatchedCopy_alignedK_contigINS1_10OpaqueTypeILj2EEEjLi4ELi128ELi1ELi16EEEvPT_NS1_25CatArrInputTensorMetadataIS5_T0_XT2_EXT3_EEENS1_16TensorSizeStrideIS8_Lj4EEEiS8_,"axG",@progbits,_ZN2at6native12_GLOBAL__N_135CatArrayBatchedCopy_alignedK_contigINS1_10OpaqueTypeILj2EEEjLi4ELi128ELi1ELi16EEEvPT_NS1_25CatArrInputTensorMetadataIS5_T0_XT2_EXT3_EEENS1_16TensorSizeStrideIS8_Lj4EEEiS8_,comdat
.Lfunc_end36:
	.size	_ZN2at6native12_GLOBAL__N_135CatArrayBatchedCopy_alignedK_contigINS1_10OpaqueTypeILj2EEEjLi4ELi128ELi1ELi16EEEvPT_NS1_25CatArrInputTensorMetadataIS5_T0_XT2_EXT3_EEENS1_16TensorSizeStrideIS8_Lj4EEEiS8_, .Lfunc_end36-_ZN2at6native12_GLOBAL__N_135CatArrayBatchedCopy_alignedK_contigINS1_10OpaqueTypeILj2EEEjLi4ELi128ELi1ELi16EEEvPT_NS1_25CatArrInputTensorMetadataIS5_T0_XT2_EXT3_EEENS1_16TensorSizeStrideIS8_Lj4EEEiS8_
                                        ; -- End function
	.set _ZN2at6native12_GLOBAL__N_135CatArrayBatchedCopy_alignedK_contigINS1_10OpaqueTypeILj2EEEjLi4ELi128ELi1ELi16EEEvPT_NS1_25CatArrInputTensorMetadataIS5_T0_XT2_EXT3_EEENS1_16TensorSizeStrideIS8_Lj4EEEiS8_.num_vgpr, 36
	.set _ZN2at6native12_GLOBAL__N_135CatArrayBatchedCopy_alignedK_contigINS1_10OpaqueTypeILj2EEEjLi4ELi128ELi1ELi16EEEvPT_NS1_25CatArrInputTensorMetadataIS5_T0_XT2_EXT3_EEENS1_16TensorSizeStrideIS8_Lj4EEEiS8_.num_agpr, 0
	.set _ZN2at6native12_GLOBAL__N_135CatArrayBatchedCopy_alignedK_contigINS1_10OpaqueTypeILj2EEEjLi4ELi128ELi1ELi16EEEvPT_NS1_25CatArrInputTensorMetadataIS5_T0_XT2_EXT3_EEENS1_16TensorSizeStrideIS8_Lj4EEEiS8_.numbered_sgpr, 29
	.set _ZN2at6native12_GLOBAL__N_135CatArrayBatchedCopy_alignedK_contigINS1_10OpaqueTypeILj2EEEjLi4ELi128ELi1ELi16EEEvPT_NS1_25CatArrInputTensorMetadataIS5_T0_XT2_EXT3_EEENS1_16TensorSizeStrideIS8_Lj4EEEiS8_.num_named_barrier, 0
	.set _ZN2at6native12_GLOBAL__N_135CatArrayBatchedCopy_alignedK_contigINS1_10OpaqueTypeILj2EEEjLi4ELi128ELi1ELi16EEEvPT_NS1_25CatArrInputTensorMetadataIS5_T0_XT2_EXT3_EEENS1_16TensorSizeStrideIS8_Lj4EEEiS8_.private_seg_size, 0
	.set _ZN2at6native12_GLOBAL__N_135CatArrayBatchedCopy_alignedK_contigINS1_10OpaqueTypeILj2EEEjLi4ELi128ELi1ELi16EEEvPT_NS1_25CatArrInputTensorMetadataIS5_T0_XT2_EXT3_EEENS1_16TensorSizeStrideIS8_Lj4EEEiS8_.uses_vcc, 1
	.set _ZN2at6native12_GLOBAL__N_135CatArrayBatchedCopy_alignedK_contigINS1_10OpaqueTypeILj2EEEjLi4ELi128ELi1ELi16EEEvPT_NS1_25CatArrInputTensorMetadataIS5_T0_XT2_EXT3_EEENS1_16TensorSizeStrideIS8_Lj4EEEiS8_.uses_flat_scratch, 0
	.set _ZN2at6native12_GLOBAL__N_135CatArrayBatchedCopy_alignedK_contigINS1_10OpaqueTypeILj2EEEjLi4ELi128ELi1ELi16EEEvPT_NS1_25CatArrInputTensorMetadataIS5_T0_XT2_EXT3_EEENS1_16TensorSizeStrideIS8_Lj4EEEiS8_.has_dyn_sized_stack, 0
	.set _ZN2at6native12_GLOBAL__N_135CatArrayBatchedCopy_alignedK_contigINS1_10OpaqueTypeILj2EEEjLi4ELi128ELi1ELi16EEEvPT_NS1_25CatArrInputTensorMetadataIS5_T0_XT2_EXT3_EEENS1_16TensorSizeStrideIS8_Lj4EEEiS8_.has_recursion, 0
	.set _ZN2at6native12_GLOBAL__N_135CatArrayBatchedCopy_alignedK_contigINS1_10OpaqueTypeILj2EEEjLi4ELi128ELi1ELi16EEEvPT_NS1_25CatArrInputTensorMetadataIS5_T0_XT2_EXT3_EEENS1_16TensorSizeStrideIS8_Lj4EEEiS8_.has_indirect_call, 0
	.section	.AMDGPU.csdata,"",@progbits
; Kernel info:
; codeLenInByte = 1944
; TotalNumSgprs: 35
; NumVgprs: 36
; NumAgprs: 0
; TotalNumVgprs: 36
; ScratchSize: 0
; MemoryBound: 0
; FloatMode: 240
; IeeeMode: 1
; LDSByteSize: 0 bytes/workgroup (compile time only)
; SGPRBlocks: 4
; VGPRBlocks: 4
; NumSGPRsForWavesPerEU: 35
; NumVGPRsForWavesPerEU: 36
; AccumOffset: 36
; Occupancy: 8
; WaveLimiterHint : 1
; COMPUTE_PGM_RSRC2:SCRATCH_EN: 0
; COMPUTE_PGM_RSRC2:USER_SGPR: 2
; COMPUTE_PGM_RSRC2:TRAP_HANDLER: 0
; COMPUTE_PGM_RSRC2:TGID_X_EN: 1
; COMPUTE_PGM_RSRC2:TGID_Y_EN: 1
; COMPUTE_PGM_RSRC2:TGID_Z_EN: 0
; COMPUTE_PGM_RSRC2:TIDIG_COMP_CNT: 0
; COMPUTE_PGM_RSRC3_GFX90A:ACCUM_OFFSET: 8
; COMPUTE_PGM_RSRC3_GFX90A:TG_SPLIT: 0
	.section	.text._ZN2at6native12_GLOBAL__N_135CatArrayBatchedCopy_alignedK_contigINS1_10OpaqueTypeILj2EEEjLi4ELi128ELi1ELi8EEEvPT_NS1_25CatArrInputTensorMetadataIS5_T0_XT2_EXT3_EEENS1_16TensorSizeStrideIS8_Lj4EEEiS8_,"axG",@progbits,_ZN2at6native12_GLOBAL__N_135CatArrayBatchedCopy_alignedK_contigINS1_10OpaqueTypeILj2EEEjLi4ELi128ELi1ELi8EEEvPT_NS1_25CatArrInputTensorMetadataIS5_T0_XT2_EXT3_EEENS1_16TensorSizeStrideIS8_Lj4EEEiS8_,comdat
	.globl	_ZN2at6native12_GLOBAL__N_135CatArrayBatchedCopy_alignedK_contigINS1_10OpaqueTypeILj2EEEjLi4ELi128ELi1ELi8EEEvPT_NS1_25CatArrInputTensorMetadataIS5_T0_XT2_EXT3_EEENS1_16TensorSizeStrideIS8_Lj4EEEiS8_ ; -- Begin function _ZN2at6native12_GLOBAL__N_135CatArrayBatchedCopy_alignedK_contigINS1_10OpaqueTypeILj2EEEjLi4ELi128ELi1ELi8EEEvPT_NS1_25CatArrInputTensorMetadataIS5_T0_XT2_EXT3_EEENS1_16TensorSizeStrideIS8_Lj4EEEiS8_
	.p2align	8
	.type	_ZN2at6native12_GLOBAL__N_135CatArrayBatchedCopy_alignedK_contigINS1_10OpaqueTypeILj2EEEjLi4ELi128ELi1ELi8EEEvPT_NS1_25CatArrInputTensorMetadataIS5_T0_XT2_EXT3_EEENS1_16TensorSizeStrideIS8_Lj4EEEiS8_,@function
_ZN2at6native12_GLOBAL__N_135CatArrayBatchedCopy_alignedK_contigINS1_10OpaqueTypeILj2EEEjLi4ELi128ELi1ELi8EEEvPT_NS1_25CatArrInputTensorMetadataIS5_T0_XT2_EXT3_EEENS1_16TensorSizeStrideIS8_Lj4EEEiS8_: ; @_ZN2at6native12_GLOBAL__N_135CatArrayBatchedCopy_alignedK_contigINS1_10OpaqueTypeILj2EEEjLi4ELi128ELi1ELi8EEEvPT_NS1_25CatArrInputTensorMetadataIS5_T0_XT2_EXT3_EEENS1_16TensorSizeStrideIS8_Lj4EEEiS8_
; %bb.0:
	s_mov_b32 s6, s3
	s_load_dword s3, s[0:1], 0xadc
	s_add_u32 s4, s0, 0xad0
	s_mov_b32 s7, 0
	s_addc_u32 s5, s1, 0
	s_lshl_b64 s[8:9], s[6:7], 2
	s_waitcnt lgkmcnt(0)
	s_and_b32 s3, s3, 0xffff
	s_add_u32 s6, s0, s8
	s_addc_u32 s7, s1, s9
	s_load_dword s22, s[6:7], 0x808
	s_mul_i32 s2, s2, s3
	v_add_lshl_u32 v0, s2, v0, 2
	s_add_u32 s2, s6, 8
	s_addc_u32 s10, s7, 0
	s_waitcnt lgkmcnt(0)
	v_cmp_gt_u32_e32 vcc, s22, v0
	s_and_saveexec_b64 s[6:7], vcc
	s_cbranch_execz .LBB37_8
; %bb.1:
	s_add_u32 s18, s2, s8
	s_addc_u32 s19, s10, s9
	s_sub_u32 s2, 0, s8
	s_load_dwordx2 s[6:7], s[0:1], 0x0
	s_subb_u32 s8, 0, s9
	s_add_u32 s20, s18, s2
	s_addc_u32 s21, s19, s8
	s_load_dword s2, s[0:1], 0xacc
	s_load_dword s23, s[20:21], 0x400
	s_load_dwordx8 s[8:15], s[0:1], 0xaac
	s_load_dwordx2 s[16:17], s[18:19], 0x0
	s_load_dword s24, s[20:21], 0x600
	v_add_u32_e32 v1, 4, v0
	s_mov_b64 s[18:19], 0
	s_waitcnt lgkmcnt(0)
	s_mul_i32 s23, s23, s2
	v_cmp_ge_u32_e32 vcc, s22, v1
	s_and_saveexec_b64 s[20:21], vcc
	s_cbranch_execz .LBB37_5
; %bb.2:
	s_load_dword s0, s[4:5], 0x0
	v_mov_b32_e32 v1, 0
	v_add_u32_e32 v15, 3, v0
	v_add_u32_e32 v16, 2, v0
	;; [unrolled: 1-line block ×3, first 2 shown]
	s_waitcnt lgkmcnt(0)
	s_mul_i32 s0, s0, s3
	s_lshl_b32 s25, s0, 2
	s_cmp_eq_u32 s15, 3
	s_cselect_b32 s26, s24, s10
	s_cmp_eq_u32 s15, 2
	v_cvt_f32_u32_e32 v2, s26
	s_cselect_b32 s27, s24, s9
	s_cmp_eq_u32 s15, 1
	v_cvt_f32_u32_e32 v3, s27
	s_cselect_b32 s28, s24, s8
	v_rcp_iflag_f32_e32 v2, v2
	v_cvt_f32_u32_e32 v4, s28
	v_rcp_iflag_f32_e32 v3, v3
	s_sub_i32 s29, 0, s26
	v_mul_f32_e32 v2, 0x4f7ffffe, v2
	v_rcp_iflag_f32_e32 v4, v4
	v_cvt_u32_f32_e32 v2, v2
	v_mul_f32_e32 v3, 0x4f7ffffe, v3
	v_cvt_u32_f32_e32 v3, v3
	v_mul_f32_e32 v4, 0x4f7ffffe, v4
	v_mul_lo_u32 v5, s29, v2
	v_cvt_u32_f32_e32 v4, v4
	s_sub_i32 s0, 0, s27
	v_mul_hi_u32 v5, v2, v5
	v_add_u32_e32 v12, v2, v5
	v_mul_lo_u32 v2, s0, v3
	v_mul_hi_u32 v2, v3, v2
	s_sub_i32 s0, 0, s28
	v_add_u32_e32 v13, v3, v2
	v_mul_lo_u32 v2, s0, v4
	v_mul_hi_u32 v2, v4, v2
	v_add_u32_e32 v14, v4, v2
.LBB37_3:                               ; =>This Inner Loop Header: Depth=1
	v_lshl_add_u64 v[10:11], v[0:1], 1, s[16:17]
	global_load_dwordx2 v[10:11], v[10:11], off
	v_mul_hi_u32 v8, v12, v0
	v_mul_hi_u32 v22, v12, v16
	;; [unrolled: 1-line block ×3, first 2 shown]
	v_add_u32_e32 v2, 1, v0
	v_add_u32_e32 v4, 2, v0
	v_mov_b32_e32 v3, v1
	v_mov_b32_e32 v5, v1
	v_not_b32_e32 v26, v8
	v_mad_u64_u32 v[18:19], s[0:1], s29, v8, v[0:1]
	v_mul_hi_u32 v24, v12, v15
	v_add_u32_e32 v6, 3, v0
	v_mov_b32_e32 v7, v1
	v_not_b32_e32 v30, v22
	v_not_b32_e32 v28, v20
	v_add_u32_e32 v19, 1, v8
	v_mad_u64_u32 v[20:21], s[0:1], s29, v20, v[2:3]
	v_mad_u64_u32 v[22:23], s[0:1], s29, v22, v[4:5]
	v_cmp_le_u32_e32 vcc, s26, v18
	v_mad_u64_u32 v[26:27], s[0:1], s26, v26, v[0:1]
	v_not_b32_e32 v32, v24
	v_mul_hi_u32 v34, v2, v12
	v_mul_hi_u32 v21, v4, v12
	;; [unrolled: 1-line block ×3, first 2 shown]
	v_mad_u64_u32 v[24:25], s[0:1], s29, v24, v[6:7]
	v_cndmask_b32_e32 v8, v8, v19, vcc
	v_mad_u64_u32 v[28:29], s[2:3], s26, v28, v[2:3]
	v_mad_u64_u32 v[30:31], s[4:5], s26, v30, v[4:5]
	v_cndmask_b32_e32 v18, v18, v26, vcc
	v_add_u32_e32 v19, 1, v34
	v_cmp_le_u32_e64 s[0:1], s26, v20
	v_add_u32_e32 v2, 1, v21
	v_cmp_le_u32_e64 s[2:3], s26, v22
	;; [unrolled: 2-line block ×3, first 2 shown]
	v_mad_u64_u32 v[32:33], s[30:31], s26, v32, v[6:7]
	v_add_u32_e32 v26, 1, v8
	v_cmp_le_u32_e32 vcc, s26, v18
	v_cndmask_b32_e64 v27, v34, v19, s[0:1]
	v_cndmask_b32_e64 v19, v20, v28, s[0:1]
	;; [unrolled: 1-line block ×6, first 2 shown]
	v_cndmask_b32_e32 v8, v8, v26, vcc
	v_add_u32_e32 v23, 1, v27
	v_cmp_le_u32_e32 vcc, s26, v19
	v_add_u32_e32 v24, 1, v2
	v_cmp_le_u32_e64 s[0:1], s26, v20
	v_add_u32_e32 v20, 1, v21
	v_cmp_le_u32_e64 s[2:3], s26, v22
	v_mul_hi_u32 v25, v8, v13
	v_mad_u64_u32 v[18:19], s[4:5], s29, v8, v[0:1]
	v_cndmask_b32_e32 v26, v27, v23, vcc
	v_cndmask_b32_e64 v2, v2, v24, s[0:1]
	v_cndmask_b32_e64 v24, v21, v20, s[2:3]
	v_mul_lo_u32 v27, v25, s27
	v_mul_lo_u32 v29, v18, s14
	v_mul_hi_u32 v30, v26, v13
	v_mad_u64_u32 v[18:19], s[0:1], s29, v26, v[0:1]
	v_mad_u64_u32 v[20:21], s[0:1], s29, v2, v[4:5]
	v_mad_u64_u32 v[22:23], s[0:1], s29, v24, v[6:7]
	v_sub_u32_e32 v6, v8, v27
	v_add_u32_e32 v28, 1, v25
	v_mul_hi_u32 v19, v2, v13
	v_mul_hi_u32 v4, v24, v13
	v_add_u32_e32 v0, s25, v0
	v_mul_lo_u32 v21, v30, s27
	v_cmp_le_u32_e32 vcc, s27, v6
	v_mul_lo_u32 v27, v19, s27
	v_mul_lo_u32 v32, v4, s27
	v_add_u32_e32 v34, 4, v0
	v_cndmask_b32_e32 v25, v25, v28, vcc
	v_subrev_u32_e32 v28, s27, v6
	v_sub_u32_e32 v21, v26, v21
	v_add_u32_e32 v23, 1, v30
	v_sub_u32_e32 v27, v2, v27
	v_sub_u32_e32 v32, v24, v32
	v_cmp_lt_u32_e64 s[0:1], s22, v34
	v_cndmask_b32_e32 v6, v6, v28, vcc
	v_cmp_le_u32_e32 vcc, s27, v21
	v_add_u32_e32 v31, 1, v19
	v_add_u32_e32 v33, 1, v4
	;; [unrolled: 1-line block ×3, first 2 shown]
	v_cndmask_b32_e32 v23, v30, v23, vcc
	v_subrev_u32_e32 v30, s27, v21
	v_cmp_le_u32_e64 s[2:3], s27, v27
	v_cmp_le_u32_e64 s[4:5], s27, v32
	s_or_b64 s[18:19], s[0:1], s[18:19]
	v_cmp_le_u32_e64 s[0:1], s27, v6
	v_cndmask_b32_e64 v19, v19, v31, s[2:3]
	v_subrev_u32_e32 v31, s27, v27
	v_cndmask_b32_e64 v4, v4, v33, s[4:5]
	v_subrev_u32_e32 v33, s27, v32
	v_cndmask_b32_e64 v6, v25, v28, s[0:1]
	v_cndmask_b32_e32 v21, v21, v30, vcc
	v_add_u32_e32 v25, 1, v23
	v_cndmask_b32_e64 v27, v27, v31, s[2:3]
	v_cndmask_b32_e64 v30, v32, v33, s[4:5]
	v_mul_hi_u32 v33, v6, v14
	v_cmp_le_u32_e32 vcc, s27, v21
	v_add_u32_e32 v28, 1, v19
	v_add_u32_e32 v31, 1, v4
	v_cndmask_b32_e32 v21, v23, v25, vcc
	v_cmp_le_u32_e32 vcc, s27, v27
	v_mul_lo_u32 v23, v33, s28
	v_mul_lo_u32 v27, v21, s27
	v_cndmask_b32_e32 v19, v19, v28, vcc
	v_cmp_le_u32_e32 vcc, s27, v30
	v_mul_hi_u32 v28, v21, v14
	v_sub_u32_e32 v23, v6, v23
	v_mul_lo_u32 v32, v6, s27
	v_cndmask_b32_e32 v4, v4, v31, vcc
	v_add_u32_e32 v25, 1, v33
	v_mul_lo_u32 v30, v19, s27
	v_mul_hi_u32 v31, v19, v14
	v_sub_u32_e32 v26, v26, v27
	v_mul_lo_u32 v27, v28, s28
	v_cmp_le_u32_e32 vcc, s28, v23
	v_sub_u32_e32 v8, v8, v32
	v_mul_lo_u32 v32, v4, s27
	v_mul_hi_u32 v34, v4, v14
	v_sub_u32_e32 v2, v2, v30
	v_mul_lo_u32 v30, v31, s28
	v_cndmask_b32_e32 v25, v33, v25, vcc
	v_subrev_u32_e32 v33, s28, v23
	v_sub_u32_e32 v27, v21, v27
	v_add_u32_e32 v35, 1, v28
	v_sub_u32_e32 v24, v24, v32
	v_mul_lo_u32 v32, v34, s28
	v_sub_u32_e32 v30, v19, v30
	v_cndmask_b32_e32 v23, v23, v33, vcc
	v_cmp_le_u32_e32 vcc, s28, v27
	v_add_u32_e32 v36, 1, v31
	v_sub_u32_e32 v32, v4, v32
	v_add_u32_e32 v33, 1, v25
	v_cndmask_b32_e32 v28, v28, v35, vcc
	v_subrev_u32_e32 v35, s28, v27
	v_cmp_le_u32_e64 s[0:1], s28, v30
	v_cmp_le_u32_e64 s[4:5], s28, v23
	v_add_u32_e32 v37, 1, v34
	v_cndmask_b32_e64 v31, v31, v36, s[0:1]
	v_subrev_u32_e32 v36, s28, v30
	v_cmp_le_u32_e64 s[2:3], s28, v32
	v_cndmask_b32_e64 v23, v25, v33, s[4:5]
	v_cndmask_b32_e32 v25, v27, v35, vcc
	v_cndmask_b32_e64 v34, v34, v37, s[2:3]
	v_subrev_u32_e32 v37, s28, v32
	v_add_u32_e32 v27, 1, v28
	v_cndmask_b32_e64 v30, v30, v36, s[0:1]
	v_cmp_le_u32_e32 vcc, s28, v25
	v_add_u32_e32 v33, 1, v31
	v_cndmask_b32_e64 v32, v32, v37, s[2:3]
	v_cndmask_b32_e32 v25, v28, v27, vcc
	v_cmp_le_u32_e32 vcc, s28, v30
	v_add_u32_e32 v35, 1, v34
	v_mul_lo_u32 v8, v8, s13
	v_cndmask_b32_e32 v27, v31, v33, vcc
	v_cmp_le_u32_e32 vcc, s28, v32
	v_mul_lo_u32 v36, v23, s28
	v_mul_lo_u32 v23, v23, s11
	v_cndmask_b32_e32 v28, v34, v35, vcc
	v_mul_lo_u32 v18, s14, v18
	v_mul_lo_u32 v20, v20, s14
	;; [unrolled: 1-line block ×3, first 2 shown]
	v_sub_u32_e32 v6, v6, v36
	v_add3_u32 v8, v23, v29, v8
	v_mul_lo_u32 v23, v25, s28
	v_mul_lo_u32 v29, v27, s28
	v_mul_lo_u32 v27, v27, s11
	v_mul_lo_u32 v30, v28, s28
	v_mul_lo_u32 v22, v22, s14
	v_add_u32_e32 v18, s14, v18
	v_mul_lo_u32 v26, v26, s13
	v_mul_lo_u32 v24, v24, s13
	;; [unrolled: 1-line block ×5, first 2 shown]
	v_sub_u32_e32 v21, v21, v23
	v_sub_u32_e32 v19, v19, v29
	v_add3_u32 v20, v27, v20, v2
	v_sub_u32_e32 v2, v4, v30
	v_add3_u32 v18, v25, v18, v26
	v_add3_u32 v22, v28, v22, v24
	v_mul_lo_u32 v4, v21, s12
	v_mul_lo_u32 v19, v19, s12
	;; [unrolled: 1-line block ×3, first 2 shown]
	v_add3_u32 v2, v8, v6, s23
	v_mov_b32_e32 v9, v1
	v_add_u32_e32 v15, s25, v15
	v_add_u32_e32 v16, s25, v16
	;; [unrolled: 1-line block ×3, first 2 shown]
	v_lshl_add_u64 v[2:3], v[2:3], 1, s[6:7]
	v_add3_u32 v4, v18, v4, s23
	v_add3_u32 v6, v20, v19, s23
	;; [unrolled: 1-line block ×3, first 2 shown]
	v_lshl_add_u64 v[4:5], v[4:5], 1, s[6:7]
	v_lshl_add_u64 v[6:7], v[6:7], 1, s[6:7]
	;; [unrolled: 1-line block ×3, first 2 shown]
	s_waitcnt vmcnt(0)
	global_store_short v[2:3], v10, off
	global_store_short_d16_hi v[4:5], v10, off
	global_store_short v[6:7], v11, off
	global_store_short_d16_hi v[8:9], v11, off
	s_andn2_b64 exec, exec, s[18:19]
	s_cbranch_execnz .LBB37_3
; %bb.4:
	s_or_b64 exec, exec, s[18:19]
.LBB37_5:
	s_or_b64 exec, exec, s[20:21]
	v_cmp_gt_u32_e32 vcc, s22, v0
	s_and_b64 exec, exec, vcc
	s_cbranch_execz .LBB37_8
; %bb.6:
	s_cmp_eq_u32 s15, 3
	s_cselect_b32 s2, s24, s10
	v_cvt_f32_u32_e32 v1, s2
	s_cmp_eq_u32 s15, 2
	s_cselect_b32 s3, s24, s9
	v_cvt_f32_u32_e32 v2, s3
	v_rcp_iflag_f32_e32 v1, v1
	s_cmp_eq_u32 s15, 1
	s_cselect_b32 s4, s24, s8
	v_cvt_f32_u32_e32 v5, s4
	v_mul_f32_e32 v1, 0x4f7ffffe, v1
	v_cvt_u32_f32_e32 v1, v1
	v_rcp_iflag_f32_e32 v2, v2
	s_sub_i32 s5, 0, s2
	s_sub_i32 s0, 0, s3
	v_mul_lo_u32 v4, s5, v1
	v_mul_hi_u32 v4, v1, v4
	v_add_u32_e32 v4, v1, v4
	v_mul_f32_e32 v1, 0x4f7ffffe, v2
	v_rcp_iflag_f32_e32 v2, v5
	v_cvt_u32_f32_e32 v1, v1
	v_mov_b32_e32 v3, 0
	v_mov_b32_e32 v5, v3
	v_mul_f32_e32 v2, 0x4f7ffffe, v2
	v_cvt_u32_f32_e32 v2, v2
	v_mul_lo_u32 v6, s0, v1
	v_mul_hi_u32 v6, v1, v6
	s_sub_i32 s0, 0, s4
	v_add_u32_e32 v10, v1, v6
	v_mul_lo_u32 v1, s0, v2
	v_mul_hi_u32 v1, v2, v1
	v_add_u32_e32 v11, v2, v1
	v_mov_b32_e32 v1, v3
	v_mad_u64_u32 v[6:7], s[0:1], v0, v4, 0
	v_lshl_add_u64 v[8:9], v[0:1], 1, s[16:17]
	s_mov_b64 s[0:1], 0
.LBB37_7:                               ; =>This Inner Loop Header: Depth=1
	global_load_ushort v1, v[8:9], off
	v_mul_lo_u32 v2, s2, v7
	v_not_b32_e32 v12, v7
	v_sub_u32_e32 v2, v0, v2
	v_add_u32_e32 v14, 1, v7
	v_cmp_le_u32_e32 vcc, s2, v2
	v_lshl_add_u64 v[8:9], v[8:9], 0, 2
	s_waitcnt vmcnt(0)
	v_mad_u64_u32 v[12:13], s[8:9], s2, v12, v[0:1]
	v_cndmask_b32_e32 v13, v7, v14, vcc
	v_cndmask_b32_e32 v2, v2, v12, vcc
	v_add_u32_e32 v12, 1, v13
	v_cmp_le_u32_e32 vcc, s2, v2
	v_lshl_add_u64 v[6:7], v[6:7], 0, v[4:5]
	s_nop 0
	v_cndmask_b32_e32 v2, v13, v12, vcc
	v_mul_hi_u32 v14, v2, v10
	v_mad_u64_u32 v[12:13], s[8:9], s5, v2, v[0:1]
	v_add_u32_e32 v0, 1, v0
	v_mul_lo_u32 v13, v14, s3
	v_cmp_le_u32_e32 vcc, s22, v0
	v_sub_u32_e32 v13, v2, v13
	v_add_u32_e32 v15, 1, v14
	s_or_b64 s[0:1], vcc, s[0:1]
	v_cmp_le_u32_e32 vcc, s3, v13
	v_mul_lo_u32 v12, v12, s14
	s_nop 0
	v_cndmask_b32_e32 v14, v14, v15, vcc
	v_subrev_u32_e32 v15, s3, v13
	v_cndmask_b32_e32 v13, v13, v15, vcc
	v_add_u32_e32 v15, 1, v14
	v_cmp_le_u32_e32 vcc, s3, v13
	s_nop 1
	v_cndmask_b32_e32 v13, v14, v15, vcc
	v_mul_hi_u32 v14, v13, v11
	v_mul_lo_u32 v15, v13, s3
	v_mul_lo_u32 v16, v14, s4
	v_sub_u32_e32 v2, v2, v15
	v_sub_u32_e32 v15, v13, v16
	v_add_u32_e32 v17, 1, v14
	v_cmp_le_u32_e32 vcc, s4, v15
	v_subrev_u32_e32 v16, s4, v15
	v_mul_lo_u32 v2, v2, s13
	v_cndmask_b32_e32 v14, v14, v17, vcc
	v_cndmask_b32_e32 v15, v15, v16, vcc
	v_add_u32_e32 v16, 1, v14
	v_cmp_le_u32_e32 vcc, s4, v15
	s_nop 1
	v_cndmask_b32_e32 v14, v14, v16, vcc
	v_mul_lo_u32 v15, v14, s4
	v_mul_lo_u32 v14, v14, s11
	v_sub_u32_e32 v13, v13, v15
	v_add3_u32 v2, v14, v12, v2
	v_mul_lo_u32 v12, v13, s12
	v_add3_u32 v2, v2, v12, s23
	v_lshl_add_u64 v[12:13], v[2:3], 1, s[6:7]
	global_store_short v[12:13], v1, off
	s_andn2_b64 exec, exec, s[0:1]
	s_cbranch_execnz .LBB37_7
.LBB37_8:
	s_endpgm
	.section	.rodata,"a",@progbits
	.p2align	6, 0x0
	.amdhsa_kernel _ZN2at6native12_GLOBAL__N_135CatArrayBatchedCopy_alignedK_contigINS1_10OpaqueTypeILj2EEEjLi4ELi128ELi1ELi8EEEvPT_NS1_25CatArrInputTensorMetadataIS5_T0_XT2_EXT3_EEENS1_16TensorSizeStrideIS8_Lj4EEEiS8_
		.amdhsa_group_segment_fixed_size 0
		.amdhsa_private_segment_fixed_size 0
		.amdhsa_kernarg_size 3024
		.amdhsa_user_sgpr_count 2
		.amdhsa_user_sgpr_dispatch_ptr 0
		.amdhsa_user_sgpr_queue_ptr 0
		.amdhsa_user_sgpr_kernarg_segment_ptr 1
		.amdhsa_user_sgpr_dispatch_id 0
		.amdhsa_user_sgpr_kernarg_preload_length 0
		.amdhsa_user_sgpr_kernarg_preload_offset 0
		.amdhsa_user_sgpr_private_segment_size 0
		.amdhsa_uses_dynamic_stack 0
		.amdhsa_enable_private_segment 0
		.amdhsa_system_sgpr_workgroup_id_x 1
		.amdhsa_system_sgpr_workgroup_id_y 1
		.amdhsa_system_sgpr_workgroup_id_z 0
		.amdhsa_system_sgpr_workgroup_info 0
		.amdhsa_system_vgpr_workitem_id 0
		.amdhsa_next_free_vgpr 38
		.amdhsa_next_free_sgpr 32
		.amdhsa_accum_offset 40
		.amdhsa_reserve_vcc 1
		.amdhsa_float_round_mode_32 0
		.amdhsa_float_round_mode_16_64 0
		.amdhsa_float_denorm_mode_32 3
		.amdhsa_float_denorm_mode_16_64 3
		.amdhsa_dx10_clamp 1
		.amdhsa_ieee_mode 1
		.amdhsa_fp16_overflow 0
		.amdhsa_tg_split 0
		.amdhsa_exception_fp_ieee_invalid_op 0
		.amdhsa_exception_fp_denorm_src 0
		.amdhsa_exception_fp_ieee_div_zero 0
		.amdhsa_exception_fp_ieee_overflow 0
		.amdhsa_exception_fp_ieee_underflow 0
		.amdhsa_exception_fp_ieee_inexact 0
		.amdhsa_exception_int_div_zero 0
	.end_amdhsa_kernel
	.section	.text._ZN2at6native12_GLOBAL__N_135CatArrayBatchedCopy_alignedK_contigINS1_10OpaqueTypeILj2EEEjLi4ELi128ELi1ELi8EEEvPT_NS1_25CatArrInputTensorMetadataIS5_T0_XT2_EXT3_EEENS1_16TensorSizeStrideIS8_Lj4EEEiS8_,"axG",@progbits,_ZN2at6native12_GLOBAL__N_135CatArrayBatchedCopy_alignedK_contigINS1_10OpaqueTypeILj2EEEjLi4ELi128ELi1ELi8EEEvPT_NS1_25CatArrInputTensorMetadataIS5_T0_XT2_EXT3_EEENS1_16TensorSizeStrideIS8_Lj4EEEiS8_,comdat
.Lfunc_end37:
	.size	_ZN2at6native12_GLOBAL__N_135CatArrayBatchedCopy_alignedK_contigINS1_10OpaqueTypeILj2EEEjLi4ELi128ELi1ELi8EEEvPT_NS1_25CatArrInputTensorMetadataIS5_T0_XT2_EXT3_EEENS1_16TensorSizeStrideIS8_Lj4EEEiS8_, .Lfunc_end37-_ZN2at6native12_GLOBAL__N_135CatArrayBatchedCopy_alignedK_contigINS1_10OpaqueTypeILj2EEEjLi4ELi128ELi1ELi8EEEvPT_NS1_25CatArrInputTensorMetadataIS5_T0_XT2_EXT3_EEENS1_16TensorSizeStrideIS8_Lj4EEEiS8_
                                        ; -- End function
	.set _ZN2at6native12_GLOBAL__N_135CatArrayBatchedCopy_alignedK_contigINS1_10OpaqueTypeILj2EEEjLi4ELi128ELi1ELi8EEEvPT_NS1_25CatArrInputTensorMetadataIS5_T0_XT2_EXT3_EEENS1_16TensorSizeStrideIS8_Lj4EEEiS8_.num_vgpr, 38
	.set _ZN2at6native12_GLOBAL__N_135CatArrayBatchedCopy_alignedK_contigINS1_10OpaqueTypeILj2EEEjLi4ELi128ELi1ELi8EEEvPT_NS1_25CatArrInputTensorMetadataIS5_T0_XT2_EXT3_EEENS1_16TensorSizeStrideIS8_Lj4EEEiS8_.num_agpr, 0
	.set _ZN2at6native12_GLOBAL__N_135CatArrayBatchedCopy_alignedK_contigINS1_10OpaqueTypeILj2EEEjLi4ELi128ELi1ELi8EEEvPT_NS1_25CatArrInputTensorMetadataIS5_T0_XT2_EXT3_EEENS1_16TensorSizeStrideIS8_Lj4EEEiS8_.numbered_sgpr, 32
	.set _ZN2at6native12_GLOBAL__N_135CatArrayBatchedCopy_alignedK_contigINS1_10OpaqueTypeILj2EEEjLi4ELi128ELi1ELi8EEEvPT_NS1_25CatArrInputTensorMetadataIS5_T0_XT2_EXT3_EEENS1_16TensorSizeStrideIS8_Lj4EEEiS8_.num_named_barrier, 0
	.set _ZN2at6native12_GLOBAL__N_135CatArrayBatchedCopy_alignedK_contigINS1_10OpaqueTypeILj2EEEjLi4ELi128ELi1ELi8EEEvPT_NS1_25CatArrInputTensorMetadataIS5_T0_XT2_EXT3_EEENS1_16TensorSizeStrideIS8_Lj4EEEiS8_.private_seg_size, 0
	.set _ZN2at6native12_GLOBAL__N_135CatArrayBatchedCopy_alignedK_contigINS1_10OpaqueTypeILj2EEEjLi4ELi128ELi1ELi8EEEvPT_NS1_25CatArrInputTensorMetadataIS5_T0_XT2_EXT3_EEENS1_16TensorSizeStrideIS8_Lj4EEEiS8_.uses_vcc, 1
	.set _ZN2at6native12_GLOBAL__N_135CatArrayBatchedCopy_alignedK_contigINS1_10OpaqueTypeILj2EEEjLi4ELi128ELi1ELi8EEEvPT_NS1_25CatArrInputTensorMetadataIS5_T0_XT2_EXT3_EEENS1_16TensorSizeStrideIS8_Lj4EEEiS8_.uses_flat_scratch, 0
	.set _ZN2at6native12_GLOBAL__N_135CatArrayBatchedCopy_alignedK_contigINS1_10OpaqueTypeILj2EEEjLi4ELi128ELi1ELi8EEEvPT_NS1_25CatArrInputTensorMetadataIS5_T0_XT2_EXT3_EEENS1_16TensorSizeStrideIS8_Lj4EEEiS8_.has_dyn_sized_stack, 0
	.set _ZN2at6native12_GLOBAL__N_135CatArrayBatchedCopy_alignedK_contigINS1_10OpaqueTypeILj2EEEjLi4ELi128ELi1ELi8EEEvPT_NS1_25CatArrInputTensorMetadataIS5_T0_XT2_EXT3_EEENS1_16TensorSizeStrideIS8_Lj4EEEiS8_.has_recursion, 0
	.set _ZN2at6native12_GLOBAL__N_135CatArrayBatchedCopy_alignedK_contigINS1_10OpaqueTypeILj2EEEjLi4ELi128ELi1ELi8EEEvPT_NS1_25CatArrInputTensorMetadataIS5_T0_XT2_EXT3_EEENS1_16TensorSizeStrideIS8_Lj4EEEiS8_.has_indirect_call, 0
	.section	.AMDGPU.csdata,"",@progbits
; Kernel info:
; codeLenInByte = 2172
; TotalNumSgprs: 38
; NumVgprs: 38
; NumAgprs: 0
; TotalNumVgprs: 38
; ScratchSize: 0
; MemoryBound: 0
; FloatMode: 240
; IeeeMode: 1
; LDSByteSize: 0 bytes/workgroup (compile time only)
; SGPRBlocks: 4
; VGPRBlocks: 4
; NumSGPRsForWavesPerEU: 38
; NumVGPRsForWavesPerEU: 38
; AccumOffset: 40
; Occupancy: 8
; WaveLimiterHint : 1
; COMPUTE_PGM_RSRC2:SCRATCH_EN: 0
; COMPUTE_PGM_RSRC2:USER_SGPR: 2
; COMPUTE_PGM_RSRC2:TRAP_HANDLER: 0
; COMPUTE_PGM_RSRC2:TGID_X_EN: 1
; COMPUTE_PGM_RSRC2:TGID_Y_EN: 1
; COMPUTE_PGM_RSRC2:TGID_Z_EN: 0
; COMPUTE_PGM_RSRC2:TIDIG_COMP_CNT: 0
; COMPUTE_PGM_RSRC3_GFX90A:ACCUM_OFFSET: 9
; COMPUTE_PGM_RSRC3_GFX90A:TG_SPLIT: 0
	.section	.text._ZN2at6native12_GLOBAL__N_126CatArrayBatchedCopy_contigINS1_10OpaqueTypeILj2EEEjLi4ELi128ELi1EEEvPT_NS1_25CatArrInputTensorMetadataIS5_T0_XT2_EXT3_EEENS1_16TensorSizeStrideIS8_Lj4EEEiS8_,"axG",@progbits,_ZN2at6native12_GLOBAL__N_126CatArrayBatchedCopy_contigINS1_10OpaqueTypeILj2EEEjLi4ELi128ELi1EEEvPT_NS1_25CatArrInputTensorMetadataIS5_T0_XT2_EXT3_EEENS1_16TensorSizeStrideIS8_Lj4EEEiS8_,comdat
	.globl	_ZN2at6native12_GLOBAL__N_126CatArrayBatchedCopy_contigINS1_10OpaqueTypeILj2EEEjLi4ELi128ELi1EEEvPT_NS1_25CatArrInputTensorMetadataIS5_T0_XT2_EXT3_EEENS1_16TensorSizeStrideIS8_Lj4EEEiS8_ ; -- Begin function _ZN2at6native12_GLOBAL__N_126CatArrayBatchedCopy_contigINS1_10OpaqueTypeILj2EEEjLi4ELi128ELi1EEEvPT_NS1_25CatArrInputTensorMetadataIS5_T0_XT2_EXT3_EEENS1_16TensorSizeStrideIS8_Lj4EEEiS8_
	.p2align	8
	.type	_ZN2at6native12_GLOBAL__N_126CatArrayBatchedCopy_contigINS1_10OpaqueTypeILj2EEEjLi4ELi128ELi1EEEvPT_NS1_25CatArrInputTensorMetadataIS5_T0_XT2_EXT3_EEENS1_16TensorSizeStrideIS8_Lj4EEEiS8_,@function
_ZN2at6native12_GLOBAL__N_126CatArrayBatchedCopy_contigINS1_10OpaqueTypeILj2EEEjLi4ELi128ELi1EEEvPT_NS1_25CatArrInputTensorMetadataIS5_T0_XT2_EXT3_EEENS1_16TensorSizeStrideIS8_Lj4EEEiS8_: ; @_ZN2at6native12_GLOBAL__N_126CatArrayBatchedCopy_contigINS1_10OpaqueTypeILj2EEEjLi4ELi128ELi1EEEvPT_NS1_25CatArrInputTensorMetadataIS5_T0_XT2_EXT3_EEENS1_16TensorSizeStrideIS8_Lj4EEEiS8_
; %bb.0:
	s_mov_b32 s4, s3
	s_load_dword s3, s[0:1], 0xadc
	s_add_u32 s16, s0, 0xad0
	s_mov_b32 s5, 0
	s_addc_u32 s17, s1, 0
	s_lshl_b64 s[14:15], s[4:5], 2
	s_waitcnt lgkmcnt(0)
	s_and_b32 s19, s3, 0xffff
	s_add_u32 s4, s0, s14
	s_addc_u32 s5, s1, s15
	s_load_dword s18, s[4:5], 0x808
	s_mul_i32 s2, s2, s19
	v_add_u32_e32 v0, s2, v0
	s_add_u32 s20, s4, 8
	s_addc_u32 s21, s5, 0
	s_waitcnt lgkmcnt(0)
	v_cmp_gt_u32_e32 vcc, s18, v0
	s_and_saveexec_b64 s[2:3], vcc
	s_cbranch_execz .LBB38_3
; %bb.1:
	s_add_u32 s20, s20, s14
	s_load_dwordx2 s[2:3], s[0:1], 0xabc
	s_load_dwordx4 s[4:7], s[0:1], 0xab8
	s_load_dwordx2 s[12:13], s[0:1], 0x0
	s_load_dwordx4 s[8:11], s[0:1], 0xaac
	s_addc_u32 s21, s21, s15
	s_waitcnt lgkmcnt(0)
	s_sub_u32 s5, 0, s14
	s_subb_u32 s6, 0, s15
	s_add_u32 s22, s20, s5
	s_addc_u32 s23, s21, s6
	s_load_dwordx2 s[24:25], s[0:1], 0xac8
	s_load_dwordx2 s[14:15], s[20:21], 0x0
	s_load_dword s11, s[22:23], 0x600
	s_load_dword s26, s[22:23], 0x400
	s_mov_b32 s5, s7
	s_waitcnt lgkmcnt(0)
	s_cmp_eq_u32 s24, 3
	s_load_dword s16, s[16:17], 0x0
	s_cselect_b32 s6, s11, s10
	v_cvt_f32_u32_e32 v1, s6
	s_cmp_eq_u32 s24, 2
	s_cselect_b32 s9, s11, s9
	v_cvt_f32_u32_e32 v2, s9
	v_rcp_iflag_f32_e32 v1, v1
	s_cmp_eq_u32 s24, 1
	s_cselect_b32 s8, s11, s8
	s_sub_i32 s11, 0, s6
	v_mul_f32_e32 v1, 0x4f7ffffe, v1
	v_cvt_u32_f32_e32 v1, v1
	v_rcp_iflag_f32_e32 v4, v2
	s_waitcnt lgkmcnt(0)
	s_mul_i32 s10, s16, s19
	s_sub_i32 s16, 0, s9
	v_mul_lo_u32 v3, s11, v1
	v_mul_hi_u32 v2, v1, v3
	v_cvt_f32_u32_e32 v3, s8
	v_add_u32_e32 v2, v1, v2
	v_mul_f32_e32 v1, 0x4f7ffffe, v4
	v_cvt_u32_f32_e32 v4, v1
	v_rcp_iflag_f32_e32 v3, v3
	s_mov_b64 s[0:1], 0
	s_mul_i32 s7, s26, s25
	v_mul_lo_u32 v5, s16, v4
	v_mul_f32_e32 v3, 0x4f7ffffe, v3
	v_cvt_u32_f32_e32 v6, v3
	v_mul_hi_u32 v3, v4, v5
	s_sub_i32 s16, 0, s8
	v_add_u32_e32 v3, v4, v3
	v_mul_lo_u32 v4, s16, v6
	v_mul_hi_u32 v4, v6, v4
	v_mov_b32_e32 v1, 0
	v_add_u32_e32 v4, v6, v4
.LBB38_2:                               ; =>This Inner Loop Header: Depth=1
	v_lshl_add_u64 v[6:7], v[0:1], 1, s[14:15]
	global_load_ushort v5, v[6:7], off
	v_mul_hi_u32 v6, v2, v0
	v_mul_lo_u32 v8, s6, v6
	v_not_b32_e32 v9, v6
	v_sub_u32_e32 v11, v0, v8
	v_add_u32_e32 v10, 1, v6
	v_mad_u64_u32 v[8:9], s[16:17], s6, v9, v[0:1]
	v_cmp_le_u32_e32 vcc, s6, v11
	v_mov_b32_e32 v7, v1
	s_nop 0
	v_cndmask_b32_e32 v6, v6, v10, vcc
	v_cndmask_b32_e32 v8, v11, v8, vcc
	v_add_u32_e32 v9, 1, v6
	v_cmp_le_u32_e32 vcc, s6, v8
	s_nop 1
	v_cndmask_b32_e32 v6, v6, v9, vcc
	v_mul_hi_u32 v10, v6, v3
	v_mad_u64_u32 v[8:9], s[16:17], s11, v6, v[0:1]
	v_add_u32_e32 v0, s10, v0
	v_mul_lo_u32 v9, v10, s9
	v_cmp_le_u32_e32 vcc, s18, v0
	v_sub_u32_e32 v9, v6, v9
	v_add_u32_e32 v11, 1, v10
	s_or_b64 s[0:1], vcc, s[0:1]
	v_cmp_le_u32_e32 vcc, s9, v9
	v_mul_lo_u32 v8, v8, s5
	s_nop 0
	v_cndmask_b32_e32 v10, v10, v11, vcc
	v_subrev_u32_e32 v11, s9, v9
	v_cndmask_b32_e32 v9, v9, v11, vcc
	v_add_u32_e32 v11, 1, v10
	v_cmp_le_u32_e32 vcc, s9, v9
	s_nop 1
	v_cndmask_b32_e32 v9, v10, v11, vcc
	v_mul_hi_u32 v10, v9, v4
	v_mul_lo_u32 v11, v9, s9
	v_mul_lo_u32 v12, v10, s8
	v_sub_u32_e32 v6, v6, v11
	v_sub_u32_e32 v11, v9, v12
	v_add_u32_e32 v13, 1, v10
	v_cmp_le_u32_e32 vcc, s8, v11
	v_subrev_u32_e32 v12, s8, v11
	v_mul_lo_u32 v6, v6, s3
	v_cndmask_b32_e32 v10, v10, v13, vcc
	v_cndmask_b32_e32 v11, v11, v12, vcc
	v_add_u32_e32 v12, 1, v10
	v_cmp_le_u32_e32 vcc, s8, v11
	s_nop 1
	v_cndmask_b32_e32 v10, v10, v12, vcc
	v_mul_lo_u32 v11, v10, s8
	v_mul_lo_u32 v10, v10, s4
	v_sub_u32_e32 v9, v9, v11
	v_add3_u32 v8, v8, s7, v10
	v_mul_lo_u32 v9, v9, s2
	v_add3_u32 v6, v8, v6, v9
	v_lshl_add_u64 v[6:7], v[6:7], 1, s[12:13]
	s_waitcnt vmcnt(0)
	global_store_short v[6:7], v5, off
	s_andn2_b64 exec, exec, s[0:1]
	s_cbranch_execnz .LBB38_2
.LBB38_3:
	s_endpgm
	.section	.rodata,"a",@progbits
	.p2align	6, 0x0
	.amdhsa_kernel _ZN2at6native12_GLOBAL__N_126CatArrayBatchedCopy_contigINS1_10OpaqueTypeILj2EEEjLi4ELi128ELi1EEEvPT_NS1_25CatArrInputTensorMetadataIS5_T0_XT2_EXT3_EEENS1_16TensorSizeStrideIS8_Lj4EEEiS8_
		.amdhsa_group_segment_fixed_size 0
		.amdhsa_private_segment_fixed_size 0
		.amdhsa_kernarg_size 3024
		.amdhsa_user_sgpr_count 2
		.amdhsa_user_sgpr_dispatch_ptr 0
		.amdhsa_user_sgpr_queue_ptr 0
		.amdhsa_user_sgpr_kernarg_segment_ptr 1
		.amdhsa_user_sgpr_dispatch_id 0
		.amdhsa_user_sgpr_kernarg_preload_length 0
		.amdhsa_user_sgpr_kernarg_preload_offset 0
		.amdhsa_user_sgpr_private_segment_size 0
		.amdhsa_uses_dynamic_stack 0
		.amdhsa_enable_private_segment 0
		.amdhsa_system_sgpr_workgroup_id_x 1
		.amdhsa_system_sgpr_workgroup_id_y 1
		.amdhsa_system_sgpr_workgroup_id_z 0
		.amdhsa_system_sgpr_workgroup_info 0
		.amdhsa_system_vgpr_workitem_id 0
		.amdhsa_next_free_vgpr 14
		.amdhsa_next_free_sgpr 27
		.amdhsa_accum_offset 16
		.amdhsa_reserve_vcc 1
		.amdhsa_float_round_mode_32 0
		.amdhsa_float_round_mode_16_64 0
		.amdhsa_float_denorm_mode_32 3
		.amdhsa_float_denorm_mode_16_64 3
		.amdhsa_dx10_clamp 1
		.amdhsa_ieee_mode 1
		.amdhsa_fp16_overflow 0
		.amdhsa_tg_split 0
		.amdhsa_exception_fp_ieee_invalid_op 0
		.amdhsa_exception_fp_denorm_src 0
		.amdhsa_exception_fp_ieee_div_zero 0
		.amdhsa_exception_fp_ieee_overflow 0
		.amdhsa_exception_fp_ieee_underflow 0
		.amdhsa_exception_fp_ieee_inexact 0
		.amdhsa_exception_int_div_zero 0
	.end_amdhsa_kernel
	.section	.text._ZN2at6native12_GLOBAL__N_126CatArrayBatchedCopy_contigINS1_10OpaqueTypeILj2EEEjLi4ELi128ELi1EEEvPT_NS1_25CatArrInputTensorMetadataIS5_T0_XT2_EXT3_EEENS1_16TensorSizeStrideIS8_Lj4EEEiS8_,"axG",@progbits,_ZN2at6native12_GLOBAL__N_126CatArrayBatchedCopy_contigINS1_10OpaqueTypeILj2EEEjLi4ELi128ELi1EEEvPT_NS1_25CatArrInputTensorMetadataIS5_T0_XT2_EXT3_EEENS1_16TensorSizeStrideIS8_Lj4EEEiS8_,comdat
.Lfunc_end38:
	.size	_ZN2at6native12_GLOBAL__N_126CatArrayBatchedCopy_contigINS1_10OpaqueTypeILj2EEEjLi4ELi128ELi1EEEvPT_NS1_25CatArrInputTensorMetadataIS5_T0_XT2_EXT3_EEENS1_16TensorSizeStrideIS8_Lj4EEEiS8_, .Lfunc_end38-_ZN2at6native12_GLOBAL__N_126CatArrayBatchedCopy_contigINS1_10OpaqueTypeILj2EEEjLi4ELi128ELi1EEEvPT_NS1_25CatArrInputTensorMetadataIS5_T0_XT2_EXT3_EEENS1_16TensorSizeStrideIS8_Lj4EEEiS8_
                                        ; -- End function
	.set _ZN2at6native12_GLOBAL__N_126CatArrayBatchedCopy_contigINS1_10OpaqueTypeILj2EEEjLi4ELi128ELi1EEEvPT_NS1_25CatArrInputTensorMetadataIS5_T0_XT2_EXT3_EEENS1_16TensorSizeStrideIS8_Lj4EEEiS8_.num_vgpr, 14
	.set _ZN2at6native12_GLOBAL__N_126CatArrayBatchedCopy_contigINS1_10OpaqueTypeILj2EEEjLi4ELi128ELi1EEEvPT_NS1_25CatArrInputTensorMetadataIS5_T0_XT2_EXT3_EEENS1_16TensorSizeStrideIS8_Lj4EEEiS8_.num_agpr, 0
	.set _ZN2at6native12_GLOBAL__N_126CatArrayBatchedCopy_contigINS1_10OpaqueTypeILj2EEEjLi4ELi128ELi1EEEvPT_NS1_25CatArrInputTensorMetadataIS5_T0_XT2_EXT3_EEENS1_16TensorSizeStrideIS8_Lj4EEEiS8_.numbered_sgpr, 27
	.set _ZN2at6native12_GLOBAL__N_126CatArrayBatchedCopy_contigINS1_10OpaqueTypeILj2EEEjLi4ELi128ELi1EEEvPT_NS1_25CatArrInputTensorMetadataIS5_T0_XT2_EXT3_EEENS1_16TensorSizeStrideIS8_Lj4EEEiS8_.num_named_barrier, 0
	.set _ZN2at6native12_GLOBAL__N_126CatArrayBatchedCopy_contigINS1_10OpaqueTypeILj2EEEjLi4ELi128ELi1EEEvPT_NS1_25CatArrInputTensorMetadataIS5_T0_XT2_EXT3_EEENS1_16TensorSizeStrideIS8_Lj4EEEiS8_.private_seg_size, 0
	.set _ZN2at6native12_GLOBAL__N_126CatArrayBatchedCopy_contigINS1_10OpaqueTypeILj2EEEjLi4ELi128ELi1EEEvPT_NS1_25CatArrInputTensorMetadataIS5_T0_XT2_EXT3_EEENS1_16TensorSizeStrideIS8_Lj4EEEiS8_.uses_vcc, 1
	.set _ZN2at6native12_GLOBAL__N_126CatArrayBatchedCopy_contigINS1_10OpaqueTypeILj2EEEjLi4ELi128ELi1EEEvPT_NS1_25CatArrInputTensorMetadataIS5_T0_XT2_EXT3_EEENS1_16TensorSizeStrideIS8_Lj4EEEiS8_.uses_flat_scratch, 0
	.set _ZN2at6native12_GLOBAL__N_126CatArrayBatchedCopy_contigINS1_10OpaqueTypeILj2EEEjLi4ELi128ELi1EEEvPT_NS1_25CatArrInputTensorMetadataIS5_T0_XT2_EXT3_EEENS1_16TensorSizeStrideIS8_Lj4EEEiS8_.has_dyn_sized_stack, 0
	.set _ZN2at6native12_GLOBAL__N_126CatArrayBatchedCopy_contigINS1_10OpaqueTypeILj2EEEjLi4ELi128ELi1EEEvPT_NS1_25CatArrInputTensorMetadataIS5_T0_XT2_EXT3_EEENS1_16TensorSizeStrideIS8_Lj4EEEiS8_.has_recursion, 0
	.set _ZN2at6native12_GLOBAL__N_126CatArrayBatchedCopy_contigINS1_10OpaqueTypeILj2EEEjLi4ELi128ELi1EEEvPT_NS1_25CatArrInputTensorMetadataIS5_T0_XT2_EXT3_EEENS1_16TensorSizeStrideIS8_Lj4EEEiS8_.has_indirect_call, 0
	.section	.AMDGPU.csdata,"",@progbits
; Kernel info:
; codeLenInByte = 704
; TotalNumSgprs: 33
; NumVgprs: 14
; NumAgprs: 0
; TotalNumVgprs: 14
; ScratchSize: 0
; MemoryBound: 0
; FloatMode: 240
; IeeeMode: 1
; LDSByteSize: 0 bytes/workgroup (compile time only)
; SGPRBlocks: 4
; VGPRBlocks: 1
; NumSGPRsForWavesPerEU: 33
; NumVGPRsForWavesPerEU: 14
; AccumOffset: 16
; Occupancy: 8
; WaveLimiterHint : 1
; COMPUTE_PGM_RSRC2:SCRATCH_EN: 0
; COMPUTE_PGM_RSRC2:USER_SGPR: 2
; COMPUTE_PGM_RSRC2:TRAP_HANDLER: 0
; COMPUTE_PGM_RSRC2:TGID_X_EN: 1
; COMPUTE_PGM_RSRC2:TGID_Y_EN: 1
; COMPUTE_PGM_RSRC2:TGID_Z_EN: 0
; COMPUTE_PGM_RSRC2:TIDIG_COMP_CNT: 0
; COMPUTE_PGM_RSRC3_GFX90A:ACCUM_OFFSET: 3
; COMPUTE_PGM_RSRC3_GFX90A:TG_SPLIT: 0
	.section	.text._ZN2at6native12_GLOBAL__N_119CatArrayBatchedCopyINS1_10OpaqueTypeILj2EEEjLi4ELi128ELi1EEEvPT_NS1_25CatArrInputTensorMetadataIS5_T0_XT2_EXT3_EEENS1_16TensorSizeStrideIS8_Lj4EEEiS8_,"axG",@progbits,_ZN2at6native12_GLOBAL__N_119CatArrayBatchedCopyINS1_10OpaqueTypeILj2EEEjLi4ELi128ELi1EEEvPT_NS1_25CatArrInputTensorMetadataIS5_T0_XT2_EXT3_EEENS1_16TensorSizeStrideIS8_Lj4EEEiS8_,comdat
	.globl	_ZN2at6native12_GLOBAL__N_119CatArrayBatchedCopyINS1_10OpaqueTypeILj2EEEjLi4ELi128ELi1EEEvPT_NS1_25CatArrInputTensorMetadataIS5_T0_XT2_EXT3_EEENS1_16TensorSizeStrideIS8_Lj4EEEiS8_ ; -- Begin function _ZN2at6native12_GLOBAL__N_119CatArrayBatchedCopyINS1_10OpaqueTypeILj2EEEjLi4ELi128ELi1EEEvPT_NS1_25CatArrInputTensorMetadataIS5_T0_XT2_EXT3_EEENS1_16TensorSizeStrideIS8_Lj4EEEiS8_
	.p2align	8
	.type	_ZN2at6native12_GLOBAL__N_119CatArrayBatchedCopyINS1_10OpaqueTypeILj2EEEjLi4ELi128ELi1EEEvPT_NS1_25CatArrInputTensorMetadataIS5_T0_XT2_EXT3_EEENS1_16TensorSizeStrideIS8_Lj4EEEiS8_,@function
_ZN2at6native12_GLOBAL__N_119CatArrayBatchedCopyINS1_10OpaqueTypeILj2EEEjLi4ELi128ELi1EEEvPT_NS1_25CatArrInputTensorMetadataIS5_T0_XT2_EXT3_EEENS1_16TensorSizeStrideIS8_Lj4EEEiS8_: ; @_ZN2at6native12_GLOBAL__N_119CatArrayBatchedCopyINS1_10OpaqueTypeILj2EEEjLi4ELi128ELi1EEEvPT_NS1_25CatArrInputTensorMetadataIS5_T0_XT2_EXT3_EEENS1_16TensorSizeStrideIS8_Lj4EEEiS8_
; %bb.0:
	s_mov_b32 s20, s3
	s_load_dword s3, s[0:1], 0xadc
	s_or_b32 s26, s0, 8
	s_add_u32 s28, s0, 0xad0
	s_mov_b32 s21, 0
	s_addc_u32 s29, s1, 0
	s_waitcnt lgkmcnt(0)
	s_and_b32 s31, s3, 0xffff
	s_lshl_b64 s[22:23], s[20:21], 2
	s_add_u32 s4, s26, s22
	s_addc_u32 s5, s1, s23
	s_load_dword s30, s[4:5], 0x800
	s_mul_i32 s2, s2, s31
	v_add_u32_e32 v0, s2, v0
	s_waitcnt lgkmcnt(0)
	v_cmp_gt_u32_e32 vcc, s30, v0
	s_and_saveexec_b64 s[2:3], vcc
	s_cbranch_execz .LBB39_5
; %bb.1:
	s_add_u32 s34, s26, s20
	s_addc_u32 s35, s1, 0
	v_mov_b32_e32 v1, 0
	global_load_ubyte v2, v1, s[34:35] offset:2560
	s_mov_b32 s27, s1
	s_load_dwordx2 s[24:25], s[0:1], 0xac8
	s_load_dwordx4 s[4:7], s[26:27], 0xa90
	s_load_dwordx2 s[2:3], s[0:1], 0x0
	s_load_dwordx4 s[12:15], s[0:1], 0xa8c
	s_load_dwordx4 s[8:11], s[0:1], 0xab8
	;; [unrolled: 1-line block ×3, first 2 shown]
                                        ; kill: killed $sgpr0 killed $sgpr1
	s_waitcnt lgkmcnt(0)
	s_mul_i32 s19, s20, 7
	s_load_dword s15, s[28:29], 0x0
                                        ; kill: killed $sgpr28 killed $sgpr29
	s_mul_hi_u32 s6, s20, 7
	s_mov_b32 s5, s7
	s_mov_b64 s[20:21], 0
	s_waitcnt lgkmcnt(0)
	s_mul_i32 s15, s15, s31
	s_waitcnt vmcnt(0)
	v_and_b32_e32 v2, 1, v2
	v_cmp_eq_u32_e32 vcc, 1, v2
	s_xor_b64 s[0:1], vcc, -1
	s_add_u32 s28, s34, s19
	s_addc_u32 s29, s35, s6
	s_sub_u32 s6, 0, s22
	s_subb_u32 s7, 0, s23
	s_add_u32 s34, s28, s6
	s_addc_u32 s35, s29, s7
	s_load_dwordx2 s[6:7], s[26:27], 0xa94
	s_load_dwordx2 s[22:23], s[28:29], 0x0
	s_load_dword s19, s[34:35], 0x400
	s_load_dword s33, s[34:35], 0x600
	s_cmp_eq_u32 s24, 3
	v_cndmask_b32_e64 v2, 0, 1, s[0:1]
	s_waitcnt lgkmcnt(0)
	s_mul_i32 s19, s19, s25
	s_cselect_b32 s18, s33, s18
	s_cselect_b32 s14, s33, s14
	s_cmp_eq_u32 s24, 2
	s_cselect_b32 s17, s33, s17
	s_cselect_b32 s13, s33, s13
	s_cmp_eq_u32 s24, 1
	v_cvt_f32_u32_e32 v3, s18
	v_cvt_f32_u32_e32 v4, s14
	s_cselect_b32 s16, s33, s16
	s_cselect_b32 s12, s33, s12
	v_cvt_f32_u32_e32 v5, s17
	v_cvt_f32_u32_e32 v6, s13
	;; [unrolled: 1-line block ×4, first 2 shown]
	v_rcp_iflag_f32_e32 v3, v3
	v_rcp_iflag_f32_e32 v4, v4
	;; [unrolled: 1-line block ×6, first 2 shown]
	v_mul_f32_e32 v3, 0x4f7ffffe, v3
	v_mul_f32_e32 v4, 0x4f7ffffe, v4
	v_cvt_u32_f32_e32 v3, v3
	v_mul_f32_e32 v5, 0x4f7ffffe, v5
	v_cvt_u32_f32_e32 v9, v4
	;; [unrolled: 2-line block ×5, first 2 shown]
	v_cvt_u32_f32_e32 v10, v4
	s_sub_i32 s24, 0, s18
	s_sub_i32 s25, 0, s14
	;; [unrolled: 1-line block ×4, first 2 shown]
	v_mul_lo_u32 v4, s24, v3
	v_mul_lo_u32 v5, s25, v9
	s_sub_i32 s26, 0, s16
	s_sub_i32 s27, 0, s12
	v_mul_hi_u32 v4, v3, v4
	v_mul_lo_u32 v11, s0, v6
	v_mul_hi_u32 v5, v9, v5
	v_mul_lo_u32 v12, s1, v7
	v_add_u32_e32 v4, v3, v4
	v_mul_hi_u32 v3, v6, v11
	v_mul_lo_u32 v11, s26, v8
	v_add_u32_e32 v5, v9, v5
	;; [unrolled: 3-line block ×3, first 2 shown]
	v_mul_hi_u32 v3, v8, v11
	v_add_u32_e32 v7, v7, v9
	v_mul_hi_u32 v9, v10, v12
	v_add_u32_e32 v8, v8, v3
	v_add_u32_e32 v9, v10, v9
	v_cmp_ne_u32_e64 s[0:1], 1, v2
	s_branch .LBB39_3
.LBB39_2:                               ;   in Loop: Header=BB39_3 Depth=1
	v_lshl_add_u64 v[2:3], v[2:3], 1, s[22:23]
	global_load_ushort v12, v[2:3], off
	v_mul_hi_u32 v10, v4, v0
	v_mad_u64_u32 v[2:3], s[26:27], s24, v10, v[0:1]
	v_not_b32_e32 v11, v10
	v_add_u32_e32 v3, 1, v10
	v_cmp_le_u32_e32 vcc, s18, v2
	s_nop 1
	v_cndmask_b32_e32 v3, v10, v3, vcc
	v_mad_u64_u32 v[10:11], s[26:27], s18, v11, v[0:1]
	v_cndmask_b32_e32 v2, v2, v10, vcc
	v_add_u32_e32 v10, 1, v3
	v_cmp_le_u32_e32 vcc, s18, v2
	s_nop 1
	v_cndmask_b32_e32 v2, v3, v10, vcc
	v_mul_hi_u32 v3, v2, v6
	v_mul_lo_u32 v10, v3, s17
	v_sub_u32_e32 v10, v2, v10
	v_add_u32_e32 v11, 1, v3
	v_cmp_le_u32_e32 vcc, s17, v10
	s_nop 1
	v_cndmask_b32_e32 v3, v3, v11, vcc
	v_subrev_u32_e32 v11, s17, v10
	v_cndmask_b32_e32 v10, v10, v11, vcc
	v_add_u32_e32 v11, 1, v3
	v_cmp_le_u32_e32 vcc, s17, v10
	s_nop 1
	v_cndmask_b32_e32 v10, v3, v11, vcc
	v_mul_lo_u32 v3, v10, s17
	v_sub_u32_e32 v3, v2, v3
	v_mul_lo_u32 v11, v3, s10
	v_mad_u64_u32 v[2:3], s[26:27], s24, v2, v[0:1]
	v_mul_hi_u32 v3, v10, v8
	v_mul_lo_u32 v13, v3, s16
	v_sub_u32_e32 v13, v10, v13
	v_add_u32_e32 v14, 1, v3
	v_cmp_le_u32_e32 vcc, s16, v13
	v_mul_lo_u32 v2, v2, s11
	v_add_u32_e32 v0, s15, v0
	v_cndmask_b32_e32 v3, v3, v14, vcc
	v_subrev_u32_e32 v14, s16, v13
	v_cndmask_b32_e32 v13, v13, v14, vcc
	v_add_u32_e32 v14, 1, v3
	v_cmp_le_u32_e32 vcc, s16, v13
	s_nop 1
	v_cndmask_b32_e32 v3, v3, v14, vcc
	v_mul_lo_u32 v13, v3, s16
	v_sub_u32_e32 v10, v10, v13
	v_mul_lo_u32 v3, v3, s8
	v_mul_lo_u32 v10, v10, s9
	v_add3_u32 v2, v3, v2, v11
	v_add3_u32 v2, v2, v10, s19
	v_mov_b32_e32 v3, v1
	v_cmp_le_u32_e32 vcc, s30, v0
	v_lshl_add_u64 v[2:3], v[2:3], 1, s[2:3]
	s_or_b64 s[20:21], vcc, s[20:21]
	s_waitcnt vmcnt(0)
	global_store_short v[2:3], v12, off
	s_andn2_b64 exec, exec, s[20:21]
	s_cbranch_execz .LBB39_5
.LBB39_3:                               ; =>This Inner Loop Header: Depth=1
	s_and_b64 vcc, exec, s[0:1]
	v_mov_b64_e32 v[2:3], v[0:1]
	s_cbranch_vccnz .LBB39_2
; %bb.4:                                ;   in Loop: Header=BB39_3 Depth=1
	v_mul_hi_u32 v10, v5, v0
	v_mad_u64_u32 v[2:3], s[26:27], s25, v10, v[0:1]
	v_not_b32_e32 v11, v10
	v_add_u32_e32 v3, 1, v10
	v_cmp_le_u32_e32 vcc, s14, v2
	s_nop 1
	v_cndmask_b32_e32 v3, v10, v3, vcc
	v_mad_u64_u32 v[10:11], s[26:27], s14, v11, v[0:1]
	v_cndmask_b32_e32 v2, v2, v10, vcc
	v_add_u32_e32 v10, 1, v3
	v_cmp_le_u32_e32 vcc, s14, v2
	s_nop 1
	v_cndmask_b32_e32 v2, v3, v10, vcc
	v_mul_hi_u32 v3, v2, v7
	v_mul_lo_u32 v10, v3, s13
	v_sub_u32_e32 v10, v2, v10
	v_add_u32_e32 v11, 1, v3
	v_cmp_le_u32_e32 vcc, s13, v10
	s_nop 1
	v_cndmask_b32_e32 v3, v3, v11, vcc
	v_subrev_u32_e32 v11, s13, v10
	v_cndmask_b32_e32 v10, v10, v11, vcc
	v_add_u32_e32 v11, 1, v3
	v_cmp_le_u32_e32 vcc, s13, v10
	s_nop 1
	v_cndmask_b32_e32 v10, v3, v11, vcc
	v_mul_lo_u32 v3, v10, s13
	v_sub_u32_e32 v3, v2, v3
	v_mul_lo_u32 v11, v3, s7
	v_mad_u64_u32 v[2:3], s[26:27], s25, v2, v[0:1]
	v_mul_hi_u32 v3, v10, v9
	v_mul_lo_u32 v12, v3, s12
	v_sub_u32_e32 v12, v10, v12
	v_add_u32_e32 v13, 1, v3
	v_cmp_le_u32_e32 vcc, s12, v12
	v_mul_lo_u32 v2, v2, s5
	s_nop 0
	v_cndmask_b32_e32 v3, v3, v13, vcc
	v_subrev_u32_e32 v13, s12, v12
	v_cndmask_b32_e32 v12, v12, v13, vcc
	v_add_u32_e32 v13, 1, v3
	v_cmp_le_u32_e32 vcc, s12, v12
	s_nop 1
	v_cndmask_b32_e32 v3, v3, v13, vcc
	v_mul_lo_u32 v12, v3, s12
	v_sub_u32_e32 v10, v10, v12
	v_mul_lo_u32 v10, v10, s6
	v_mad_u64_u32 v[2:3], s[26:27], v3, s4, v[2:3]
	v_add3_u32 v2, v2, v11, v10
	v_mov_b32_e32 v3, v1
	s_branch .LBB39_2
.LBB39_5:
	s_endpgm
	.section	.rodata,"a",@progbits
	.p2align	6, 0x0
	.amdhsa_kernel _ZN2at6native12_GLOBAL__N_119CatArrayBatchedCopyINS1_10OpaqueTypeILj2EEEjLi4ELi128ELi1EEEvPT_NS1_25CatArrInputTensorMetadataIS5_T0_XT2_EXT3_EEENS1_16TensorSizeStrideIS8_Lj4EEEiS8_
		.amdhsa_group_segment_fixed_size 0
		.amdhsa_private_segment_fixed_size 0
		.amdhsa_kernarg_size 3024
		.amdhsa_user_sgpr_count 2
		.amdhsa_user_sgpr_dispatch_ptr 0
		.amdhsa_user_sgpr_queue_ptr 0
		.amdhsa_user_sgpr_kernarg_segment_ptr 1
		.amdhsa_user_sgpr_dispatch_id 0
		.amdhsa_user_sgpr_kernarg_preload_length 0
		.amdhsa_user_sgpr_kernarg_preload_offset 0
		.amdhsa_user_sgpr_private_segment_size 0
		.amdhsa_uses_dynamic_stack 0
		.amdhsa_enable_private_segment 0
		.amdhsa_system_sgpr_workgroup_id_x 1
		.amdhsa_system_sgpr_workgroup_id_y 1
		.amdhsa_system_sgpr_workgroup_id_z 0
		.amdhsa_system_sgpr_workgroup_info 0
		.amdhsa_system_vgpr_workitem_id 0
		.amdhsa_next_free_vgpr 15
		.amdhsa_next_free_sgpr 36
		.amdhsa_accum_offset 16
		.amdhsa_reserve_vcc 1
		.amdhsa_float_round_mode_32 0
		.amdhsa_float_round_mode_16_64 0
		.amdhsa_float_denorm_mode_32 3
		.amdhsa_float_denorm_mode_16_64 3
		.amdhsa_dx10_clamp 1
		.amdhsa_ieee_mode 1
		.amdhsa_fp16_overflow 0
		.amdhsa_tg_split 0
		.amdhsa_exception_fp_ieee_invalid_op 0
		.amdhsa_exception_fp_denorm_src 0
		.amdhsa_exception_fp_ieee_div_zero 0
		.amdhsa_exception_fp_ieee_overflow 0
		.amdhsa_exception_fp_ieee_underflow 0
		.amdhsa_exception_fp_ieee_inexact 0
		.amdhsa_exception_int_div_zero 0
	.end_amdhsa_kernel
	.section	.text._ZN2at6native12_GLOBAL__N_119CatArrayBatchedCopyINS1_10OpaqueTypeILj2EEEjLi4ELi128ELi1EEEvPT_NS1_25CatArrInputTensorMetadataIS5_T0_XT2_EXT3_EEENS1_16TensorSizeStrideIS8_Lj4EEEiS8_,"axG",@progbits,_ZN2at6native12_GLOBAL__N_119CatArrayBatchedCopyINS1_10OpaqueTypeILj2EEEjLi4ELi128ELi1EEEvPT_NS1_25CatArrInputTensorMetadataIS5_T0_XT2_EXT3_EEENS1_16TensorSizeStrideIS8_Lj4EEEiS8_,comdat
.Lfunc_end39:
	.size	_ZN2at6native12_GLOBAL__N_119CatArrayBatchedCopyINS1_10OpaqueTypeILj2EEEjLi4ELi128ELi1EEEvPT_NS1_25CatArrInputTensorMetadataIS5_T0_XT2_EXT3_EEENS1_16TensorSizeStrideIS8_Lj4EEEiS8_, .Lfunc_end39-_ZN2at6native12_GLOBAL__N_119CatArrayBatchedCopyINS1_10OpaqueTypeILj2EEEjLi4ELi128ELi1EEEvPT_NS1_25CatArrInputTensorMetadataIS5_T0_XT2_EXT3_EEENS1_16TensorSizeStrideIS8_Lj4EEEiS8_
                                        ; -- End function
	.set _ZN2at6native12_GLOBAL__N_119CatArrayBatchedCopyINS1_10OpaqueTypeILj2EEEjLi4ELi128ELi1EEEvPT_NS1_25CatArrInputTensorMetadataIS5_T0_XT2_EXT3_EEENS1_16TensorSizeStrideIS8_Lj4EEEiS8_.num_vgpr, 15
	.set _ZN2at6native12_GLOBAL__N_119CatArrayBatchedCopyINS1_10OpaqueTypeILj2EEEjLi4ELi128ELi1EEEvPT_NS1_25CatArrInputTensorMetadataIS5_T0_XT2_EXT3_EEENS1_16TensorSizeStrideIS8_Lj4EEEiS8_.num_agpr, 0
	.set _ZN2at6native12_GLOBAL__N_119CatArrayBatchedCopyINS1_10OpaqueTypeILj2EEEjLi4ELi128ELi1EEEvPT_NS1_25CatArrInputTensorMetadataIS5_T0_XT2_EXT3_EEENS1_16TensorSizeStrideIS8_Lj4EEEiS8_.numbered_sgpr, 36
	.set _ZN2at6native12_GLOBAL__N_119CatArrayBatchedCopyINS1_10OpaqueTypeILj2EEEjLi4ELi128ELi1EEEvPT_NS1_25CatArrInputTensorMetadataIS5_T0_XT2_EXT3_EEENS1_16TensorSizeStrideIS8_Lj4EEEiS8_.num_named_barrier, 0
	.set _ZN2at6native12_GLOBAL__N_119CatArrayBatchedCopyINS1_10OpaqueTypeILj2EEEjLi4ELi128ELi1EEEvPT_NS1_25CatArrInputTensorMetadataIS5_T0_XT2_EXT3_EEENS1_16TensorSizeStrideIS8_Lj4EEEiS8_.private_seg_size, 0
	.set _ZN2at6native12_GLOBAL__N_119CatArrayBatchedCopyINS1_10OpaqueTypeILj2EEEjLi4ELi128ELi1EEEvPT_NS1_25CatArrInputTensorMetadataIS5_T0_XT2_EXT3_EEENS1_16TensorSizeStrideIS8_Lj4EEEiS8_.uses_vcc, 1
	.set _ZN2at6native12_GLOBAL__N_119CatArrayBatchedCopyINS1_10OpaqueTypeILj2EEEjLi4ELi128ELi1EEEvPT_NS1_25CatArrInputTensorMetadataIS5_T0_XT2_EXT3_EEENS1_16TensorSizeStrideIS8_Lj4EEEiS8_.uses_flat_scratch, 0
	.set _ZN2at6native12_GLOBAL__N_119CatArrayBatchedCopyINS1_10OpaqueTypeILj2EEEjLi4ELi128ELi1EEEvPT_NS1_25CatArrInputTensorMetadataIS5_T0_XT2_EXT3_EEENS1_16TensorSizeStrideIS8_Lj4EEEiS8_.has_dyn_sized_stack, 0
	.set _ZN2at6native12_GLOBAL__N_119CatArrayBatchedCopyINS1_10OpaqueTypeILj2EEEjLi4ELi128ELi1EEEvPT_NS1_25CatArrInputTensorMetadataIS5_T0_XT2_EXT3_EEENS1_16TensorSizeStrideIS8_Lj4EEEiS8_.has_recursion, 0
	.set _ZN2at6native12_GLOBAL__N_119CatArrayBatchedCopyINS1_10OpaqueTypeILj2EEEjLi4ELi128ELi1EEEvPT_NS1_25CatArrInputTensorMetadataIS5_T0_XT2_EXT3_EEENS1_16TensorSizeStrideIS8_Lj4EEEiS8_.has_indirect_call, 0
	.section	.AMDGPU.csdata,"",@progbits
; Kernel info:
; codeLenInByte = 1196
; TotalNumSgprs: 42
; NumVgprs: 15
; NumAgprs: 0
; TotalNumVgprs: 15
; ScratchSize: 0
; MemoryBound: 0
; FloatMode: 240
; IeeeMode: 1
; LDSByteSize: 0 bytes/workgroup (compile time only)
; SGPRBlocks: 5
; VGPRBlocks: 1
; NumSGPRsForWavesPerEU: 42
; NumVGPRsForWavesPerEU: 15
; AccumOffset: 16
; Occupancy: 8
; WaveLimiterHint : 1
; COMPUTE_PGM_RSRC2:SCRATCH_EN: 0
; COMPUTE_PGM_RSRC2:USER_SGPR: 2
; COMPUTE_PGM_RSRC2:TRAP_HANDLER: 0
; COMPUTE_PGM_RSRC2:TGID_X_EN: 1
; COMPUTE_PGM_RSRC2:TGID_Y_EN: 1
; COMPUTE_PGM_RSRC2:TGID_Z_EN: 0
; COMPUTE_PGM_RSRC2:TIDIG_COMP_CNT: 0
; COMPUTE_PGM_RSRC3_GFX90A:ACCUM_OFFSET: 3
; COMPUTE_PGM_RSRC3_GFX90A:TG_SPLIT: 0
	.section	.text._ZN2at6native12_GLOBAL__N_130CatArrayBatchedCopy_vectorizedINS1_10OpaqueTypeILj4EEEjLi1ELi128ELi1ELi16ELi4EEEvPcNS1_25CatArrInputTensorMetadataIT_T0_XT2_EXT3_EEENS1_16TensorSizeStrideIS8_Lj4EEEiS8_,"axG",@progbits,_ZN2at6native12_GLOBAL__N_130CatArrayBatchedCopy_vectorizedINS1_10OpaqueTypeILj4EEEjLi1ELi128ELi1ELi16ELi4EEEvPcNS1_25CatArrInputTensorMetadataIT_T0_XT2_EXT3_EEENS1_16TensorSizeStrideIS8_Lj4EEEiS8_,comdat
	.globl	_ZN2at6native12_GLOBAL__N_130CatArrayBatchedCopy_vectorizedINS1_10OpaqueTypeILj4EEEjLi1ELi128ELi1ELi16ELi4EEEvPcNS1_25CatArrInputTensorMetadataIT_T0_XT2_EXT3_EEENS1_16TensorSizeStrideIS8_Lj4EEEiS8_ ; -- Begin function _ZN2at6native12_GLOBAL__N_130CatArrayBatchedCopy_vectorizedINS1_10OpaqueTypeILj4EEEjLi1ELi128ELi1ELi16ELi4EEEvPcNS1_25CatArrInputTensorMetadataIT_T0_XT2_EXT3_EEENS1_16TensorSizeStrideIS8_Lj4EEEiS8_
	.p2align	8
	.type	_ZN2at6native12_GLOBAL__N_130CatArrayBatchedCopy_vectorizedINS1_10OpaqueTypeILj4EEEjLi1ELi128ELi1ELi16ELi4EEEvPcNS1_25CatArrInputTensorMetadataIT_T0_XT2_EXT3_EEENS1_16TensorSizeStrideIS8_Lj4EEEiS8_,@function
_ZN2at6native12_GLOBAL__N_130CatArrayBatchedCopy_vectorizedINS1_10OpaqueTypeILj4EEEjLi1ELi128ELi1ELi16ELi4EEEvPcNS1_25CatArrInputTensorMetadataIT_T0_XT2_EXT3_EEENS1_16TensorSizeStrideIS8_Lj4EEEiS8_: ; @_ZN2at6native12_GLOBAL__N_130CatArrayBatchedCopy_vectorizedINS1_10OpaqueTypeILj4EEEjLi1ELi128ELi1ELi16ELi4EEEvPcNS1_25CatArrInputTensorMetadataIT_T0_XT2_EXT3_EEENS1_16TensorSizeStrideIS8_Lj4EEEiS8_
; %bb.0:
	s_mov_b32 s4, s3
	s_load_dword s3, s[0:1], 0xadc
	s_add_u32 s6, s0, 0xad0
	s_mov_b32 s5, 0
	s_addc_u32 s7, s1, 0
	s_lshl_b64 s[8:9], s[4:5], 2
	s_waitcnt lgkmcnt(0)
	s_and_b32 s11, s3, 0xffff
	s_add_u32 s12, s0, s8
	s_addc_u32 s13, s1, s9
	s_load_dword s4, s[12:13], 0x808
	s_mul_i32 s2, s2, s11
	v_add_u32_e32 v0, s2, v0
	s_add_u32 s2, s12, 8
	s_addc_u32 s3, s13, 0
	s_waitcnt lgkmcnt(0)
	s_lshr_b32 s10, s4, 2
	v_cmp_gt_u32_e32 vcc, s10, v0
	s_and_saveexec_b64 s[12:13], vcc
	s_cbranch_execz .LBB40_3
; %bb.1:
	s_add_u32 s12, s2, s8
	s_addc_u32 s13, s3, s9
	s_sub_u32 s2, 0, s8
	s_subb_u32 s3, 0, s9
	s_add_u32 s8, s12, s2
	s_addc_u32 s9, s13, s3
	s_load_dword s4, s[8:9], 0x400
	s_load_dwordx2 s[14:15], s[0:1], 0x0
	s_load_dword s16, s[0:1], 0xacc
	s_load_dwordx2 s[2:3], s[12:13], 0x0
	s_load_dword s17, s[0:1], 0xab8
	s_load_dword s18, s[6:7], 0x0
	s_mov_b64 s[0:1], 0
	s_waitcnt lgkmcnt(0)
	s_mul_i32 s4, s4, s16
	s_lshr_b32 s4, s4, 2
	s_lshl_b64 s[4:5], s[4:5], 4
	s_mul_i32 s6, s18, s11
	s_add_u32 s4, s14, s4
	s_addc_u32 s5, s15, s5
	v_mul_lo_u32 v2, s17, v0
	s_mul_i32 s7, s6, s17
	v_mov_b32_e32 v3, 0
.LBB40_2:                               ; =>This Inner Loop Header: Depth=1
	v_mov_b32_e32 v1, v3
	v_lshl_add_u64 v[4:5], v[0:1], 4, s[2:3]
	global_load_dwordx4 v[4:7], v[4:5], off
	v_add_u32_e32 v0, s6, v0
	v_cmp_le_u32_e32 vcc, s10, v0
	v_lshl_add_u64 v[8:9], v[2:3], 4, s[4:5]
	v_add_u32_e32 v2, s7, v2
	s_or_b64 s[0:1], vcc, s[0:1]
	s_waitcnt vmcnt(0)
	global_store_dwordx4 v[8:9], v[4:7], off
	s_andn2_b64 exec, exec, s[0:1]
	s_cbranch_execnz .LBB40_2
.LBB40_3:
	s_endpgm
	.section	.rodata,"a",@progbits
	.p2align	6, 0x0
	.amdhsa_kernel _ZN2at6native12_GLOBAL__N_130CatArrayBatchedCopy_vectorizedINS1_10OpaqueTypeILj4EEEjLi1ELi128ELi1ELi16ELi4EEEvPcNS1_25CatArrInputTensorMetadataIT_T0_XT2_EXT3_EEENS1_16TensorSizeStrideIS8_Lj4EEEiS8_
		.amdhsa_group_segment_fixed_size 0
		.amdhsa_private_segment_fixed_size 0
		.amdhsa_kernarg_size 3024
		.amdhsa_user_sgpr_count 2
		.amdhsa_user_sgpr_dispatch_ptr 0
		.amdhsa_user_sgpr_queue_ptr 0
		.amdhsa_user_sgpr_kernarg_segment_ptr 1
		.amdhsa_user_sgpr_dispatch_id 0
		.amdhsa_user_sgpr_kernarg_preload_length 0
		.amdhsa_user_sgpr_kernarg_preload_offset 0
		.amdhsa_user_sgpr_private_segment_size 0
		.amdhsa_uses_dynamic_stack 0
		.amdhsa_enable_private_segment 0
		.amdhsa_system_sgpr_workgroup_id_x 1
		.amdhsa_system_sgpr_workgroup_id_y 1
		.amdhsa_system_sgpr_workgroup_id_z 0
		.amdhsa_system_sgpr_workgroup_info 0
		.amdhsa_system_vgpr_workitem_id 0
		.amdhsa_next_free_vgpr 10
		.amdhsa_next_free_sgpr 19
		.amdhsa_accum_offset 12
		.amdhsa_reserve_vcc 1
		.amdhsa_float_round_mode_32 0
		.amdhsa_float_round_mode_16_64 0
		.amdhsa_float_denorm_mode_32 3
		.amdhsa_float_denorm_mode_16_64 3
		.amdhsa_dx10_clamp 1
		.amdhsa_ieee_mode 1
		.amdhsa_fp16_overflow 0
		.amdhsa_tg_split 0
		.amdhsa_exception_fp_ieee_invalid_op 0
		.amdhsa_exception_fp_denorm_src 0
		.amdhsa_exception_fp_ieee_div_zero 0
		.amdhsa_exception_fp_ieee_overflow 0
		.amdhsa_exception_fp_ieee_underflow 0
		.amdhsa_exception_fp_ieee_inexact 0
		.amdhsa_exception_int_div_zero 0
	.end_amdhsa_kernel
	.section	.text._ZN2at6native12_GLOBAL__N_130CatArrayBatchedCopy_vectorizedINS1_10OpaqueTypeILj4EEEjLi1ELi128ELi1ELi16ELi4EEEvPcNS1_25CatArrInputTensorMetadataIT_T0_XT2_EXT3_EEENS1_16TensorSizeStrideIS8_Lj4EEEiS8_,"axG",@progbits,_ZN2at6native12_GLOBAL__N_130CatArrayBatchedCopy_vectorizedINS1_10OpaqueTypeILj4EEEjLi1ELi128ELi1ELi16ELi4EEEvPcNS1_25CatArrInputTensorMetadataIT_T0_XT2_EXT3_EEENS1_16TensorSizeStrideIS8_Lj4EEEiS8_,comdat
.Lfunc_end40:
	.size	_ZN2at6native12_GLOBAL__N_130CatArrayBatchedCopy_vectorizedINS1_10OpaqueTypeILj4EEEjLi1ELi128ELi1ELi16ELi4EEEvPcNS1_25CatArrInputTensorMetadataIT_T0_XT2_EXT3_EEENS1_16TensorSizeStrideIS8_Lj4EEEiS8_, .Lfunc_end40-_ZN2at6native12_GLOBAL__N_130CatArrayBatchedCopy_vectorizedINS1_10OpaqueTypeILj4EEEjLi1ELi128ELi1ELi16ELi4EEEvPcNS1_25CatArrInputTensorMetadataIT_T0_XT2_EXT3_EEENS1_16TensorSizeStrideIS8_Lj4EEEiS8_
                                        ; -- End function
	.set _ZN2at6native12_GLOBAL__N_130CatArrayBatchedCopy_vectorizedINS1_10OpaqueTypeILj4EEEjLi1ELi128ELi1ELi16ELi4EEEvPcNS1_25CatArrInputTensorMetadataIT_T0_XT2_EXT3_EEENS1_16TensorSizeStrideIS8_Lj4EEEiS8_.num_vgpr, 10
	.set _ZN2at6native12_GLOBAL__N_130CatArrayBatchedCopy_vectorizedINS1_10OpaqueTypeILj4EEEjLi1ELi128ELi1ELi16ELi4EEEvPcNS1_25CatArrInputTensorMetadataIT_T0_XT2_EXT3_EEENS1_16TensorSizeStrideIS8_Lj4EEEiS8_.num_agpr, 0
	.set _ZN2at6native12_GLOBAL__N_130CatArrayBatchedCopy_vectorizedINS1_10OpaqueTypeILj4EEEjLi1ELi128ELi1ELi16ELi4EEEvPcNS1_25CatArrInputTensorMetadataIT_T0_XT2_EXT3_EEENS1_16TensorSizeStrideIS8_Lj4EEEiS8_.numbered_sgpr, 19
	.set _ZN2at6native12_GLOBAL__N_130CatArrayBatchedCopy_vectorizedINS1_10OpaqueTypeILj4EEEjLi1ELi128ELi1ELi16ELi4EEEvPcNS1_25CatArrInputTensorMetadataIT_T0_XT2_EXT3_EEENS1_16TensorSizeStrideIS8_Lj4EEEiS8_.num_named_barrier, 0
	.set _ZN2at6native12_GLOBAL__N_130CatArrayBatchedCopy_vectorizedINS1_10OpaqueTypeILj4EEEjLi1ELi128ELi1ELi16ELi4EEEvPcNS1_25CatArrInputTensorMetadataIT_T0_XT2_EXT3_EEENS1_16TensorSizeStrideIS8_Lj4EEEiS8_.private_seg_size, 0
	.set _ZN2at6native12_GLOBAL__N_130CatArrayBatchedCopy_vectorizedINS1_10OpaqueTypeILj4EEEjLi1ELi128ELi1ELi16ELi4EEEvPcNS1_25CatArrInputTensorMetadataIT_T0_XT2_EXT3_EEENS1_16TensorSizeStrideIS8_Lj4EEEiS8_.uses_vcc, 1
	.set _ZN2at6native12_GLOBAL__N_130CatArrayBatchedCopy_vectorizedINS1_10OpaqueTypeILj4EEEjLi1ELi128ELi1ELi16ELi4EEEvPcNS1_25CatArrInputTensorMetadataIT_T0_XT2_EXT3_EEENS1_16TensorSizeStrideIS8_Lj4EEEiS8_.uses_flat_scratch, 0
	.set _ZN2at6native12_GLOBAL__N_130CatArrayBatchedCopy_vectorizedINS1_10OpaqueTypeILj4EEEjLi1ELi128ELi1ELi16ELi4EEEvPcNS1_25CatArrInputTensorMetadataIT_T0_XT2_EXT3_EEENS1_16TensorSizeStrideIS8_Lj4EEEiS8_.has_dyn_sized_stack, 0
	.set _ZN2at6native12_GLOBAL__N_130CatArrayBatchedCopy_vectorizedINS1_10OpaqueTypeILj4EEEjLi1ELi128ELi1ELi16ELi4EEEvPcNS1_25CatArrInputTensorMetadataIT_T0_XT2_EXT3_EEENS1_16TensorSizeStrideIS8_Lj4EEEiS8_.has_recursion, 0
	.set _ZN2at6native12_GLOBAL__N_130CatArrayBatchedCopy_vectorizedINS1_10OpaqueTypeILj4EEEjLi1ELi128ELi1ELi16ELi4EEEvPcNS1_25CatArrInputTensorMetadataIT_T0_XT2_EXT3_EEENS1_16TensorSizeStrideIS8_Lj4EEEiS8_.has_indirect_call, 0
	.section	.AMDGPU.csdata,"",@progbits
; Kernel info:
; codeLenInByte = 284
; TotalNumSgprs: 25
; NumVgprs: 10
; NumAgprs: 0
; TotalNumVgprs: 10
; ScratchSize: 0
; MemoryBound: 0
; FloatMode: 240
; IeeeMode: 1
; LDSByteSize: 0 bytes/workgroup (compile time only)
; SGPRBlocks: 3
; VGPRBlocks: 1
; NumSGPRsForWavesPerEU: 25
; NumVGPRsForWavesPerEU: 10
; AccumOffset: 12
; Occupancy: 8
; WaveLimiterHint : 1
; COMPUTE_PGM_RSRC2:SCRATCH_EN: 0
; COMPUTE_PGM_RSRC2:USER_SGPR: 2
; COMPUTE_PGM_RSRC2:TRAP_HANDLER: 0
; COMPUTE_PGM_RSRC2:TGID_X_EN: 1
; COMPUTE_PGM_RSRC2:TGID_Y_EN: 1
; COMPUTE_PGM_RSRC2:TGID_Z_EN: 0
; COMPUTE_PGM_RSRC2:TIDIG_COMP_CNT: 0
; COMPUTE_PGM_RSRC3_GFX90A:ACCUM_OFFSET: 2
; COMPUTE_PGM_RSRC3_GFX90A:TG_SPLIT: 0
	.section	.text._ZN2at6native12_GLOBAL__N_135CatArrayBatchedCopy_alignedK_contigINS1_10OpaqueTypeILj4EEEjLi1ELi128ELi1ELi16EEEvPT_NS1_25CatArrInputTensorMetadataIS5_T0_XT2_EXT3_EEENS1_16TensorSizeStrideIS8_Lj4EEEiS8_,"axG",@progbits,_ZN2at6native12_GLOBAL__N_135CatArrayBatchedCopy_alignedK_contigINS1_10OpaqueTypeILj4EEEjLi1ELi128ELi1ELi16EEEvPT_NS1_25CatArrInputTensorMetadataIS5_T0_XT2_EXT3_EEENS1_16TensorSizeStrideIS8_Lj4EEEiS8_,comdat
	.globl	_ZN2at6native12_GLOBAL__N_135CatArrayBatchedCopy_alignedK_contigINS1_10OpaqueTypeILj4EEEjLi1ELi128ELi1ELi16EEEvPT_NS1_25CatArrInputTensorMetadataIS5_T0_XT2_EXT3_EEENS1_16TensorSizeStrideIS8_Lj4EEEiS8_ ; -- Begin function _ZN2at6native12_GLOBAL__N_135CatArrayBatchedCopy_alignedK_contigINS1_10OpaqueTypeILj4EEEjLi1ELi128ELi1ELi16EEEvPT_NS1_25CatArrInputTensorMetadataIS5_T0_XT2_EXT3_EEENS1_16TensorSizeStrideIS8_Lj4EEEiS8_
	.p2align	8
	.type	_ZN2at6native12_GLOBAL__N_135CatArrayBatchedCopy_alignedK_contigINS1_10OpaqueTypeILj4EEEjLi1ELi128ELi1ELi16EEEvPT_NS1_25CatArrInputTensorMetadataIS5_T0_XT2_EXT3_EEENS1_16TensorSizeStrideIS8_Lj4EEEiS8_,@function
_ZN2at6native12_GLOBAL__N_135CatArrayBatchedCopy_alignedK_contigINS1_10OpaqueTypeILj4EEEjLi1ELi128ELi1ELi16EEEvPT_NS1_25CatArrInputTensorMetadataIS5_T0_XT2_EXT3_EEENS1_16TensorSizeStrideIS8_Lj4EEEiS8_: ; @_ZN2at6native12_GLOBAL__N_135CatArrayBatchedCopy_alignedK_contigINS1_10OpaqueTypeILj4EEEjLi1ELi128ELi1ELi16EEEvPT_NS1_25CatArrInputTensorMetadataIS5_T0_XT2_EXT3_EEENS1_16TensorSizeStrideIS8_Lj4EEEiS8_
; %bb.0:
	s_mov_b32 s4, s3
	s_load_dword s3, s[0:1], 0xadc
	s_add_u32 s8, s0, 0xad0
	s_addc_u32 s9, s1, 0
	s_mov_b32 s5, 0
	s_waitcnt lgkmcnt(0)
	s_and_b32 s13, s3, 0xffff
	s_mul_i32 s6, s2, s13
	s_lshl_b64 s[2:3], s[4:5], 2
	s_add_u32 s4, s0, s2
	s_addc_u32 s5, s1, s3
	s_load_dword s10, s[4:5], 0x808
	v_add_u32_e32 v1, s6, v0
	v_lshlrev_b32_e32 v0, 2, v1
	s_add_u32 s4, s4, 8
	s_addc_u32 s5, s5, 0
	s_waitcnt lgkmcnt(0)
	v_cmp_gt_u32_e32 vcc, s10, v0
	s_and_saveexec_b64 s[6:7], vcc
	s_cbranch_execz .LBB41_8
; %bb.1:
	s_add_u32 s6, s4, s2
	s_addc_u32 s7, s5, s3
	s_sub_u32 s2, 0, s2
	s_subb_u32 s3, 0, s3
	s_add_u32 s14, s6, s2
	s_addc_u32 s15, s7, s3
	s_load_dword s12, s[14:15], 0x400
	s_load_dword s16, s[0:1], 0xacc
	s_load_dwordx2 s[2:3], s[0:1], 0x0
	s_load_dwordx2 s[4:5], s[6:7], 0x0
	s_load_dword s11, s[0:1], 0xab8
	v_add_u32_e32 v2, 4, v0
	s_mov_b64 s[0:1], 0
	s_waitcnt lgkmcnt(0)
	s_mul_i32 s12, s12, s16
	v_cmp_ge_u32_e32 vcc, s10, v2
	s_and_saveexec_b64 s[6:7], vcc
	s_cbranch_execz .LBB41_5
; %bb.2:
	s_load_dword s8, s[8:9], 0x0
	v_mul_lo_u32 v2, s11, v0
	v_add_u32_e32 v3, 2, v0
	v_add_u32_e32 v4, 3, v0
	v_mul_lo_u32 v1, s11, v1
	s_waitcnt lgkmcnt(0)
	s_mul_i32 s9, s8, s13
	s_lshl_b32 s8, s9, 2
	s_mul_i32 s9, s9, s11
	v_add_u32_e32 v2, s11, v2
	s_lshl_b32 s9, s9, 2
	v_mul_lo_u32 v3, s11, v3
	v_mul_lo_u32 v4, s11, v4
	v_lshlrev_b32_e32 v5, 2, v1
	v_mov_b32_e32 v1, 0
	s_mov_b32 s13, s12
.LBB41_3:                               ; =>This Inner Loop Header: Depth=1
	v_lshl_add_u64 v[6:7], v[0:1], 2, s[4:5]
	global_load_dwordx4 v[6:9], v[6:7], off
	v_add_u32_e32 v0, s8, v0
	v_add_u32_e32 v18, 4, v0
	;; [unrolled: 1-line block ×3, first 2 shown]
	v_mov_b32_e32 v11, v1
	v_add_u32_e32 v12, s13, v2
	v_add_u32_e32 v14, s13, v3
	;; [unrolled: 1-line block ×3, first 2 shown]
	s_add_i32 s13, s13, s9
	v_cmp_lt_u32_e32 vcc, s10, v18
	v_mov_b32_e32 v13, v1
	v_mov_b32_e32 v15, v1
	;; [unrolled: 1-line block ×3, first 2 shown]
	v_lshl_add_u64 v[10:11], v[10:11], 2, s[2:3]
	s_or_b64 s[0:1], vcc, s[0:1]
	v_lshl_add_u64 v[12:13], v[12:13], 2, s[2:3]
	v_lshl_add_u64 v[14:15], v[14:15], 2, s[2:3]
	;; [unrolled: 1-line block ×3, first 2 shown]
	s_waitcnt vmcnt(0)
	global_store_dword v[10:11], v6, off
	global_store_dword v[12:13], v7, off
	;; [unrolled: 1-line block ×4, first 2 shown]
	s_andn2_b64 exec, exec, s[0:1]
	s_cbranch_execnz .LBB41_3
; %bb.4:
	s_or_b64 exec, exec, s[0:1]
.LBB41_5:
	s_or_b64 exec, exec, s[6:7]
	v_cmp_gt_u32_e32 vcc, s10, v0
	s_and_b64 exec, exec, vcc
	s_cbranch_execz .LBB41_8
; %bb.6:
	v_mov_b32_e32 v3, 0
	v_mov_b32_e32 v1, v3
	v_lshl_add_u64 v[4:5], v[0:1], 2, s[4:5]
	v_mul_lo_u32 v1, v0, s11
	v_add_u32_e32 v2, s12, v1
	s_mov_b64 s[0:1], 0
.LBB41_7:                               ; =>This Inner Loop Header: Depth=1
	global_load_dword v1, v[4:5], off
	v_add_u32_e32 v0, 1, v0
	v_cmp_le_u32_e32 vcc, s10, v0
	v_lshl_add_u64 v[6:7], v[2:3], 2, s[2:3]
	v_lshl_add_u64 v[4:5], v[4:5], 0, 4
	v_add_u32_e32 v2, s11, v2
	s_or_b64 s[0:1], vcc, s[0:1]
	s_waitcnt vmcnt(0)
	global_store_dword v[6:7], v1, off
	s_andn2_b64 exec, exec, s[0:1]
	s_cbranch_execnz .LBB41_7
.LBB41_8:
	s_endpgm
	.section	.rodata,"a",@progbits
	.p2align	6, 0x0
	.amdhsa_kernel _ZN2at6native12_GLOBAL__N_135CatArrayBatchedCopy_alignedK_contigINS1_10OpaqueTypeILj4EEEjLi1ELi128ELi1ELi16EEEvPT_NS1_25CatArrInputTensorMetadataIS5_T0_XT2_EXT3_EEENS1_16TensorSizeStrideIS8_Lj4EEEiS8_
		.amdhsa_group_segment_fixed_size 0
		.amdhsa_private_segment_fixed_size 0
		.amdhsa_kernarg_size 3024
		.amdhsa_user_sgpr_count 2
		.amdhsa_user_sgpr_dispatch_ptr 0
		.amdhsa_user_sgpr_queue_ptr 0
		.amdhsa_user_sgpr_kernarg_segment_ptr 1
		.amdhsa_user_sgpr_dispatch_id 0
		.amdhsa_user_sgpr_kernarg_preload_length 0
		.amdhsa_user_sgpr_kernarg_preload_offset 0
		.amdhsa_user_sgpr_private_segment_size 0
		.amdhsa_uses_dynamic_stack 0
		.amdhsa_enable_private_segment 0
		.amdhsa_system_sgpr_workgroup_id_x 1
		.amdhsa_system_sgpr_workgroup_id_y 1
		.amdhsa_system_sgpr_workgroup_id_z 0
		.amdhsa_system_sgpr_workgroup_info 0
		.amdhsa_system_vgpr_workitem_id 0
		.amdhsa_next_free_vgpr 19
		.amdhsa_next_free_sgpr 17
		.amdhsa_accum_offset 20
		.amdhsa_reserve_vcc 1
		.amdhsa_float_round_mode_32 0
		.amdhsa_float_round_mode_16_64 0
		.amdhsa_float_denorm_mode_32 3
		.amdhsa_float_denorm_mode_16_64 3
		.amdhsa_dx10_clamp 1
		.amdhsa_ieee_mode 1
		.amdhsa_fp16_overflow 0
		.amdhsa_tg_split 0
		.amdhsa_exception_fp_ieee_invalid_op 0
		.amdhsa_exception_fp_denorm_src 0
		.amdhsa_exception_fp_ieee_div_zero 0
		.amdhsa_exception_fp_ieee_overflow 0
		.amdhsa_exception_fp_ieee_underflow 0
		.amdhsa_exception_fp_ieee_inexact 0
		.amdhsa_exception_int_div_zero 0
	.end_amdhsa_kernel
	.section	.text._ZN2at6native12_GLOBAL__N_135CatArrayBatchedCopy_alignedK_contigINS1_10OpaqueTypeILj4EEEjLi1ELi128ELi1ELi16EEEvPT_NS1_25CatArrInputTensorMetadataIS5_T0_XT2_EXT3_EEENS1_16TensorSizeStrideIS8_Lj4EEEiS8_,"axG",@progbits,_ZN2at6native12_GLOBAL__N_135CatArrayBatchedCopy_alignedK_contigINS1_10OpaqueTypeILj4EEEjLi1ELi128ELi1ELi16EEEvPT_NS1_25CatArrInputTensorMetadataIS5_T0_XT2_EXT3_EEENS1_16TensorSizeStrideIS8_Lj4EEEiS8_,comdat
.Lfunc_end41:
	.size	_ZN2at6native12_GLOBAL__N_135CatArrayBatchedCopy_alignedK_contigINS1_10OpaqueTypeILj4EEEjLi1ELi128ELi1ELi16EEEvPT_NS1_25CatArrInputTensorMetadataIS5_T0_XT2_EXT3_EEENS1_16TensorSizeStrideIS8_Lj4EEEiS8_, .Lfunc_end41-_ZN2at6native12_GLOBAL__N_135CatArrayBatchedCopy_alignedK_contigINS1_10OpaqueTypeILj4EEEjLi1ELi128ELi1ELi16EEEvPT_NS1_25CatArrInputTensorMetadataIS5_T0_XT2_EXT3_EEENS1_16TensorSizeStrideIS8_Lj4EEEiS8_
                                        ; -- End function
	.set _ZN2at6native12_GLOBAL__N_135CatArrayBatchedCopy_alignedK_contigINS1_10OpaqueTypeILj4EEEjLi1ELi128ELi1ELi16EEEvPT_NS1_25CatArrInputTensorMetadataIS5_T0_XT2_EXT3_EEENS1_16TensorSizeStrideIS8_Lj4EEEiS8_.num_vgpr, 19
	.set _ZN2at6native12_GLOBAL__N_135CatArrayBatchedCopy_alignedK_contigINS1_10OpaqueTypeILj4EEEjLi1ELi128ELi1ELi16EEEvPT_NS1_25CatArrInputTensorMetadataIS5_T0_XT2_EXT3_EEENS1_16TensorSizeStrideIS8_Lj4EEEiS8_.num_agpr, 0
	.set _ZN2at6native12_GLOBAL__N_135CatArrayBatchedCopy_alignedK_contigINS1_10OpaqueTypeILj4EEEjLi1ELi128ELi1ELi16EEEvPT_NS1_25CatArrInputTensorMetadataIS5_T0_XT2_EXT3_EEENS1_16TensorSizeStrideIS8_Lj4EEEiS8_.numbered_sgpr, 17
	.set _ZN2at6native12_GLOBAL__N_135CatArrayBatchedCopy_alignedK_contigINS1_10OpaqueTypeILj4EEEjLi1ELi128ELi1ELi16EEEvPT_NS1_25CatArrInputTensorMetadataIS5_T0_XT2_EXT3_EEENS1_16TensorSizeStrideIS8_Lj4EEEiS8_.num_named_barrier, 0
	.set _ZN2at6native12_GLOBAL__N_135CatArrayBatchedCopy_alignedK_contigINS1_10OpaqueTypeILj4EEEjLi1ELi128ELi1ELi16EEEvPT_NS1_25CatArrInputTensorMetadataIS5_T0_XT2_EXT3_EEENS1_16TensorSizeStrideIS8_Lj4EEEiS8_.private_seg_size, 0
	.set _ZN2at6native12_GLOBAL__N_135CatArrayBatchedCopy_alignedK_contigINS1_10OpaqueTypeILj4EEEjLi1ELi128ELi1ELi16EEEvPT_NS1_25CatArrInputTensorMetadataIS5_T0_XT2_EXT3_EEENS1_16TensorSizeStrideIS8_Lj4EEEiS8_.uses_vcc, 1
	.set _ZN2at6native12_GLOBAL__N_135CatArrayBatchedCopy_alignedK_contigINS1_10OpaqueTypeILj4EEEjLi1ELi128ELi1ELi16EEEvPT_NS1_25CatArrInputTensorMetadataIS5_T0_XT2_EXT3_EEENS1_16TensorSizeStrideIS8_Lj4EEEiS8_.uses_flat_scratch, 0
	.set _ZN2at6native12_GLOBAL__N_135CatArrayBatchedCopy_alignedK_contigINS1_10OpaqueTypeILj4EEEjLi1ELi128ELi1ELi16EEEvPT_NS1_25CatArrInputTensorMetadataIS5_T0_XT2_EXT3_EEENS1_16TensorSizeStrideIS8_Lj4EEEiS8_.has_dyn_sized_stack, 0
	.set _ZN2at6native12_GLOBAL__N_135CatArrayBatchedCopy_alignedK_contigINS1_10OpaqueTypeILj4EEEjLi1ELi128ELi1ELi16EEEvPT_NS1_25CatArrInputTensorMetadataIS5_T0_XT2_EXT3_EEENS1_16TensorSizeStrideIS8_Lj4EEEiS8_.has_recursion, 0
	.set _ZN2at6native12_GLOBAL__N_135CatArrayBatchedCopy_alignedK_contigINS1_10OpaqueTypeILj4EEEjLi1ELi128ELi1ELi16EEEvPT_NS1_25CatArrInputTensorMetadataIS5_T0_XT2_EXT3_EEENS1_16TensorSizeStrideIS8_Lj4EEEiS8_.has_indirect_call, 0
	.section	.AMDGPU.csdata,"",@progbits
; Kernel info:
; codeLenInByte = 532
; TotalNumSgprs: 23
; NumVgprs: 19
; NumAgprs: 0
; TotalNumVgprs: 19
; ScratchSize: 0
; MemoryBound: 0
; FloatMode: 240
; IeeeMode: 1
; LDSByteSize: 0 bytes/workgroup (compile time only)
; SGPRBlocks: 2
; VGPRBlocks: 2
; NumSGPRsForWavesPerEU: 23
; NumVGPRsForWavesPerEU: 19
; AccumOffset: 20
; Occupancy: 8
; WaveLimiterHint : 1
; COMPUTE_PGM_RSRC2:SCRATCH_EN: 0
; COMPUTE_PGM_RSRC2:USER_SGPR: 2
; COMPUTE_PGM_RSRC2:TRAP_HANDLER: 0
; COMPUTE_PGM_RSRC2:TGID_X_EN: 1
; COMPUTE_PGM_RSRC2:TGID_Y_EN: 1
; COMPUTE_PGM_RSRC2:TGID_Z_EN: 0
; COMPUTE_PGM_RSRC2:TIDIG_COMP_CNT: 0
; COMPUTE_PGM_RSRC3_GFX90A:ACCUM_OFFSET: 4
; COMPUTE_PGM_RSRC3_GFX90A:TG_SPLIT: 0
	.section	.text._ZN2at6native12_GLOBAL__N_135CatArrayBatchedCopy_alignedK_contigINS1_10OpaqueTypeILj4EEEjLi1ELi128ELi1ELi8EEEvPT_NS1_25CatArrInputTensorMetadataIS5_T0_XT2_EXT3_EEENS1_16TensorSizeStrideIS8_Lj4EEEiS8_,"axG",@progbits,_ZN2at6native12_GLOBAL__N_135CatArrayBatchedCopy_alignedK_contigINS1_10OpaqueTypeILj4EEEjLi1ELi128ELi1ELi8EEEvPT_NS1_25CatArrInputTensorMetadataIS5_T0_XT2_EXT3_EEENS1_16TensorSizeStrideIS8_Lj4EEEiS8_,comdat
	.globl	_ZN2at6native12_GLOBAL__N_135CatArrayBatchedCopy_alignedK_contigINS1_10OpaqueTypeILj4EEEjLi1ELi128ELi1ELi8EEEvPT_NS1_25CatArrInputTensorMetadataIS5_T0_XT2_EXT3_EEENS1_16TensorSizeStrideIS8_Lj4EEEiS8_ ; -- Begin function _ZN2at6native12_GLOBAL__N_135CatArrayBatchedCopy_alignedK_contigINS1_10OpaqueTypeILj4EEEjLi1ELi128ELi1ELi8EEEvPT_NS1_25CatArrInputTensorMetadataIS5_T0_XT2_EXT3_EEENS1_16TensorSizeStrideIS8_Lj4EEEiS8_
	.p2align	8
	.type	_ZN2at6native12_GLOBAL__N_135CatArrayBatchedCopy_alignedK_contigINS1_10OpaqueTypeILj4EEEjLi1ELi128ELi1ELi8EEEvPT_NS1_25CatArrInputTensorMetadataIS5_T0_XT2_EXT3_EEENS1_16TensorSizeStrideIS8_Lj4EEEiS8_,@function
_ZN2at6native12_GLOBAL__N_135CatArrayBatchedCopy_alignedK_contigINS1_10OpaqueTypeILj4EEEjLi1ELi128ELi1ELi8EEEvPT_NS1_25CatArrInputTensorMetadataIS5_T0_XT2_EXT3_EEENS1_16TensorSizeStrideIS8_Lj4EEEiS8_: ; @_ZN2at6native12_GLOBAL__N_135CatArrayBatchedCopy_alignedK_contigINS1_10OpaqueTypeILj4EEEjLi1ELi128ELi1ELi8EEEvPT_NS1_25CatArrInputTensorMetadataIS5_T0_XT2_EXT3_EEENS1_16TensorSizeStrideIS8_Lj4EEEiS8_
; %bb.0:
	s_mov_b32 s4, s3
	s_load_dword s3, s[0:1], 0xadc
	s_add_u32 s8, s0, 0xad0
	s_addc_u32 s9, s1, 0
	s_mov_b32 s5, 0
	s_waitcnt lgkmcnt(0)
	s_and_b32 s13, s3, 0xffff
	s_mul_i32 s6, s2, s13
	s_lshl_b64 s[2:3], s[4:5], 2
	s_add_u32 s4, s0, s2
	s_addc_u32 s5, s1, s3
	s_load_dword s10, s[4:5], 0x808
	v_add_u32_e32 v1, s6, v0
	v_lshlrev_b32_e32 v0, 1, v1
	s_add_u32 s4, s4, 8
	s_addc_u32 s5, s5, 0
	s_waitcnt lgkmcnt(0)
	v_cmp_gt_u32_e32 vcc, s10, v0
	s_and_saveexec_b64 s[6:7], vcc
	s_cbranch_execz .LBB42_8
; %bb.1:
	s_add_u32 s6, s4, s2
	s_addc_u32 s7, s5, s3
	s_sub_u32 s2, 0, s2
	s_subb_u32 s3, 0, s3
	s_add_u32 s14, s6, s2
	s_addc_u32 s15, s7, s3
	s_load_dword s12, s[14:15], 0x400
	s_load_dword s16, s[0:1], 0xacc
	s_load_dwordx2 s[2:3], s[0:1], 0x0
	s_load_dwordx2 s[4:5], s[6:7], 0x0
	s_load_dword s11, s[0:1], 0xab8
	v_add_u32_e32 v2, 2, v0
	s_mov_b64 s[0:1], 0
	s_waitcnt lgkmcnt(0)
	s_mul_i32 s12, s12, s16
	v_cmp_ge_u32_e32 vcc, s10, v2
	s_and_saveexec_b64 s[6:7], vcc
	s_cbranch_execz .LBB42_5
; %bb.2:
	s_load_dword s8, s[8:9], 0x0
	v_mul_lo_u32 v2, s11, v0
	v_mul_lo_u32 v1, s11, v1
	v_add_u32_e32 v2, s11, v2
	v_lshlrev_b32_e32 v3, 1, v1
	s_waitcnt lgkmcnt(0)
	s_mul_i32 s9, s8, s13
	s_lshl_b32 s8, s9, 1
	s_mul_i32 s9, s9, s11
	s_lshl_b32 s9, s9, 1
	v_mov_b32_e32 v1, 0
	s_mov_b32 s13, s12
.LBB42_3:                               ; =>This Inner Loop Header: Depth=1
	v_lshl_add_u64 v[4:5], v[0:1], 2, s[4:5]
	global_load_dwordx2 v[4:5], v[4:5], off
	v_add_u32_e32 v0, s8, v0
	v_add_u32_e32 v10, 2, v0
	;; [unrolled: 1-line block ×3, first 2 shown]
	v_mov_b32_e32 v7, v1
	v_add_u32_e32 v8, s13, v2
	s_add_i32 s13, s13, s9
	v_cmp_lt_u32_e32 vcc, s10, v10
	v_mov_b32_e32 v9, v1
	v_lshl_add_u64 v[6:7], v[6:7], 2, s[2:3]
	s_or_b64 s[0:1], vcc, s[0:1]
	v_lshl_add_u64 v[8:9], v[8:9], 2, s[2:3]
	s_waitcnt vmcnt(0)
	global_store_dword v[6:7], v4, off
	global_store_dword v[8:9], v5, off
	s_andn2_b64 exec, exec, s[0:1]
	s_cbranch_execnz .LBB42_3
; %bb.4:
	s_or_b64 exec, exec, s[0:1]
.LBB42_5:
	s_or_b64 exec, exec, s[6:7]
	v_cmp_gt_u32_e32 vcc, s10, v0
	s_and_b64 exec, exec, vcc
	s_cbranch_execz .LBB42_8
; %bb.6:
	v_mov_b32_e32 v3, 0
	v_mov_b32_e32 v1, v3
	v_lshl_add_u64 v[4:5], v[0:1], 2, s[4:5]
	v_mul_lo_u32 v1, v0, s11
	v_add_u32_e32 v2, s12, v1
	s_mov_b64 s[0:1], 0
.LBB42_7:                               ; =>This Inner Loop Header: Depth=1
	global_load_dword v1, v[4:5], off
	v_add_u32_e32 v0, 1, v0
	v_cmp_le_u32_e32 vcc, s10, v0
	v_lshl_add_u64 v[6:7], v[2:3], 2, s[2:3]
	v_lshl_add_u64 v[4:5], v[4:5], 0, 4
	v_add_u32_e32 v2, s11, v2
	s_or_b64 s[0:1], vcc, s[0:1]
	s_waitcnt vmcnt(0)
	global_store_dword v[6:7], v1, off
	s_andn2_b64 exec, exec, s[0:1]
	s_cbranch_execnz .LBB42_7
.LBB42_8:
	s_endpgm
	.section	.rodata,"a",@progbits
	.p2align	6, 0x0
	.amdhsa_kernel _ZN2at6native12_GLOBAL__N_135CatArrayBatchedCopy_alignedK_contigINS1_10OpaqueTypeILj4EEEjLi1ELi128ELi1ELi8EEEvPT_NS1_25CatArrInputTensorMetadataIS5_T0_XT2_EXT3_EEENS1_16TensorSizeStrideIS8_Lj4EEEiS8_
		.amdhsa_group_segment_fixed_size 0
		.amdhsa_private_segment_fixed_size 0
		.amdhsa_kernarg_size 3024
		.amdhsa_user_sgpr_count 2
		.amdhsa_user_sgpr_dispatch_ptr 0
		.amdhsa_user_sgpr_queue_ptr 0
		.amdhsa_user_sgpr_kernarg_segment_ptr 1
		.amdhsa_user_sgpr_dispatch_id 0
		.amdhsa_user_sgpr_kernarg_preload_length 0
		.amdhsa_user_sgpr_kernarg_preload_offset 0
		.amdhsa_user_sgpr_private_segment_size 0
		.amdhsa_uses_dynamic_stack 0
		.amdhsa_enable_private_segment 0
		.amdhsa_system_sgpr_workgroup_id_x 1
		.amdhsa_system_sgpr_workgroup_id_y 1
		.amdhsa_system_sgpr_workgroup_id_z 0
		.amdhsa_system_sgpr_workgroup_info 0
		.amdhsa_system_vgpr_workitem_id 0
		.amdhsa_next_free_vgpr 11
		.amdhsa_next_free_sgpr 17
		.amdhsa_accum_offset 12
		.amdhsa_reserve_vcc 1
		.amdhsa_float_round_mode_32 0
		.amdhsa_float_round_mode_16_64 0
		.amdhsa_float_denorm_mode_32 3
		.amdhsa_float_denorm_mode_16_64 3
		.amdhsa_dx10_clamp 1
		.amdhsa_ieee_mode 1
		.amdhsa_fp16_overflow 0
		.amdhsa_tg_split 0
		.amdhsa_exception_fp_ieee_invalid_op 0
		.amdhsa_exception_fp_denorm_src 0
		.amdhsa_exception_fp_ieee_div_zero 0
		.amdhsa_exception_fp_ieee_overflow 0
		.amdhsa_exception_fp_ieee_underflow 0
		.amdhsa_exception_fp_ieee_inexact 0
		.amdhsa_exception_int_div_zero 0
	.end_amdhsa_kernel
	.section	.text._ZN2at6native12_GLOBAL__N_135CatArrayBatchedCopy_alignedK_contigINS1_10OpaqueTypeILj4EEEjLi1ELi128ELi1ELi8EEEvPT_NS1_25CatArrInputTensorMetadataIS5_T0_XT2_EXT3_EEENS1_16TensorSizeStrideIS8_Lj4EEEiS8_,"axG",@progbits,_ZN2at6native12_GLOBAL__N_135CatArrayBatchedCopy_alignedK_contigINS1_10OpaqueTypeILj4EEEjLi1ELi128ELi1ELi8EEEvPT_NS1_25CatArrInputTensorMetadataIS5_T0_XT2_EXT3_EEENS1_16TensorSizeStrideIS8_Lj4EEEiS8_,comdat
.Lfunc_end42:
	.size	_ZN2at6native12_GLOBAL__N_135CatArrayBatchedCopy_alignedK_contigINS1_10OpaqueTypeILj4EEEjLi1ELi128ELi1ELi8EEEvPT_NS1_25CatArrInputTensorMetadataIS5_T0_XT2_EXT3_EEENS1_16TensorSizeStrideIS8_Lj4EEEiS8_, .Lfunc_end42-_ZN2at6native12_GLOBAL__N_135CatArrayBatchedCopy_alignedK_contigINS1_10OpaqueTypeILj4EEEjLi1ELi128ELi1ELi8EEEvPT_NS1_25CatArrInputTensorMetadataIS5_T0_XT2_EXT3_EEENS1_16TensorSizeStrideIS8_Lj4EEEiS8_
                                        ; -- End function
	.set _ZN2at6native12_GLOBAL__N_135CatArrayBatchedCopy_alignedK_contigINS1_10OpaqueTypeILj4EEEjLi1ELi128ELi1ELi8EEEvPT_NS1_25CatArrInputTensorMetadataIS5_T0_XT2_EXT3_EEENS1_16TensorSizeStrideIS8_Lj4EEEiS8_.num_vgpr, 11
	.set _ZN2at6native12_GLOBAL__N_135CatArrayBatchedCopy_alignedK_contigINS1_10OpaqueTypeILj4EEEjLi1ELi128ELi1ELi8EEEvPT_NS1_25CatArrInputTensorMetadataIS5_T0_XT2_EXT3_EEENS1_16TensorSizeStrideIS8_Lj4EEEiS8_.num_agpr, 0
	.set _ZN2at6native12_GLOBAL__N_135CatArrayBatchedCopy_alignedK_contigINS1_10OpaqueTypeILj4EEEjLi1ELi128ELi1ELi8EEEvPT_NS1_25CatArrInputTensorMetadataIS5_T0_XT2_EXT3_EEENS1_16TensorSizeStrideIS8_Lj4EEEiS8_.numbered_sgpr, 17
	.set _ZN2at6native12_GLOBAL__N_135CatArrayBatchedCopy_alignedK_contigINS1_10OpaqueTypeILj4EEEjLi1ELi128ELi1ELi8EEEvPT_NS1_25CatArrInputTensorMetadataIS5_T0_XT2_EXT3_EEENS1_16TensorSizeStrideIS8_Lj4EEEiS8_.num_named_barrier, 0
	.set _ZN2at6native12_GLOBAL__N_135CatArrayBatchedCopy_alignedK_contigINS1_10OpaqueTypeILj4EEEjLi1ELi128ELi1ELi8EEEvPT_NS1_25CatArrInputTensorMetadataIS5_T0_XT2_EXT3_EEENS1_16TensorSizeStrideIS8_Lj4EEEiS8_.private_seg_size, 0
	.set _ZN2at6native12_GLOBAL__N_135CatArrayBatchedCopy_alignedK_contigINS1_10OpaqueTypeILj4EEEjLi1ELi128ELi1ELi8EEEvPT_NS1_25CatArrInputTensorMetadataIS5_T0_XT2_EXT3_EEENS1_16TensorSizeStrideIS8_Lj4EEEiS8_.uses_vcc, 1
	.set _ZN2at6native12_GLOBAL__N_135CatArrayBatchedCopy_alignedK_contigINS1_10OpaqueTypeILj4EEEjLi1ELi128ELi1ELi8EEEvPT_NS1_25CatArrInputTensorMetadataIS5_T0_XT2_EXT3_EEENS1_16TensorSizeStrideIS8_Lj4EEEiS8_.uses_flat_scratch, 0
	.set _ZN2at6native12_GLOBAL__N_135CatArrayBatchedCopy_alignedK_contigINS1_10OpaqueTypeILj4EEEjLi1ELi128ELi1ELi8EEEvPT_NS1_25CatArrInputTensorMetadataIS5_T0_XT2_EXT3_EEENS1_16TensorSizeStrideIS8_Lj4EEEiS8_.has_dyn_sized_stack, 0
	.set _ZN2at6native12_GLOBAL__N_135CatArrayBatchedCopy_alignedK_contigINS1_10OpaqueTypeILj4EEEjLi1ELi128ELi1ELi8EEEvPT_NS1_25CatArrInputTensorMetadataIS5_T0_XT2_EXT3_EEENS1_16TensorSizeStrideIS8_Lj4EEEiS8_.has_recursion, 0
	.set _ZN2at6native12_GLOBAL__N_135CatArrayBatchedCopy_alignedK_contigINS1_10OpaqueTypeILj4EEEjLi1ELi128ELi1ELi8EEEvPT_NS1_25CatArrInputTensorMetadataIS5_T0_XT2_EXT3_EEENS1_16TensorSizeStrideIS8_Lj4EEEiS8_.has_indirect_call, 0
	.section	.AMDGPU.csdata,"",@progbits
; Kernel info:
; codeLenInByte = 460
; TotalNumSgprs: 23
; NumVgprs: 11
; NumAgprs: 0
; TotalNumVgprs: 11
; ScratchSize: 0
; MemoryBound: 0
; FloatMode: 240
; IeeeMode: 1
; LDSByteSize: 0 bytes/workgroup (compile time only)
; SGPRBlocks: 2
; VGPRBlocks: 1
; NumSGPRsForWavesPerEU: 23
; NumVGPRsForWavesPerEU: 11
; AccumOffset: 12
; Occupancy: 8
; WaveLimiterHint : 1
; COMPUTE_PGM_RSRC2:SCRATCH_EN: 0
; COMPUTE_PGM_RSRC2:USER_SGPR: 2
; COMPUTE_PGM_RSRC2:TRAP_HANDLER: 0
; COMPUTE_PGM_RSRC2:TGID_X_EN: 1
; COMPUTE_PGM_RSRC2:TGID_Y_EN: 1
; COMPUTE_PGM_RSRC2:TGID_Z_EN: 0
; COMPUTE_PGM_RSRC2:TIDIG_COMP_CNT: 0
; COMPUTE_PGM_RSRC3_GFX90A:ACCUM_OFFSET: 2
; COMPUTE_PGM_RSRC3_GFX90A:TG_SPLIT: 0
	.section	.text._ZN2at6native12_GLOBAL__N_126CatArrayBatchedCopy_contigINS1_10OpaqueTypeILj4EEEjLi1ELi128ELi1EEEvPT_NS1_25CatArrInputTensorMetadataIS5_T0_XT2_EXT3_EEENS1_16TensorSizeStrideIS8_Lj4EEEiS8_,"axG",@progbits,_ZN2at6native12_GLOBAL__N_126CatArrayBatchedCopy_contigINS1_10OpaqueTypeILj4EEEjLi1ELi128ELi1EEEvPT_NS1_25CatArrInputTensorMetadataIS5_T0_XT2_EXT3_EEENS1_16TensorSizeStrideIS8_Lj4EEEiS8_,comdat
	.globl	_ZN2at6native12_GLOBAL__N_126CatArrayBatchedCopy_contigINS1_10OpaqueTypeILj4EEEjLi1ELi128ELi1EEEvPT_NS1_25CatArrInputTensorMetadataIS5_T0_XT2_EXT3_EEENS1_16TensorSizeStrideIS8_Lj4EEEiS8_ ; -- Begin function _ZN2at6native12_GLOBAL__N_126CatArrayBatchedCopy_contigINS1_10OpaqueTypeILj4EEEjLi1ELi128ELi1EEEvPT_NS1_25CatArrInputTensorMetadataIS5_T0_XT2_EXT3_EEENS1_16TensorSizeStrideIS8_Lj4EEEiS8_
	.p2align	8
	.type	_ZN2at6native12_GLOBAL__N_126CatArrayBatchedCopy_contigINS1_10OpaqueTypeILj4EEEjLi1ELi128ELi1EEEvPT_NS1_25CatArrInputTensorMetadataIS5_T0_XT2_EXT3_EEENS1_16TensorSizeStrideIS8_Lj4EEEiS8_,@function
_ZN2at6native12_GLOBAL__N_126CatArrayBatchedCopy_contigINS1_10OpaqueTypeILj4EEEjLi1ELi128ELi1EEEvPT_NS1_25CatArrInputTensorMetadataIS5_T0_XT2_EXT3_EEENS1_16TensorSizeStrideIS8_Lj4EEEiS8_: ; @_ZN2at6native12_GLOBAL__N_126CatArrayBatchedCopy_contigINS1_10OpaqueTypeILj4EEEjLi1ELi128ELi1EEEvPT_NS1_25CatArrInputTensorMetadataIS5_T0_XT2_EXT3_EEENS1_16TensorSizeStrideIS8_Lj4EEEiS8_
; %bb.0:
	s_mov_b32 s6, s3
	s_load_dword s3, s[0:1], 0xadc
	s_add_u32 s4, s0, 0xad0
	s_mov_b32 s7, 0
	s_addc_u32 s5, s1, 0
	s_lshl_b64 s[6:7], s[6:7], 2
	s_waitcnt lgkmcnt(0)
	s_and_b32 s9, s3, 0xffff
	s_add_u32 s10, s0, s6
	s_addc_u32 s11, s1, s7
	s_load_dword s8, s[10:11], 0x808
	s_mul_i32 s2, s2, s9
	v_add_u32_e32 v0, s2, v0
	s_add_u32 s2, s10, 8
	s_addc_u32 s3, s11, 0
	s_waitcnt lgkmcnt(0)
	v_cmp_gt_u32_e32 vcc, s8, v0
	s_and_saveexec_b64 s[10:11], vcc
	s_cbranch_execz .LBB43_3
; %bb.1:
	s_add_u32 s10, s2, s6
	s_addc_u32 s11, s3, s7
	s_sub_u32 s2, 0, s6
	s_subb_u32 s3, 0, s7
	s_add_u32 s6, s10, s2
	s_load_dword s12, s[4:5], 0x0
	s_addc_u32 s7, s11, s3
	s_load_dword s13, s[6:7], 0x400
	s_load_dword s14, s[0:1], 0xacc
	s_load_dwordx2 s[2:3], s[10:11], 0x0
	s_load_dword s15, s[0:1], 0xab8
	s_load_dwordx2 s[4:5], s[0:1], 0x0
	s_mov_b64 s[0:1], 0
	s_waitcnt lgkmcnt(0)
	s_mul_i32 s13, s13, s14
	s_mul_i32 s6, s12, s9
	v_mul_lo_u32 v1, s15, v0
	v_add_u32_e32 v2, s13, v1
	s_mul_i32 s7, s6, s15
	v_mov_b32_e32 v1, 0
.LBB43_2:                               ; =>This Inner Loop Header: Depth=1
	v_lshl_add_u64 v[4:5], v[0:1], 2, s[2:3]
	global_load_dword v6, v[4:5], off
	v_add_u32_e32 v0, s6, v0
	v_mov_b32_e32 v3, v1
	v_cmp_le_u32_e32 vcc, s8, v0
	v_lshl_add_u64 v[4:5], v[2:3], 2, s[4:5]
	v_add_u32_e32 v2, s7, v2
	s_or_b64 s[0:1], vcc, s[0:1]
	s_waitcnt vmcnt(0)
	global_store_dword v[4:5], v6, off
	s_andn2_b64 exec, exec, s[0:1]
	s_cbranch_execnz .LBB43_2
.LBB43_3:
	s_endpgm
	.section	.rodata,"a",@progbits
	.p2align	6, 0x0
	.amdhsa_kernel _ZN2at6native12_GLOBAL__N_126CatArrayBatchedCopy_contigINS1_10OpaqueTypeILj4EEEjLi1ELi128ELi1EEEvPT_NS1_25CatArrInputTensorMetadataIS5_T0_XT2_EXT3_EEENS1_16TensorSizeStrideIS8_Lj4EEEiS8_
		.amdhsa_group_segment_fixed_size 0
		.amdhsa_private_segment_fixed_size 0
		.amdhsa_kernarg_size 3024
		.amdhsa_user_sgpr_count 2
		.amdhsa_user_sgpr_dispatch_ptr 0
		.amdhsa_user_sgpr_queue_ptr 0
		.amdhsa_user_sgpr_kernarg_segment_ptr 1
		.amdhsa_user_sgpr_dispatch_id 0
		.amdhsa_user_sgpr_kernarg_preload_length 0
		.amdhsa_user_sgpr_kernarg_preload_offset 0
		.amdhsa_user_sgpr_private_segment_size 0
		.amdhsa_uses_dynamic_stack 0
		.amdhsa_enable_private_segment 0
		.amdhsa_system_sgpr_workgroup_id_x 1
		.amdhsa_system_sgpr_workgroup_id_y 1
		.amdhsa_system_sgpr_workgroup_id_z 0
		.amdhsa_system_sgpr_workgroup_info 0
		.amdhsa_system_vgpr_workitem_id 0
		.amdhsa_next_free_vgpr 7
		.amdhsa_next_free_sgpr 16
		.amdhsa_accum_offset 8
		.amdhsa_reserve_vcc 1
		.amdhsa_float_round_mode_32 0
		.amdhsa_float_round_mode_16_64 0
		.amdhsa_float_denorm_mode_32 3
		.amdhsa_float_denorm_mode_16_64 3
		.amdhsa_dx10_clamp 1
		.amdhsa_ieee_mode 1
		.amdhsa_fp16_overflow 0
		.amdhsa_tg_split 0
		.amdhsa_exception_fp_ieee_invalid_op 0
		.amdhsa_exception_fp_denorm_src 0
		.amdhsa_exception_fp_ieee_div_zero 0
		.amdhsa_exception_fp_ieee_overflow 0
		.amdhsa_exception_fp_ieee_underflow 0
		.amdhsa_exception_fp_ieee_inexact 0
		.amdhsa_exception_int_div_zero 0
	.end_amdhsa_kernel
	.section	.text._ZN2at6native12_GLOBAL__N_126CatArrayBatchedCopy_contigINS1_10OpaqueTypeILj4EEEjLi1ELi128ELi1EEEvPT_NS1_25CatArrInputTensorMetadataIS5_T0_XT2_EXT3_EEENS1_16TensorSizeStrideIS8_Lj4EEEiS8_,"axG",@progbits,_ZN2at6native12_GLOBAL__N_126CatArrayBatchedCopy_contigINS1_10OpaqueTypeILj4EEEjLi1ELi128ELi1EEEvPT_NS1_25CatArrInputTensorMetadataIS5_T0_XT2_EXT3_EEENS1_16TensorSizeStrideIS8_Lj4EEEiS8_,comdat
.Lfunc_end43:
	.size	_ZN2at6native12_GLOBAL__N_126CatArrayBatchedCopy_contigINS1_10OpaqueTypeILj4EEEjLi1ELi128ELi1EEEvPT_NS1_25CatArrInputTensorMetadataIS5_T0_XT2_EXT3_EEENS1_16TensorSizeStrideIS8_Lj4EEEiS8_, .Lfunc_end43-_ZN2at6native12_GLOBAL__N_126CatArrayBatchedCopy_contigINS1_10OpaqueTypeILj4EEEjLi1ELi128ELi1EEEvPT_NS1_25CatArrInputTensorMetadataIS5_T0_XT2_EXT3_EEENS1_16TensorSizeStrideIS8_Lj4EEEiS8_
                                        ; -- End function
	.set _ZN2at6native12_GLOBAL__N_126CatArrayBatchedCopy_contigINS1_10OpaqueTypeILj4EEEjLi1ELi128ELi1EEEvPT_NS1_25CatArrInputTensorMetadataIS5_T0_XT2_EXT3_EEENS1_16TensorSizeStrideIS8_Lj4EEEiS8_.num_vgpr, 7
	.set _ZN2at6native12_GLOBAL__N_126CatArrayBatchedCopy_contigINS1_10OpaqueTypeILj4EEEjLi1ELi128ELi1EEEvPT_NS1_25CatArrInputTensorMetadataIS5_T0_XT2_EXT3_EEENS1_16TensorSizeStrideIS8_Lj4EEEiS8_.num_agpr, 0
	.set _ZN2at6native12_GLOBAL__N_126CatArrayBatchedCopy_contigINS1_10OpaqueTypeILj4EEEjLi1ELi128ELi1EEEvPT_NS1_25CatArrInputTensorMetadataIS5_T0_XT2_EXT3_EEENS1_16TensorSizeStrideIS8_Lj4EEEiS8_.numbered_sgpr, 16
	.set _ZN2at6native12_GLOBAL__N_126CatArrayBatchedCopy_contigINS1_10OpaqueTypeILj4EEEjLi1ELi128ELi1EEEvPT_NS1_25CatArrInputTensorMetadataIS5_T0_XT2_EXT3_EEENS1_16TensorSizeStrideIS8_Lj4EEEiS8_.num_named_barrier, 0
	.set _ZN2at6native12_GLOBAL__N_126CatArrayBatchedCopy_contigINS1_10OpaqueTypeILj4EEEjLi1ELi128ELi1EEEvPT_NS1_25CatArrInputTensorMetadataIS5_T0_XT2_EXT3_EEENS1_16TensorSizeStrideIS8_Lj4EEEiS8_.private_seg_size, 0
	.set _ZN2at6native12_GLOBAL__N_126CatArrayBatchedCopy_contigINS1_10OpaqueTypeILj4EEEjLi1ELi128ELi1EEEvPT_NS1_25CatArrInputTensorMetadataIS5_T0_XT2_EXT3_EEENS1_16TensorSizeStrideIS8_Lj4EEEiS8_.uses_vcc, 1
	.set _ZN2at6native12_GLOBAL__N_126CatArrayBatchedCopy_contigINS1_10OpaqueTypeILj4EEEjLi1ELi128ELi1EEEvPT_NS1_25CatArrInputTensorMetadataIS5_T0_XT2_EXT3_EEENS1_16TensorSizeStrideIS8_Lj4EEEiS8_.uses_flat_scratch, 0
	.set _ZN2at6native12_GLOBAL__N_126CatArrayBatchedCopy_contigINS1_10OpaqueTypeILj4EEEjLi1ELi128ELi1EEEvPT_NS1_25CatArrInputTensorMetadataIS5_T0_XT2_EXT3_EEENS1_16TensorSizeStrideIS8_Lj4EEEiS8_.has_dyn_sized_stack, 0
	.set _ZN2at6native12_GLOBAL__N_126CatArrayBatchedCopy_contigINS1_10OpaqueTypeILj4EEEjLi1ELi128ELi1EEEvPT_NS1_25CatArrInputTensorMetadataIS5_T0_XT2_EXT3_EEENS1_16TensorSizeStrideIS8_Lj4EEEiS8_.has_recursion, 0
	.set _ZN2at6native12_GLOBAL__N_126CatArrayBatchedCopy_contigINS1_10OpaqueTypeILj4EEEjLi1ELi128ELi1EEEvPT_NS1_25CatArrInputTensorMetadataIS5_T0_XT2_EXT3_EEENS1_16TensorSizeStrideIS8_Lj4EEEiS8_.has_indirect_call, 0
	.section	.AMDGPU.csdata,"",@progbits
; Kernel info:
; codeLenInByte = 268
; TotalNumSgprs: 22
; NumVgprs: 7
; NumAgprs: 0
; TotalNumVgprs: 7
; ScratchSize: 0
; MemoryBound: 0
; FloatMode: 240
; IeeeMode: 1
; LDSByteSize: 0 bytes/workgroup (compile time only)
; SGPRBlocks: 2
; VGPRBlocks: 0
; NumSGPRsForWavesPerEU: 22
; NumVGPRsForWavesPerEU: 7
; AccumOffset: 8
; Occupancy: 8
; WaveLimiterHint : 1
; COMPUTE_PGM_RSRC2:SCRATCH_EN: 0
; COMPUTE_PGM_RSRC2:USER_SGPR: 2
; COMPUTE_PGM_RSRC2:TRAP_HANDLER: 0
; COMPUTE_PGM_RSRC2:TGID_X_EN: 1
; COMPUTE_PGM_RSRC2:TGID_Y_EN: 1
; COMPUTE_PGM_RSRC2:TGID_Z_EN: 0
; COMPUTE_PGM_RSRC2:TIDIG_COMP_CNT: 0
; COMPUTE_PGM_RSRC3_GFX90A:ACCUM_OFFSET: 1
; COMPUTE_PGM_RSRC3_GFX90A:TG_SPLIT: 0
	.section	.text._ZN2at6native12_GLOBAL__N_119CatArrayBatchedCopyINS1_10OpaqueTypeILj4EEEjLi1ELi128ELi1EEEvPT_NS1_25CatArrInputTensorMetadataIS5_T0_XT2_EXT3_EEENS1_16TensorSizeStrideIS8_Lj4EEEiS8_,"axG",@progbits,_ZN2at6native12_GLOBAL__N_119CatArrayBatchedCopyINS1_10OpaqueTypeILj4EEEjLi1ELi128ELi1EEEvPT_NS1_25CatArrInputTensorMetadataIS5_T0_XT2_EXT3_EEENS1_16TensorSizeStrideIS8_Lj4EEEiS8_,comdat
	.globl	_ZN2at6native12_GLOBAL__N_119CatArrayBatchedCopyINS1_10OpaqueTypeILj4EEEjLi1ELi128ELi1EEEvPT_NS1_25CatArrInputTensorMetadataIS5_T0_XT2_EXT3_EEENS1_16TensorSizeStrideIS8_Lj4EEEiS8_ ; -- Begin function _ZN2at6native12_GLOBAL__N_119CatArrayBatchedCopyINS1_10OpaqueTypeILj4EEEjLi1ELi128ELi1EEEvPT_NS1_25CatArrInputTensorMetadataIS5_T0_XT2_EXT3_EEENS1_16TensorSizeStrideIS8_Lj4EEEiS8_
	.p2align	8
	.type	_ZN2at6native12_GLOBAL__N_119CatArrayBatchedCopyINS1_10OpaqueTypeILj4EEEjLi1ELi128ELi1EEEvPT_NS1_25CatArrInputTensorMetadataIS5_T0_XT2_EXT3_EEENS1_16TensorSizeStrideIS8_Lj4EEEiS8_,@function
_ZN2at6native12_GLOBAL__N_119CatArrayBatchedCopyINS1_10OpaqueTypeILj4EEEjLi1ELi128ELi1EEEvPT_NS1_25CatArrInputTensorMetadataIS5_T0_XT2_EXT3_EEENS1_16TensorSizeStrideIS8_Lj4EEEiS8_: ; @_ZN2at6native12_GLOBAL__N_119CatArrayBatchedCopyINS1_10OpaqueTypeILj4EEEjLi1ELi128ELi1EEEvPT_NS1_25CatArrInputTensorMetadataIS5_T0_XT2_EXT3_EEENS1_16TensorSizeStrideIS8_Lj4EEEiS8_
; %bb.0:
	s_mov_b32 s4, s3
	s_load_dword s3, s[0:1], 0xadc
	s_or_b32 s10, s0, 8
	s_add_u32 s8, s0, 0xad0
	s_mov_b32 s5, 0
	s_addc_u32 s9, s1, 0
	s_waitcnt lgkmcnt(0)
	s_and_b32 s13, s3, 0xffff
	s_lshl_b64 s[6:7], s[4:5], 2
	s_add_u32 s14, s10, s6
	s_addc_u32 s15, s1, s7
	s_load_dword s12, s[14:15], 0x800
	s_mul_i32 s2, s2, s13
	v_add_u32_e32 v4, s2, v0
	s_waitcnt lgkmcnt(0)
	v_cmp_gt_u32_e32 vcc, s12, v4
	s_and_saveexec_b64 s[2:3], vcc
	s_cbranch_execz .LBB44_3
; %bb.1:
	s_add_u32 s14, s10, s4
	s_addc_u32 s15, s1, 0
	v_mov_b32_e32 v1, 0
	global_load_ubyte v0, v1, s[14:15] offset:2560
	s_mov_b32 s11, s1
	s_load_dword s5, s[8:9], 0x0
	s_load_dwordx2 s[2:3], s[0:1], 0x0
	s_load_dword s16, s[0:1], 0xacc
	s_load_dword s17, s[10:11], 0xa90
	;; [unrolled: 1-line block ×3, first 2 shown]
	s_waitcnt lgkmcnt(0)
	s_mul_i32 s8, s5, s13
	s_mul_hi_u32 s9, s4, 7
	s_mul_i32 s4, s4, 7
	s_mov_b64 s[0:1], 0
	v_mul_lo_u32 v2, s18, v4
	s_waitcnt vmcnt(0)
	v_readfirstlane_b32 s5, v0
	s_and_b32 s13, 1, s5
	s_add_u32 s10, s14, s4
	s_addc_u32 s11, s15, s9
	s_sub_u32 s4, 0, s6
	s_subb_u32 s5, 0, s7
	s_add_u32 s6, s10, s4
	s_addc_u32 s7, s11, s5
	s_load_dwordx2 s[4:5], s[10:11], 0x0
	s_load_dword s9, s[6:7], 0x400
	s_cmp_eq_u32 s13, 1
	s_cselect_b32 s6, 1, s17
	v_mul_lo_u32 v0, s6, v4
	s_mul_i32 s6, s8, s6
	s_waitcnt lgkmcnt(0)
	s_mul_i32 s9, s9, s16
	v_add_u32_e32 v2, s9, v2
	s_mul_i32 s7, s8, s18
.LBB44_2:                               ; =>This Inner Loop Header: Depth=1
	v_lshl_add_u64 v[6:7], v[0:1], 2, s[4:5]
	global_load_dword v5, v[6:7], off
	v_add_u32_e32 v4, s8, v4
	v_mov_b32_e32 v3, v1
	v_cmp_le_u32_e32 vcc, s12, v4
	v_add_u32_e32 v0, s6, v0
	v_lshl_add_u64 v[6:7], v[2:3], 2, s[2:3]
	v_add_u32_e32 v2, s7, v2
	s_or_b64 s[0:1], vcc, s[0:1]
	s_waitcnt vmcnt(0)
	global_store_dword v[6:7], v5, off
	s_andn2_b64 exec, exec, s[0:1]
	s_cbranch_execnz .LBB44_2
.LBB44_3:
	s_endpgm
	.section	.rodata,"a",@progbits
	.p2align	6, 0x0
	.amdhsa_kernel _ZN2at6native12_GLOBAL__N_119CatArrayBatchedCopyINS1_10OpaqueTypeILj4EEEjLi1ELi128ELi1EEEvPT_NS1_25CatArrInputTensorMetadataIS5_T0_XT2_EXT3_EEENS1_16TensorSizeStrideIS8_Lj4EEEiS8_
		.amdhsa_group_segment_fixed_size 0
		.amdhsa_private_segment_fixed_size 0
		.amdhsa_kernarg_size 3024
		.amdhsa_user_sgpr_count 2
		.amdhsa_user_sgpr_dispatch_ptr 0
		.amdhsa_user_sgpr_queue_ptr 0
		.amdhsa_user_sgpr_kernarg_segment_ptr 1
		.amdhsa_user_sgpr_dispatch_id 0
		.amdhsa_user_sgpr_kernarg_preload_length 0
		.amdhsa_user_sgpr_kernarg_preload_offset 0
		.amdhsa_user_sgpr_private_segment_size 0
		.amdhsa_uses_dynamic_stack 0
		.amdhsa_enable_private_segment 0
		.amdhsa_system_sgpr_workgroup_id_x 1
		.amdhsa_system_sgpr_workgroup_id_y 1
		.amdhsa_system_sgpr_workgroup_id_z 0
		.amdhsa_system_sgpr_workgroup_info 0
		.amdhsa_system_vgpr_workitem_id 0
		.amdhsa_next_free_vgpr 8
		.amdhsa_next_free_sgpr 19
		.amdhsa_accum_offset 8
		.amdhsa_reserve_vcc 1
		.amdhsa_float_round_mode_32 0
		.amdhsa_float_round_mode_16_64 0
		.amdhsa_float_denorm_mode_32 3
		.amdhsa_float_denorm_mode_16_64 3
		.amdhsa_dx10_clamp 1
		.amdhsa_ieee_mode 1
		.amdhsa_fp16_overflow 0
		.amdhsa_tg_split 0
		.amdhsa_exception_fp_ieee_invalid_op 0
		.amdhsa_exception_fp_denorm_src 0
		.amdhsa_exception_fp_ieee_div_zero 0
		.amdhsa_exception_fp_ieee_overflow 0
		.amdhsa_exception_fp_ieee_underflow 0
		.amdhsa_exception_fp_ieee_inexact 0
		.amdhsa_exception_int_div_zero 0
	.end_amdhsa_kernel
	.section	.text._ZN2at6native12_GLOBAL__N_119CatArrayBatchedCopyINS1_10OpaqueTypeILj4EEEjLi1ELi128ELi1EEEvPT_NS1_25CatArrInputTensorMetadataIS5_T0_XT2_EXT3_EEENS1_16TensorSizeStrideIS8_Lj4EEEiS8_,"axG",@progbits,_ZN2at6native12_GLOBAL__N_119CatArrayBatchedCopyINS1_10OpaqueTypeILj4EEEjLi1ELi128ELi1EEEvPT_NS1_25CatArrInputTensorMetadataIS5_T0_XT2_EXT3_EEENS1_16TensorSizeStrideIS8_Lj4EEEiS8_,comdat
.Lfunc_end44:
	.size	_ZN2at6native12_GLOBAL__N_119CatArrayBatchedCopyINS1_10OpaqueTypeILj4EEEjLi1ELi128ELi1EEEvPT_NS1_25CatArrInputTensorMetadataIS5_T0_XT2_EXT3_EEENS1_16TensorSizeStrideIS8_Lj4EEEiS8_, .Lfunc_end44-_ZN2at6native12_GLOBAL__N_119CatArrayBatchedCopyINS1_10OpaqueTypeILj4EEEjLi1ELi128ELi1EEEvPT_NS1_25CatArrInputTensorMetadataIS5_T0_XT2_EXT3_EEENS1_16TensorSizeStrideIS8_Lj4EEEiS8_
                                        ; -- End function
	.set _ZN2at6native12_GLOBAL__N_119CatArrayBatchedCopyINS1_10OpaqueTypeILj4EEEjLi1ELi128ELi1EEEvPT_NS1_25CatArrInputTensorMetadataIS5_T0_XT2_EXT3_EEENS1_16TensorSizeStrideIS8_Lj4EEEiS8_.num_vgpr, 8
	.set _ZN2at6native12_GLOBAL__N_119CatArrayBatchedCopyINS1_10OpaqueTypeILj4EEEjLi1ELi128ELi1EEEvPT_NS1_25CatArrInputTensorMetadataIS5_T0_XT2_EXT3_EEENS1_16TensorSizeStrideIS8_Lj4EEEiS8_.num_agpr, 0
	.set _ZN2at6native12_GLOBAL__N_119CatArrayBatchedCopyINS1_10OpaqueTypeILj4EEEjLi1ELi128ELi1EEEvPT_NS1_25CatArrInputTensorMetadataIS5_T0_XT2_EXT3_EEENS1_16TensorSizeStrideIS8_Lj4EEEiS8_.numbered_sgpr, 19
	.set _ZN2at6native12_GLOBAL__N_119CatArrayBatchedCopyINS1_10OpaqueTypeILj4EEEjLi1ELi128ELi1EEEvPT_NS1_25CatArrInputTensorMetadataIS5_T0_XT2_EXT3_EEENS1_16TensorSizeStrideIS8_Lj4EEEiS8_.num_named_barrier, 0
	.set _ZN2at6native12_GLOBAL__N_119CatArrayBatchedCopyINS1_10OpaqueTypeILj4EEEjLi1ELi128ELi1EEEvPT_NS1_25CatArrInputTensorMetadataIS5_T0_XT2_EXT3_EEENS1_16TensorSizeStrideIS8_Lj4EEEiS8_.private_seg_size, 0
	.set _ZN2at6native12_GLOBAL__N_119CatArrayBatchedCopyINS1_10OpaqueTypeILj4EEEjLi1ELi128ELi1EEEvPT_NS1_25CatArrInputTensorMetadataIS5_T0_XT2_EXT3_EEENS1_16TensorSizeStrideIS8_Lj4EEEiS8_.uses_vcc, 1
	.set _ZN2at6native12_GLOBAL__N_119CatArrayBatchedCopyINS1_10OpaqueTypeILj4EEEjLi1ELi128ELi1EEEvPT_NS1_25CatArrInputTensorMetadataIS5_T0_XT2_EXT3_EEENS1_16TensorSizeStrideIS8_Lj4EEEiS8_.uses_flat_scratch, 0
	.set _ZN2at6native12_GLOBAL__N_119CatArrayBatchedCopyINS1_10OpaqueTypeILj4EEEjLi1ELi128ELi1EEEvPT_NS1_25CatArrInputTensorMetadataIS5_T0_XT2_EXT3_EEENS1_16TensorSizeStrideIS8_Lj4EEEiS8_.has_dyn_sized_stack, 0
	.set _ZN2at6native12_GLOBAL__N_119CatArrayBatchedCopyINS1_10OpaqueTypeILj4EEEjLi1ELi128ELi1EEEvPT_NS1_25CatArrInputTensorMetadataIS5_T0_XT2_EXT3_EEENS1_16TensorSizeStrideIS8_Lj4EEEiS8_.has_recursion, 0
	.set _ZN2at6native12_GLOBAL__N_119CatArrayBatchedCopyINS1_10OpaqueTypeILj4EEEjLi1ELi128ELi1EEEvPT_NS1_25CatArrInputTensorMetadataIS5_T0_XT2_EXT3_EEENS1_16TensorSizeStrideIS8_Lj4EEEiS8_.has_indirect_call, 0
	.section	.AMDGPU.csdata,"",@progbits
; Kernel info:
; codeLenInByte = 340
; TotalNumSgprs: 25
; NumVgprs: 8
; NumAgprs: 0
; TotalNumVgprs: 8
; ScratchSize: 0
; MemoryBound: 0
; FloatMode: 240
; IeeeMode: 1
; LDSByteSize: 0 bytes/workgroup (compile time only)
; SGPRBlocks: 3
; VGPRBlocks: 0
; NumSGPRsForWavesPerEU: 25
; NumVGPRsForWavesPerEU: 8
; AccumOffset: 8
; Occupancy: 8
; WaveLimiterHint : 1
; COMPUTE_PGM_RSRC2:SCRATCH_EN: 0
; COMPUTE_PGM_RSRC2:USER_SGPR: 2
; COMPUTE_PGM_RSRC2:TRAP_HANDLER: 0
; COMPUTE_PGM_RSRC2:TGID_X_EN: 1
; COMPUTE_PGM_RSRC2:TGID_Y_EN: 1
; COMPUTE_PGM_RSRC2:TGID_Z_EN: 0
; COMPUTE_PGM_RSRC2:TIDIG_COMP_CNT: 0
; COMPUTE_PGM_RSRC3_GFX90A:ACCUM_OFFSET: 1
; COMPUTE_PGM_RSRC3_GFX90A:TG_SPLIT: 0
	.section	.text._ZN2at6native12_GLOBAL__N_130CatArrayBatchedCopy_vectorizedINS1_10OpaqueTypeILj4EEEjLi2ELi128ELi1ELi16ELi4EEEvPcNS1_25CatArrInputTensorMetadataIT_T0_XT2_EXT3_EEENS1_16TensorSizeStrideIS8_Lj4EEEiS8_,"axG",@progbits,_ZN2at6native12_GLOBAL__N_130CatArrayBatchedCopy_vectorizedINS1_10OpaqueTypeILj4EEEjLi2ELi128ELi1ELi16ELi4EEEvPcNS1_25CatArrInputTensorMetadataIT_T0_XT2_EXT3_EEENS1_16TensorSizeStrideIS8_Lj4EEEiS8_,comdat
	.globl	_ZN2at6native12_GLOBAL__N_130CatArrayBatchedCopy_vectorizedINS1_10OpaqueTypeILj4EEEjLi2ELi128ELi1ELi16ELi4EEEvPcNS1_25CatArrInputTensorMetadataIT_T0_XT2_EXT3_EEENS1_16TensorSizeStrideIS8_Lj4EEEiS8_ ; -- Begin function _ZN2at6native12_GLOBAL__N_130CatArrayBatchedCopy_vectorizedINS1_10OpaqueTypeILj4EEEjLi2ELi128ELi1ELi16ELi4EEEvPcNS1_25CatArrInputTensorMetadataIT_T0_XT2_EXT3_EEENS1_16TensorSizeStrideIS8_Lj4EEEiS8_
	.p2align	8
	.type	_ZN2at6native12_GLOBAL__N_130CatArrayBatchedCopy_vectorizedINS1_10OpaqueTypeILj4EEEjLi2ELi128ELi1ELi16ELi4EEEvPcNS1_25CatArrInputTensorMetadataIT_T0_XT2_EXT3_EEENS1_16TensorSizeStrideIS8_Lj4EEEiS8_,@function
_ZN2at6native12_GLOBAL__N_130CatArrayBatchedCopy_vectorizedINS1_10OpaqueTypeILj4EEEjLi2ELi128ELi1ELi16ELi4EEEvPcNS1_25CatArrInputTensorMetadataIT_T0_XT2_EXT3_EEENS1_16TensorSizeStrideIS8_Lj4EEEiS8_: ; @_ZN2at6native12_GLOBAL__N_130CatArrayBatchedCopy_vectorizedINS1_10OpaqueTypeILj4EEEjLi2ELi128ELi1ELi16ELi4EEEvPcNS1_25CatArrInputTensorMetadataIT_T0_XT2_EXT3_EEENS1_16TensorSizeStrideIS8_Lj4EEEiS8_
; %bb.0:
	s_mov_b32 s6, s3
	s_load_dword s3, s[0:1], 0xadc
	s_add_u32 s4, s0, 0xad0
	s_mov_b32 s7, 0
	s_addc_u32 s5, s1, 0
	s_lshl_b64 s[8:9], s[6:7], 2
	s_waitcnt lgkmcnt(0)
	s_and_b32 s11, s3, 0xffff
	s_add_u32 s12, s0, s8
	s_addc_u32 s13, s1, s9
	s_load_dword s6, s[12:13], 0x808
	s_mul_i32 s2, s2, s11
	v_add_u32_e32 v0, s2, v0
	s_add_u32 s2, s12, 8
	s_addc_u32 s3, s13, 0
	s_waitcnt lgkmcnt(0)
	s_lshr_b32 s10, s6, 2
	v_cmp_gt_u32_e32 vcc, s10, v0
	s_and_saveexec_b64 s[12:13], vcc
	s_cbranch_execz .LBB45_3
; %bb.1:
	s_add_u32 s14, s2, s8
	s_addc_u32 s15, s3, s9
	s_sub_u32 s2, 0, s8
	s_load_dwordx2 s[12:13], s[0:1], 0xac8
	s_subb_u32 s3, 0, s9
	s_add_u32 s8, s14, s2
	s_addc_u32 s9, s15, s3
	s_load_dword s6, s[8:9], 0x400
	s_load_dword s16, s[8:9], 0x600
	s_load_dwordx2 s[2:3], s[0:1], 0xab8
	s_load_dword s17, s[0:1], 0xaac
	s_waitcnt lgkmcnt(0)
	s_mul_i32 s6, s6, s13
	s_lshr_b32 s6, s6, 2
	s_mul_i32 s16, s16, s13
	s_lshr_b32 s8, s16, 2
	s_lshl_b64 s[6:7], s[6:7], 4
	s_cmp_eq_u32 s12, 1
	s_cselect_b32 s8, s8, s17
	v_cvt_f32_u32_e32 v1, s8
	s_load_dword s9, s[4:5], 0x0
	s_load_dwordx2 s[12:13], s[0:1], 0x0
	s_mov_b64 s[4:5], 0
	s_load_dwordx2 s[0:1], s[14:15], 0x0
	v_rcp_iflag_f32_e32 v1, v1
	s_waitcnt lgkmcnt(0)
	s_mul_i32 s9, s9, s11
	s_add_u32 s6, s12, s6
	s_addc_u32 s7, s13, s7
	v_mul_f32_e32 v1, 0x4f7ffffe, v1
	v_cvt_u32_f32_e32 v1, v1
	s_sub_i32 s11, 0, s8
	v_mul_lo_u32 v2, s11, v1
	v_mul_hi_u32 v2, v1, v2
	v_add_u32_e32 v2, v1, v2
	v_mov_b32_e32 v1, 0
.LBB45_2:                               ; =>This Inner Loop Header: Depth=1
	v_lshl_add_u64 v[4:5], v[0:1], 4, s[0:1]
	global_load_dwordx4 v[4:7], v[4:5], off
	v_mul_hi_u32 v3, v2, v0
	v_mul_lo_u32 v8, s8, v3
	v_not_b32_e32 v9, v3
	v_sub_u32_e32 v11, v0, v8
	v_add_u32_e32 v10, 1, v3
	v_mad_u64_u32 v[8:9], s[12:13], s8, v9, v[0:1]
	v_cmp_le_u32_e32 vcc, s8, v11
	s_nop 1
	v_cndmask_b32_e32 v3, v3, v10, vcc
	v_cndmask_b32_e32 v8, v11, v8, vcc
	v_add_u32_e32 v9, 1, v3
	v_cmp_le_u32_e32 vcc, s8, v8
	s_nop 1
	v_cndmask_b32_e32 v3, v3, v9, vcc
	v_mad_u64_u32 v[8:9], s[12:13], s11, v3, v[0:1]
	v_mul_lo_u32 v10, v3, s2
	v_add_u32_e32 v0, s9, v0
	v_mad_u64_u32 v[8:9], s[12:13], v8, s3, v[10:11]
	v_cmp_le_u32_e32 vcc, s10, v0
	v_mov_b32_e32 v9, v1
	s_or_b64 s[4:5], vcc, s[4:5]
	v_lshl_add_u64 v[8:9], v[8:9], 4, s[6:7]
	s_waitcnt vmcnt(0)
	global_store_dwordx4 v[8:9], v[4:7], off
	s_andn2_b64 exec, exec, s[4:5]
	s_cbranch_execnz .LBB45_2
.LBB45_3:
	s_endpgm
	.section	.rodata,"a",@progbits
	.p2align	6, 0x0
	.amdhsa_kernel _ZN2at6native12_GLOBAL__N_130CatArrayBatchedCopy_vectorizedINS1_10OpaqueTypeILj4EEEjLi2ELi128ELi1ELi16ELi4EEEvPcNS1_25CatArrInputTensorMetadataIT_T0_XT2_EXT3_EEENS1_16TensorSizeStrideIS8_Lj4EEEiS8_
		.amdhsa_group_segment_fixed_size 0
		.amdhsa_private_segment_fixed_size 0
		.amdhsa_kernarg_size 3024
		.amdhsa_user_sgpr_count 2
		.amdhsa_user_sgpr_dispatch_ptr 0
		.amdhsa_user_sgpr_queue_ptr 0
		.amdhsa_user_sgpr_kernarg_segment_ptr 1
		.amdhsa_user_sgpr_dispatch_id 0
		.amdhsa_user_sgpr_kernarg_preload_length 0
		.amdhsa_user_sgpr_kernarg_preload_offset 0
		.amdhsa_user_sgpr_private_segment_size 0
		.amdhsa_uses_dynamic_stack 0
		.amdhsa_enable_private_segment 0
		.amdhsa_system_sgpr_workgroup_id_x 1
		.amdhsa_system_sgpr_workgroup_id_y 1
		.amdhsa_system_sgpr_workgroup_id_z 0
		.amdhsa_system_sgpr_workgroup_info 0
		.amdhsa_system_vgpr_workitem_id 0
		.amdhsa_next_free_vgpr 12
		.amdhsa_next_free_sgpr 18
		.amdhsa_accum_offset 12
		.amdhsa_reserve_vcc 1
		.amdhsa_float_round_mode_32 0
		.amdhsa_float_round_mode_16_64 0
		.amdhsa_float_denorm_mode_32 3
		.amdhsa_float_denorm_mode_16_64 3
		.amdhsa_dx10_clamp 1
		.amdhsa_ieee_mode 1
		.amdhsa_fp16_overflow 0
		.amdhsa_tg_split 0
		.amdhsa_exception_fp_ieee_invalid_op 0
		.amdhsa_exception_fp_denorm_src 0
		.amdhsa_exception_fp_ieee_div_zero 0
		.amdhsa_exception_fp_ieee_overflow 0
		.amdhsa_exception_fp_ieee_underflow 0
		.amdhsa_exception_fp_ieee_inexact 0
		.amdhsa_exception_int_div_zero 0
	.end_amdhsa_kernel
	.section	.text._ZN2at6native12_GLOBAL__N_130CatArrayBatchedCopy_vectorizedINS1_10OpaqueTypeILj4EEEjLi2ELi128ELi1ELi16ELi4EEEvPcNS1_25CatArrInputTensorMetadataIT_T0_XT2_EXT3_EEENS1_16TensorSizeStrideIS8_Lj4EEEiS8_,"axG",@progbits,_ZN2at6native12_GLOBAL__N_130CatArrayBatchedCopy_vectorizedINS1_10OpaqueTypeILj4EEEjLi2ELi128ELi1ELi16ELi4EEEvPcNS1_25CatArrInputTensorMetadataIT_T0_XT2_EXT3_EEENS1_16TensorSizeStrideIS8_Lj4EEEiS8_,comdat
.Lfunc_end45:
	.size	_ZN2at6native12_GLOBAL__N_130CatArrayBatchedCopy_vectorizedINS1_10OpaqueTypeILj4EEEjLi2ELi128ELi1ELi16ELi4EEEvPcNS1_25CatArrInputTensorMetadataIT_T0_XT2_EXT3_EEENS1_16TensorSizeStrideIS8_Lj4EEEiS8_, .Lfunc_end45-_ZN2at6native12_GLOBAL__N_130CatArrayBatchedCopy_vectorizedINS1_10OpaqueTypeILj4EEEjLi2ELi128ELi1ELi16ELi4EEEvPcNS1_25CatArrInputTensorMetadataIT_T0_XT2_EXT3_EEENS1_16TensorSizeStrideIS8_Lj4EEEiS8_
                                        ; -- End function
	.set _ZN2at6native12_GLOBAL__N_130CatArrayBatchedCopy_vectorizedINS1_10OpaqueTypeILj4EEEjLi2ELi128ELi1ELi16ELi4EEEvPcNS1_25CatArrInputTensorMetadataIT_T0_XT2_EXT3_EEENS1_16TensorSizeStrideIS8_Lj4EEEiS8_.num_vgpr, 12
	.set _ZN2at6native12_GLOBAL__N_130CatArrayBatchedCopy_vectorizedINS1_10OpaqueTypeILj4EEEjLi2ELi128ELi1ELi16ELi4EEEvPcNS1_25CatArrInputTensorMetadataIT_T0_XT2_EXT3_EEENS1_16TensorSizeStrideIS8_Lj4EEEiS8_.num_agpr, 0
	.set _ZN2at6native12_GLOBAL__N_130CatArrayBatchedCopy_vectorizedINS1_10OpaqueTypeILj4EEEjLi2ELi128ELi1ELi16ELi4EEEvPcNS1_25CatArrInputTensorMetadataIT_T0_XT2_EXT3_EEENS1_16TensorSizeStrideIS8_Lj4EEEiS8_.numbered_sgpr, 18
	.set _ZN2at6native12_GLOBAL__N_130CatArrayBatchedCopy_vectorizedINS1_10OpaqueTypeILj4EEEjLi2ELi128ELi1ELi16ELi4EEEvPcNS1_25CatArrInputTensorMetadataIT_T0_XT2_EXT3_EEENS1_16TensorSizeStrideIS8_Lj4EEEiS8_.num_named_barrier, 0
	.set _ZN2at6native12_GLOBAL__N_130CatArrayBatchedCopy_vectorizedINS1_10OpaqueTypeILj4EEEjLi2ELi128ELi1ELi16ELi4EEEvPcNS1_25CatArrInputTensorMetadataIT_T0_XT2_EXT3_EEENS1_16TensorSizeStrideIS8_Lj4EEEiS8_.private_seg_size, 0
	.set _ZN2at6native12_GLOBAL__N_130CatArrayBatchedCopy_vectorizedINS1_10OpaqueTypeILj4EEEjLi2ELi128ELi1ELi16ELi4EEEvPcNS1_25CatArrInputTensorMetadataIT_T0_XT2_EXT3_EEENS1_16TensorSizeStrideIS8_Lj4EEEiS8_.uses_vcc, 1
	.set _ZN2at6native12_GLOBAL__N_130CatArrayBatchedCopy_vectorizedINS1_10OpaqueTypeILj4EEEjLi2ELi128ELi1ELi16ELi4EEEvPcNS1_25CatArrInputTensorMetadataIT_T0_XT2_EXT3_EEENS1_16TensorSizeStrideIS8_Lj4EEEiS8_.uses_flat_scratch, 0
	.set _ZN2at6native12_GLOBAL__N_130CatArrayBatchedCopy_vectorizedINS1_10OpaqueTypeILj4EEEjLi2ELi128ELi1ELi16ELi4EEEvPcNS1_25CatArrInputTensorMetadataIT_T0_XT2_EXT3_EEENS1_16TensorSizeStrideIS8_Lj4EEEiS8_.has_dyn_sized_stack, 0
	.set _ZN2at6native12_GLOBAL__N_130CatArrayBatchedCopy_vectorizedINS1_10OpaqueTypeILj4EEEjLi2ELi128ELi1ELi16ELi4EEEvPcNS1_25CatArrInputTensorMetadataIT_T0_XT2_EXT3_EEENS1_16TensorSizeStrideIS8_Lj4EEEiS8_.has_recursion, 0
	.set _ZN2at6native12_GLOBAL__N_130CatArrayBatchedCopy_vectorizedINS1_10OpaqueTypeILj4EEEjLi2ELi128ELi1ELi16ELi4EEEvPcNS1_25CatArrInputTensorMetadataIT_T0_XT2_EXT3_EEENS1_16TensorSizeStrideIS8_Lj4EEEiS8_.has_indirect_call, 0
	.section	.AMDGPU.csdata,"",@progbits
; Kernel info:
; codeLenInByte = 440
; TotalNumSgprs: 24
; NumVgprs: 12
; NumAgprs: 0
; TotalNumVgprs: 12
; ScratchSize: 0
; MemoryBound: 0
; FloatMode: 240
; IeeeMode: 1
; LDSByteSize: 0 bytes/workgroup (compile time only)
; SGPRBlocks: 2
; VGPRBlocks: 1
; NumSGPRsForWavesPerEU: 24
; NumVGPRsForWavesPerEU: 12
; AccumOffset: 12
; Occupancy: 8
; WaveLimiterHint : 1
; COMPUTE_PGM_RSRC2:SCRATCH_EN: 0
; COMPUTE_PGM_RSRC2:USER_SGPR: 2
; COMPUTE_PGM_RSRC2:TRAP_HANDLER: 0
; COMPUTE_PGM_RSRC2:TGID_X_EN: 1
; COMPUTE_PGM_RSRC2:TGID_Y_EN: 1
; COMPUTE_PGM_RSRC2:TGID_Z_EN: 0
; COMPUTE_PGM_RSRC2:TIDIG_COMP_CNT: 0
; COMPUTE_PGM_RSRC3_GFX90A:ACCUM_OFFSET: 2
; COMPUTE_PGM_RSRC3_GFX90A:TG_SPLIT: 0
	.section	.text._ZN2at6native12_GLOBAL__N_135CatArrayBatchedCopy_alignedK_contigINS1_10OpaqueTypeILj4EEEjLi2ELi128ELi1ELi16EEEvPT_NS1_25CatArrInputTensorMetadataIS5_T0_XT2_EXT3_EEENS1_16TensorSizeStrideIS8_Lj4EEEiS8_,"axG",@progbits,_ZN2at6native12_GLOBAL__N_135CatArrayBatchedCopy_alignedK_contigINS1_10OpaqueTypeILj4EEEjLi2ELi128ELi1ELi16EEEvPT_NS1_25CatArrInputTensorMetadataIS5_T0_XT2_EXT3_EEENS1_16TensorSizeStrideIS8_Lj4EEEiS8_,comdat
	.globl	_ZN2at6native12_GLOBAL__N_135CatArrayBatchedCopy_alignedK_contigINS1_10OpaqueTypeILj4EEEjLi2ELi128ELi1ELi16EEEvPT_NS1_25CatArrInputTensorMetadataIS5_T0_XT2_EXT3_EEENS1_16TensorSizeStrideIS8_Lj4EEEiS8_ ; -- Begin function _ZN2at6native12_GLOBAL__N_135CatArrayBatchedCopy_alignedK_contigINS1_10OpaqueTypeILj4EEEjLi2ELi128ELi1ELi16EEEvPT_NS1_25CatArrInputTensorMetadataIS5_T0_XT2_EXT3_EEENS1_16TensorSizeStrideIS8_Lj4EEEiS8_
	.p2align	8
	.type	_ZN2at6native12_GLOBAL__N_135CatArrayBatchedCopy_alignedK_contigINS1_10OpaqueTypeILj4EEEjLi2ELi128ELi1ELi16EEEvPT_NS1_25CatArrInputTensorMetadataIS5_T0_XT2_EXT3_EEENS1_16TensorSizeStrideIS8_Lj4EEEiS8_,@function
_ZN2at6native12_GLOBAL__N_135CatArrayBatchedCopy_alignedK_contigINS1_10OpaqueTypeILj4EEEjLi2ELi128ELi1ELi16EEEvPT_NS1_25CatArrInputTensorMetadataIS5_T0_XT2_EXT3_EEENS1_16TensorSizeStrideIS8_Lj4EEEiS8_: ; @_ZN2at6native12_GLOBAL__N_135CatArrayBatchedCopy_alignedK_contigINS1_10OpaqueTypeILj4EEEjLi2ELi128ELi1ELi16EEEvPT_NS1_25CatArrInputTensorMetadataIS5_T0_XT2_EXT3_EEENS1_16TensorSizeStrideIS8_Lj4EEEiS8_
; %bb.0:
	s_mov_b32 s6, s3
	s_load_dword s3, s[0:1], 0xadc
	s_add_u32 s4, s0, 0xad0
	s_mov_b32 s7, 0
	s_addc_u32 s5, s1, 0
	s_lshl_b64 s[6:7], s[6:7], 2
	s_waitcnt lgkmcnt(0)
	s_and_b32 s3, s3, 0xffff
	s_add_u32 s8, s0, s6
	s_addc_u32 s9, s1, s7
	s_load_dword s18, s[8:9], 0x808
	s_mul_i32 s2, s2, s3
	v_add_lshl_u32 v0, s2, v0, 2
	s_add_u32 s2, s8, 8
	s_addc_u32 s8, s9, 0
	s_waitcnt lgkmcnt(0)
	v_cmp_gt_u32_e32 vcc, s18, v0
	s_and_saveexec_b64 s[10:11], vcc
	s_cbranch_execz .LBB46_8
; %bb.1:
	s_add_u32 s14, s2, s6
	s_addc_u32 s15, s8, s7
	s_sub_u32 s2, 0, s6
	s_subb_u32 s6, 0, s7
	s_add_u32 s16, s14, s2
	s_addc_u32 s17, s15, s6
	s_load_dword s2, s[16:17], 0x400
	s_load_dwordx2 s[6:7], s[0:1], 0x0
	s_load_dwordx2 s[12:13], s[0:1], 0xac8
	s_load_dword s19, s[0:1], 0xaac
	s_load_dwordx2 s[8:9], s[0:1], 0xab8
	s_load_dwordx2 s[10:11], s[14:15], 0x0
	s_load_dword s20, s[16:17], 0x600
	v_add_u32_e32 v1, 4, v0
	s_mov_b64 s[14:15], 0
	s_waitcnt lgkmcnt(0)
	s_mul_i32 s13, s2, s13
	v_cmp_ge_u32_e32 vcc, s18, v1
	s_and_saveexec_b64 s[16:17], vcc
	s_cbranch_execz .LBB46_5
; %bb.2:
	s_load_dword s0, s[4:5], 0x0
	v_add_u32_e32 v3, 2, v0
	s_waitcnt lgkmcnt(0)
	s_mul_i32 s0, s0, s3
	s_lshl_b32 s21, s0, 2
	s_cmp_eq_u32 s12, 1
	s_cselect_b32 s22, s20, s19
	v_cvt_f32_u32_e32 v1, s22
	s_sub_i32 s23, 0, s22
	v_rcp_iflag_f32_e32 v2, v1
	v_mov_b32_e32 v1, 0
	v_mul_f32_e32 v2, 0x4f7ffffe, v2
	v_cvt_u32_f32_e32 v4, v2
	v_add_u32_e32 v2, 3, v0
	v_mul_lo_u32 v5, s23, v4
	v_mul_hi_u32 v5, v4, v5
	v_add_u32_e32 v4, v4, v5
	v_add_u32_e32 v5, 1, v0
.LBB46_3:                               ; =>This Inner Loop Header: Depth=1
	v_lshl_add_u64 v[6:7], v[0:1], 2, s[10:11]
	global_load_dwordx4 v[6:9], v[6:7], off
	v_mul_hi_u32 v16, v4, v0
	v_mul_hi_u32 v24, v4, v2
	;; [unrolled: 1-line block ×4, first 2 shown]
	v_add_u32_e32 v10, 1, v0
	v_add_u32_e32 v12, 2, v0
	;; [unrolled: 1-line block ×3, first 2 shown]
	v_mov_b32_e32 v11, v1
	v_mov_b32_e32 v13, v1
	;; [unrolled: 1-line block ×3, first 2 shown]
	v_not_b32_e32 v26, v16
	v_mad_u64_u32 v[18:19], s[0:1], s23, v16, v[0:1]
	v_not_b32_e32 v32, v24
	v_not_b32_e32 v30, v22
	;; [unrolled: 1-line block ×3, first 2 shown]
	v_add_u32_e32 v19, 1, v16
	v_mul_hi_u32 v34, v10, v4
	v_mad_u64_u32 v[20:21], s[0:1], s23, v20, v[10:11]
	v_mad_u64_u32 v[22:23], s[0:1], s23, v22, v[12:13]
	v_mad_u64_u32 v[24:25], s[0:1], s23, v24, v[14:15]
	v_cmp_le_u32_e32 vcc, s22, v18
	v_mad_u64_u32 v[26:27], s[0:1], s22, v26, v[0:1]
	v_mul_hi_u32 v21, v12, v4
	v_mul_hi_u32 v23, v14, v4
	v_cndmask_b32_e32 v16, v16, v19, vcc
	v_add_u32_e32 v19, 1, v34
	v_cmp_le_u32_e64 s[0:1], s22, v20
	v_mad_u64_u32 v[28:29], s[2:3], s22, v28, v[10:11]
	v_mad_u64_u32 v[30:31], s[4:5], s22, v30, v[12:13]
	v_cndmask_b32_e32 v18, v18, v26, vcc
	v_add_u32_e32 v10, 1, v21
	v_cmp_le_u32_e64 s[2:3], s22, v22
	v_add_u32_e32 v25, 1, v23
	v_cmp_le_u32_e64 s[4:5], s22, v24
	v_mad_u64_u32 v[32:33], s[24:25], s22, v32, v[14:15]
	v_add_u32_e32 v26, 1, v16
	v_cndmask_b32_e64 v27, v34, v19, s[0:1]
	v_cndmask_b32_e64 v19, v20, v28, s[0:1]
	v_cmp_le_u32_e32 vcc, s22, v18
	v_cndmask_b32_e64 v10, v21, v10, s[2:3]
	v_cndmask_b32_e64 v20, v22, v30, s[2:3]
	;; [unrolled: 1-line block ×4, first 2 shown]
	v_cndmask_b32_e32 v16, v16, v26, vcc
	v_add_u32_e32 v23, 1, v27
	v_cmp_le_u32_e32 vcc, s22, v19
	v_add_u32_e32 v24, 1, v10
	v_cmp_le_u32_e64 s[0:1], s22, v20
	v_add_u32_e32 v20, 1, v21
	v_cmp_le_u32_e64 s[2:3], s22, v22
	v_mad_u64_u32 v[18:19], s[4:5], s23, v16, v[0:1]
	v_cndmask_b32_e32 v22, v27, v23, vcc
	v_cndmask_b32_e64 v10, v10, v24, s[0:1]
	v_cndmask_b32_e64 v24, v21, v20, s[2:3]
	v_mul_lo_u32 v25, v18, s9
	v_mad_u64_u32 v[18:19], s[0:1], s23, v22, v[0:1]
	v_mul_lo_u32 v19, v22, s8
	v_mad_u64_u32 v[20:21], s[0:1], s23, v10, v[12:13]
	v_mad_u64_u32 v[22:23], s[0:1], s23, v24, v[14:15]
	v_add_u32_e32 v0, s21, v0
	v_mul_lo_u32 v16, v16, s8
	v_mul_lo_u32 v14, s9, v18
	;; [unrolled: 1-line block ×4, first 2 shown]
	v_add_u32_e32 v22, 4, v0
	v_mul_lo_u32 v12, v10, s8
	v_mul_lo_u32 v21, v24, s8
	v_add3_u32 v10, v25, v16, s13
	v_add_u32_e32 v23, s9, v14
	v_cmp_lt_u32_e32 vcc, s18, v22
	v_mov_b32_e32 v17, v1
	v_add_u32_e32 v2, s21, v2
	v_add_u32_e32 v3, s21, v3
	;; [unrolled: 1-line block ×3, first 2 shown]
	v_lshl_add_u64 v[10:11], v[10:11], 2, s[6:7]
	v_add3_u32 v14, v18, v12, s13
	v_add3_u32 v16, v20, v21, s13
	;; [unrolled: 1-line block ×3, first 2 shown]
	s_or_b64 s[14:15], vcc, s[14:15]
	v_lshl_add_u64 v[14:15], v[14:15], 2, s[6:7]
	v_lshl_add_u64 v[16:17], v[16:17], 2, s[6:7]
	v_lshl_add_u64 v[12:13], v[12:13], 2, s[6:7]
	s_waitcnt vmcnt(0)
	global_store_dword v[10:11], v6, off
	global_store_dword v[12:13], v7, off
	;; [unrolled: 1-line block ×4, first 2 shown]
	s_andn2_b64 exec, exec, s[14:15]
	s_cbranch_execnz .LBB46_3
; %bb.4:
	s_or_b64 exec, exec, s[14:15]
.LBB46_5:
	s_or_b64 exec, exec, s[16:17]
	v_cmp_gt_u32_e32 vcc, s18, v0
	s_and_b64 exec, exec, vcc
	s_cbranch_execz .LBB46_8
; %bb.6:
	s_cmp_eq_u32 s12, 1
	s_cselect_b32 s2, s20, s19
	v_cvt_f32_u32_e32 v1, s2
	v_mov_b32_e32 v3, 0
	s_sub_i32 s3, 0, s2
	v_mov_b32_e32 v5, v3
	v_rcp_iflag_f32_e32 v1, v1
	s_nop 0
	v_mul_f32_e32 v1, 0x4f7ffffe, v1
	v_cvt_u32_f32_e32 v2, v1
	v_mov_b32_e32 v1, v3
	v_lshl_add_u64 v[6:7], v[0:1], 2, s[10:11]
	v_mul_lo_u32 v1, s3, v2
	v_mul_hi_u32 v1, v2, v1
	v_add_u32_e32 v4, v2, v1
	v_mad_u64_u32 v[8:9], s[0:1], v0, v4, 0
	s_mov_b64 s[0:1], 0
.LBB46_7:                               ; =>This Inner Loop Header: Depth=1
	global_load_dword v1, v[6:7], off
	v_mul_lo_u32 v2, s2, v9
	v_not_b32_e32 v10, v9
	v_sub_u32_e32 v2, v0, v2
	v_add_u32_e32 v12, 1, v9
	v_cmp_le_u32_e32 vcc, s2, v2
	v_lshl_add_u64 v[6:7], v[6:7], 0, 4
	s_waitcnt vmcnt(0)
	v_mad_u64_u32 v[10:11], s[4:5], s2, v10, v[0:1]
	v_cndmask_b32_e32 v11, v9, v12, vcc
	v_cndmask_b32_e32 v2, v2, v10, vcc
	v_add_u32_e32 v10, 1, v11
	v_cmp_le_u32_e32 vcc, s2, v2
	v_lshl_add_u64 v[8:9], v[8:9], 0, v[4:5]
	s_nop 0
	v_cndmask_b32_e32 v2, v11, v10, vcc
	v_mad_u64_u32 v[10:11], s[4:5], s3, v2, v[0:1]
	v_mul_lo_u32 v2, v2, s8
	v_add_u32_e32 v0, 1, v0
	v_mul_lo_u32 v10, v10, s9
	v_cmp_le_u32_e32 vcc, s18, v0
	v_add3_u32 v2, v10, v2, s13
	s_or_b64 s[0:1], vcc, s[0:1]
	v_lshl_add_u64 v[10:11], v[2:3], 2, s[6:7]
	global_store_dword v[10:11], v1, off
	s_andn2_b64 exec, exec, s[0:1]
	s_cbranch_execnz .LBB46_7
.LBB46_8:
	s_endpgm
	.section	.rodata,"a",@progbits
	.p2align	6, 0x0
	.amdhsa_kernel _ZN2at6native12_GLOBAL__N_135CatArrayBatchedCopy_alignedK_contigINS1_10OpaqueTypeILj4EEEjLi2ELi128ELi1ELi16EEEvPT_NS1_25CatArrInputTensorMetadataIS5_T0_XT2_EXT3_EEENS1_16TensorSizeStrideIS8_Lj4EEEiS8_
		.amdhsa_group_segment_fixed_size 0
		.amdhsa_private_segment_fixed_size 0
		.amdhsa_kernarg_size 3024
		.amdhsa_user_sgpr_count 2
		.amdhsa_user_sgpr_dispatch_ptr 0
		.amdhsa_user_sgpr_queue_ptr 0
		.amdhsa_user_sgpr_kernarg_segment_ptr 1
		.amdhsa_user_sgpr_dispatch_id 0
		.amdhsa_user_sgpr_kernarg_preload_length 0
		.amdhsa_user_sgpr_kernarg_preload_offset 0
		.amdhsa_user_sgpr_private_segment_size 0
		.amdhsa_uses_dynamic_stack 0
		.amdhsa_enable_private_segment 0
		.amdhsa_system_sgpr_workgroup_id_x 1
		.amdhsa_system_sgpr_workgroup_id_y 1
		.amdhsa_system_sgpr_workgroup_id_z 0
		.amdhsa_system_sgpr_workgroup_info 0
		.amdhsa_system_vgpr_workitem_id 0
		.amdhsa_next_free_vgpr 35
		.amdhsa_next_free_sgpr 26
		.amdhsa_accum_offset 36
		.amdhsa_reserve_vcc 1
		.amdhsa_float_round_mode_32 0
		.amdhsa_float_round_mode_16_64 0
		.amdhsa_float_denorm_mode_32 3
		.amdhsa_float_denorm_mode_16_64 3
		.amdhsa_dx10_clamp 1
		.amdhsa_ieee_mode 1
		.amdhsa_fp16_overflow 0
		.amdhsa_tg_split 0
		.amdhsa_exception_fp_ieee_invalid_op 0
		.amdhsa_exception_fp_denorm_src 0
		.amdhsa_exception_fp_ieee_div_zero 0
		.amdhsa_exception_fp_ieee_overflow 0
		.amdhsa_exception_fp_ieee_underflow 0
		.amdhsa_exception_fp_ieee_inexact 0
		.amdhsa_exception_int_div_zero 0
	.end_amdhsa_kernel
	.section	.text._ZN2at6native12_GLOBAL__N_135CatArrayBatchedCopy_alignedK_contigINS1_10OpaqueTypeILj4EEEjLi2ELi128ELi1ELi16EEEvPT_NS1_25CatArrInputTensorMetadataIS5_T0_XT2_EXT3_EEENS1_16TensorSizeStrideIS8_Lj4EEEiS8_,"axG",@progbits,_ZN2at6native12_GLOBAL__N_135CatArrayBatchedCopy_alignedK_contigINS1_10OpaqueTypeILj4EEEjLi2ELi128ELi1ELi16EEEvPT_NS1_25CatArrInputTensorMetadataIS5_T0_XT2_EXT3_EEENS1_16TensorSizeStrideIS8_Lj4EEEiS8_,comdat
.Lfunc_end46:
	.size	_ZN2at6native12_GLOBAL__N_135CatArrayBatchedCopy_alignedK_contigINS1_10OpaqueTypeILj4EEEjLi2ELi128ELi1ELi16EEEvPT_NS1_25CatArrInputTensorMetadataIS5_T0_XT2_EXT3_EEENS1_16TensorSizeStrideIS8_Lj4EEEiS8_, .Lfunc_end46-_ZN2at6native12_GLOBAL__N_135CatArrayBatchedCopy_alignedK_contigINS1_10OpaqueTypeILj4EEEjLi2ELi128ELi1ELi16EEEvPT_NS1_25CatArrInputTensorMetadataIS5_T0_XT2_EXT3_EEENS1_16TensorSizeStrideIS8_Lj4EEEiS8_
                                        ; -- End function
	.set _ZN2at6native12_GLOBAL__N_135CatArrayBatchedCopy_alignedK_contigINS1_10OpaqueTypeILj4EEEjLi2ELi128ELi1ELi16EEEvPT_NS1_25CatArrInputTensorMetadataIS5_T0_XT2_EXT3_EEENS1_16TensorSizeStrideIS8_Lj4EEEiS8_.num_vgpr, 35
	.set _ZN2at6native12_GLOBAL__N_135CatArrayBatchedCopy_alignedK_contigINS1_10OpaqueTypeILj4EEEjLi2ELi128ELi1ELi16EEEvPT_NS1_25CatArrInputTensorMetadataIS5_T0_XT2_EXT3_EEENS1_16TensorSizeStrideIS8_Lj4EEEiS8_.num_agpr, 0
	.set _ZN2at6native12_GLOBAL__N_135CatArrayBatchedCopy_alignedK_contigINS1_10OpaqueTypeILj4EEEjLi2ELi128ELi1ELi16EEEvPT_NS1_25CatArrInputTensorMetadataIS5_T0_XT2_EXT3_EEENS1_16TensorSizeStrideIS8_Lj4EEEiS8_.numbered_sgpr, 26
	.set _ZN2at6native12_GLOBAL__N_135CatArrayBatchedCopy_alignedK_contigINS1_10OpaqueTypeILj4EEEjLi2ELi128ELi1ELi16EEEvPT_NS1_25CatArrInputTensorMetadataIS5_T0_XT2_EXT3_EEENS1_16TensorSizeStrideIS8_Lj4EEEiS8_.num_named_barrier, 0
	.set _ZN2at6native12_GLOBAL__N_135CatArrayBatchedCopy_alignedK_contigINS1_10OpaqueTypeILj4EEEjLi2ELi128ELi1ELi16EEEvPT_NS1_25CatArrInputTensorMetadataIS5_T0_XT2_EXT3_EEENS1_16TensorSizeStrideIS8_Lj4EEEiS8_.private_seg_size, 0
	.set _ZN2at6native12_GLOBAL__N_135CatArrayBatchedCopy_alignedK_contigINS1_10OpaqueTypeILj4EEEjLi2ELi128ELi1ELi16EEEvPT_NS1_25CatArrInputTensorMetadataIS5_T0_XT2_EXT3_EEENS1_16TensorSizeStrideIS8_Lj4EEEiS8_.uses_vcc, 1
	.set _ZN2at6native12_GLOBAL__N_135CatArrayBatchedCopy_alignedK_contigINS1_10OpaqueTypeILj4EEEjLi2ELi128ELi1ELi16EEEvPT_NS1_25CatArrInputTensorMetadataIS5_T0_XT2_EXT3_EEENS1_16TensorSizeStrideIS8_Lj4EEEiS8_.uses_flat_scratch, 0
	.set _ZN2at6native12_GLOBAL__N_135CatArrayBatchedCopy_alignedK_contigINS1_10OpaqueTypeILj4EEEjLi2ELi128ELi1ELi16EEEvPT_NS1_25CatArrInputTensorMetadataIS5_T0_XT2_EXT3_EEENS1_16TensorSizeStrideIS8_Lj4EEEiS8_.has_dyn_sized_stack, 0
	.set _ZN2at6native12_GLOBAL__N_135CatArrayBatchedCopy_alignedK_contigINS1_10OpaqueTypeILj4EEEjLi2ELi128ELi1ELi16EEEvPT_NS1_25CatArrInputTensorMetadataIS5_T0_XT2_EXT3_EEENS1_16TensorSizeStrideIS8_Lj4EEEiS8_.has_recursion, 0
	.set _ZN2at6native12_GLOBAL__N_135CatArrayBatchedCopy_alignedK_contigINS1_10OpaqueTypeILj4EEEjLi2ELi128ELi1ELi16EEEvPT_NS1_25CatArrInputTensorMetadataIS5_T0_XT2_EXT3_EEENS1_16TensorSizeStrideIS8_Lj4EEEiS8_.has_indirect_call, 0
	.section	.AMDGPU.csdata,"",@progbits
; Kernel info:
; codeLenInByte = 1136
; TotalNumSgprs: 32
; NumVgprs: 35
; NumAgprs: 0
; TotalNumVgprs: 35
; ScratchSize: 0
; MemoryBound: 0
; FloatMode: 240
; IeeeMode: 1
; LDSByteSize: 0 bytes/workgroup (compile time only)
; SGPRBlocks: 3
; VGPRBlocks: 4
; NumSGPRsForWavesPerEU: 32
; NumVGPRsForWavesPerEU: 35
; AccumOffset: 36
; Occupancy: 8
; WaveLimiterHint : 1
; COMPUTE_PGM_RSRC2:SCRATCH_EN: 0
; COMPUTE_PGM_RSRC2:USER_SGPR: 2
; COMPUTE_PGM_RSRC2:TRAP_HANDLER: 0
; COMPUTE_PGM_RSRC2:TGID_X_EN: 1
; COMPUTE_PGM_RSRC2:TGID_Y_EN: 1
; COMPUTE_PGM_RSRC2:TGID_Z_EN: 0
; COMPUTE_PGM_RSRC2:TIDIG_COMP_CNT: 0
; COMPUTE_PGM_RSRC3_GFX90A:ACCUM_OFFSET: 8
; COMPUTE_PGM_RSRC3_GFX90A:TG_SPLIT: 0
	.section	.text._ZN2at6native12_GLOBAL__N_135CatArrayBatchedCopy_alignedK_contigINS1_10OpaqueTypeILj4EEEjLi2ELi128ELi1ELi8EEEvPT_NS1_25CatArrInputTensorMetadataIS5_T0_XT2_EXT3_EEENS1_16TensorSizeStrideIS8_Lj4EEEiS8_,"axG",@progbits,_ZN2at6native12_GLOBAL__N_135CatArrayBatchedCopy_alignedK_contigINS1_10OpaqueTypeILj4EEEjLi2ELi128ELi1ELi8EEEvPT_NS1_25CatArrInputTensorMetadataIS5_T0_XT2_EXT3_EEENS1_16TensorSizeStrideIS8_Lj4EEEiS8_,comdat
	.globl	_ZN2at6native12_GLOBAL__N_135CatArrayBatchedCopy_alignedK_contigINS1_10OpaqueTypeILj4EEEjLi2ELi128ELi1ELi8EEEvPT_NS1_25CatArrInputTensorMetadataIS5_T0_XT2_EXT3_EEENS1_16TensorSizeStrideIS8_Lj4EEEiS8_ ; -- Begin function _ZN2at6native12_GLOBAL__N_135CatArrayBatchedCopy_alignedK_contigINS1_10OpaqueTypeILj4EEEjLi2ELi128ELi1ELi8EEEvPT_NS1_25CatArrInputTensorMetadataIS5_T0_XT2_EXT3_EEENS1_16TensorSizeStrideIS8_Lj4EEEiS8_
	.p2align	8
	.type	_ZN2at6native12_GLOBAL__N_135CatArrayBatchedCopy_alignedK_contigINS1_10OpaqueTypeILj4EEEjLi2ELi128ELi1ELi8EEEvPT_NS1_25CatArrInputTensorMetadataIS5_T0_XT2_EXT3_EEENS1_16TensorSizeStrideIS8_Lj4EEEiS8_,@function
_ZN2at6native12_GLOBAL__N_135CatArrayBatchedCopy_alignedK_contigINS1_10OpaqueTypeILj4EEEjLi2ELi128ELi1ELi8EEEvPT_NS1_25CatArrInputTensorMetadataIS5_T0_XT2_EXT3_EEENS1_16TensorSizeStrideIS8_Lj4EEEiS8_: ; @_ZN2at6native12_GLOBAL__N_135CatArrayBatchedCopy_alignedK_contigINS1_10OpaqueTypeILj4EEEjLi2ELi128ELi1ELi8EEEvPT_NS1_25CatArrInputTensorMetadataIS5_T0_XT2_EXT3_EEENS1_16TensorSizeStrideIS8_Lj4EEEiS8_
; %bb.0:
	s_mov_b32 s4, s3
	s_load_dword s3, s[0:1], 0xadc
	s_add_u32 s14, s0, 0xad0
	s_mov_b32 s5, 0
	s_addc_u32 s15, s1, 0
	s_lshl_b64 s[4:5], s[4:5], 2
	s_waitcnt lgkmcnt(0)
	s_and_b32 s19, s3, 0xffff
	s_add_u32 s6, s0, s4
	s_addc_u32 s7, s1, s5
	s_load_dword s16, s[6:7], 0x808
	s_mul_i32 s2, s2, s19
	v_add_lshl_u32 v0, s2, v0, 1
	s_add_u32 s2, s6, 8
	s_addc_u32 s3, s7, 0
	s_waitcnt lgkmcnt(0)
	v_cmp_gt_u32_e32 vcc, s16, v0
	s_and_saveexec_b64 s[6:7], vcc
	s_cbranch_execz .LBB47_8
; %bb.1:
	s_add_u32 s10, s2, s4
	s_addc_u32 s11, s3, s5
	s_sub_u32 s2, 0, s4
	s_subb_u32 s3, 0, s5
	s_add_u32 s12, s10, s2
	s_addc_u32 s13, s11, s3
	s_load_dword s20, s[12:13], 0x400
	s_load_dwordx2 s[2:3], s[0:1], 0x0
	s_load_dwordx2 s[8:9], s[0:1], 0xac8
	s_load_dword s17, s[0:1], 0xaac
	s_load_dwordx2 s[4:5], s[0:1], 0xab8
	s_load_dwordx2 s[6:7], s[10:11], 0x0
	s_load_dword s18, s[12:13], 0x600
	v_add_u32_e32 v1, 2, v0
	s_mov_b64 s[10:11], 0
	s_waitcnt lgkmcnt(0)
	s_mul_i32 s9, s20, s9
	v_cmp_ge_u32_e32 vcc, s16, v1
	s_and_saveexec_b64 s[12:13], vcc
	s_cbranch_execz .LBB47_5
; %bb.2:
	s_load_dword s0, s[14:15], 0x0
	s_waitcnt lgkmcnt(0)
	s_mul_i32 s0, s0, s19
	s_lshl_b32 s14, s0, 1
	s_cmp_eq_u32 s8, 1
	s_cselect_b32 s15, s18, s17
	v_cvt_f32_u32_e32 v1, s15
	s_sub_i32 s19, 0, s15
	v_rcp_iflag_f32_e32 v1, v1
	s_nop 0
	v_mul_f32_e32 v1, 0x4f7ffffe, v1
	v_cvt_u32_f32_e32 v2, v1
	v_mov_b32_e32 v1, 0
	v_mul_lo_u32 v3, s19, v2
	v_mul_hi_u32 v3, v2, v3
	v_add_u32_e32 v2, v2, v3
	v_add_u32_e32 v3, 1, v0
.LBB47_3:                               ; =>This Inner Loop Header: Depth=1
	v_lshl_add_u64 v[4:5], v[0:1], 2, s[6:7]
	global_load_dwordx2 v[4:5], v[4:5], off
	v_mul_hi_u32 v8, v2, v0
	v_mul_hi_u32 v12, v2, v3
	v_add_u32_e32 v6, 1, v0
	v_mov_b32_e32 v7, v1
	v_not_b32_e32 v14, v8
	v_mad_u64_u32 v[10:11], s[0:1], s19, v8, v[0:1]
	v_not_b32_e32 v16, v12
	v_add_u32_e32 v11, 1, v8
	v_mul_hi_u32 v18, v6, v2
	v_mad_u64_u32 v[12:13], s[0:1], s19, v12, v[6:7]
	v_cmp_le_u32_e32 vcc, s15, v10
	v_mad_u64_u32 v[14:15], s[0:1], s15, v14, v[0:1]
	s_nop 0
	v_cndmask_b32_e32 v8, v8, v11, vcc
	v_add_u32_e32 v11, 1, v18
	v_cmp_le_u32_e64 s[0:1], s15, v12
	v_mad_u64_u32 v[16:17], s[20:21], s15, v16, v[6:7]
	v_cndmask_b32_e32 v6, v10, v14, vcc
	v_add_u32_e32 v10, 1, v8
	v_cndmask_b32_e64 v13, v18, v11, s[0:1]
	v_cndmask_b32_e64 v11, v12, v16, s[0:1]
	v_cmp_le_u32_e32 vcc, s15, v6
	v_mov_b32_e32 v9, v1
	v_add_u32_e32 v3, s14, v3
	v_cndmask_b32_e32 v6, v8, v10, vcc
	v_add_u32_e32 v8, 1, v13
	v_cmp_le_u32_e32 vcc, s15, v11
	v_mad_u64_u32 v[10:11], s[0:1], s19, v6, v[0:1]
	s_nop 0
	v_cndmask_b32_e32 v8, v13, v8, vcc
	v_mul_lo_u32 v12, v10, s5
	v_mad_u64_u32 v[10:11], s[0:1], s19, v8, v[0:1]
	v_add_u32_e32 v0, s14, v0
	v_mul_lo_u32 v6, v6, s4
	v_mul_lo_u32 v10, s5, v10
	v_add_u32_e32 v11, 2, v0
	v_mul_lo_u32 v8, v8, s4
	v_add3_u32 v6, v12, v6, s9
	v_add_u32_e32 v10, s5, v10
	v_cmp_lt_u32_e32 vcc, s16, v11
	v_lshl_add_u64 v[6:7], v[6:7], 2, s[2:3]
	v_add3_u32 v8, v10, v8, s9
	s_or_b64 s[10:11], vcc, s[10:11]
	v_lshl_add_u64 v[8:9], v[8:9], 2, s[2:3]
	s_waitcnt vmcnt(0)
	global_store_dword v[6:7], v4, off
	global_store_dword v[8:9], v5, off
	s_andn2_b64 exec, exec, s[10:11]
	s_cbranch_execnz .LBB47_3
; %bb.4:
	s_or_b64 exec, exec, s[10:11]
.LBB47_5:
	s_or_b64 exec, exec, s[12:13]
	v_cmp_gt_u32_e32 vcc, s16, v0
	s_and_b64 exec, exec, vcc
	s_cbranch_execz .LBB47_8
; %bb.6:
	s_cmp_eq_u32 s8, 1
	s_cselect_b32 s8, s18, s17
	v_cvt_f32_u32_e32 v1, s8
	v_mov_b32_e32 v3, 0
	s_sub_i32 s10, 0, s8
	v_mov_b32_e32 v5, v3
	v_rcp_iflag_f32_e32 v1, v1
	s_nop 0
	v_mul_f32_e32 v1, 0x4f7ffffe, v1
	v_cvt_u32_f32_e32 v2, v1
	v_mov_b32_e32 v1, v3
	v_lshl_add_u64 v[6:7], v[0:1], 2, s[6:7]
	v_mul_lo_u32 v1, s10, v2
	v_mul_hi_u32 v1, v2, v1
	v_add_u32_e32 v4, v2, v1
	v_mad_u64_u32 v[8:9], s[0:1], v0, v4, 0
	s_mov_b64 s[0:1], 0
.LBB47_7:                               ; =>This Inner Loop Header: Depth=1
	global_load_dword v1, v[6:7], off
	v_mul_lo_u32 v2, s8, v9
	v_not_b32_e32 v10, v9
	v_sub_u32_e32 v2, v0, v2
	v_add_u32_e32 v12, 1, v9
	v_cmp_le_u32_e32 vcc, s8, v2
	v_lshl_add_u64 v[6:7], v[6:7], 0, 4
	s_waitcnt vmcnt(0)
	v_mad_u64_u32 v[10:11], s[6:7], s8, v10, v[0:1]
	v_cndmask_b32_e32 v11, v9, v12, vcc
	v_cndmask_b32_e32 v2, v2, v10, vcc
	v_add_u32_e32 v10, 1, v11
	v_cmp_le_u32_e32 vcc, s8, v2
	v_lshl_add_u64 v[8:9], v[8:9], 0, v[4:5]
	s_nop 0
	v_cndmask_b32_e32 v2, v11, v10, vcc
	v_mad_u64_u32 v[10:11], s[6:7], s10, v2, v[0:1]
	v_mul_lo_u32 v2, v2, s4
	v_add_u32_e32 v0, 1, v0
	v_mul_lo_u32 v10, v10, s5
	v_cmp_le_u32_e32 vcc, s16, v0
	v_add3_u32 v2, v10, v2, s9
	s_or_b64 s[0:1], vcc, s[0:1]
	v_lshl_add_u64 v[10:11], v[2:3], 2, s[2:3]
	global_store_dword v[10:11], v1, off
	s_andn2_b64 exec, exec, s[0:1]
	s_cbranch_execnz .LBB47_7
.LBB47_8:
	s_endpgm
	.section	.rodata,"a",@progbits
	.p2align	6, 0x0
	.amdhsa_kernel _ZN2at6native12_GLOBAL__N_135CatArrayBatchedCopy_alignedK_contigINS1_10OpaqueTypeILj4EEEjLi2ELi128ELi1ELi8EEEvPT_NS1_25CatArrInputTensorMetadataIS5_T0_XT2_EXT3_EEENS1_16TensorSizeStrideIS8_Lj4EEEiS8_
		.amdhsa_group_segment_fixed_size 0
		.amdhsa_private_segment_fixed_size 0
		.amdhsa_kernarg_size 3024
		.amdhsa_user_sgpr_count 2
		.amdhsa_user_sgpr_dispatch_ptr 0
		.amdhsa_user_sgpr_queue_ptr 0
		.amdhsa_user_sgpr_kernarg_segment_ptr 1
		.amdhsa_user_sgpr_dispatch_id 0
		.amdhsa_user_sgpr_kernarg_preload_length 0
		.amdhsa_user_sgpr_kernarg_preload_offset 0
		.amdhsa_user_sgpr_private_segment_size 0
		.amdhsa_uses_dynamic_stack 0
		.amdhsa_enable_private_segment 0
		.amdhsa_system_sgpr_workgroup_id_x 1
		.amdhsa_system_sgpr_workgroup_id_y 1
		.amdhsa_system_sgpr_workgroup_id_z 0
		.amdhsa_system_sgpr_workgroup_info 0
		.amdhsa_system_vgpr_workitem_id 0
		.amdhsa_next_free_vgpr 19
		.amdhsa_next_free_sgpr 22
		.amdhsa_accum_offset 20
		.amdhsa_reserve_vcc 1
		.amdhsa_float_round_mode_32 0
		.amdhsa_float_round_mode_16_64 0
		.amdhsa_float_denorm_mode_32 3
		.amdhsa_float_denorm_mode_16_64 3
		.amdhsa_dx10_clamp 1
		.amdhsa_ieee_mode 1
		.amdhsa_fp16_overflow 0
		.amdhsa_tg_split 0
		.amdhsa_exception_fp_ieee_invalid_op 0
		.amdhsa_exception_fp_denorm_src 0
		.amdhsa_exception_fp_ieee_div_zero 0
		.amdhsa_exception_fp_ieee_overflow 0
		.amdhsa_exception_fp_ieee_underflow 0
		.amdhsa_exception_fp_ieee_inexact 0
		.amdhsa_exception_int_div_zero 0
	.end_amdhsa_kernel
	.section	.text._ZN2at6native12_GLOBAL__N_135CatArrayBatchedCopy_alignedK_contigINS1_10OpaqueTypeILj4EEEjLi2ELi128ELi1ELi8EEEvPT_NS1_25CatArrInputTensorMetadataIS5_T0_XT2_EXT3_EEENS1_16TensorSizeStrideIS8_Lj4EEEiS8_,"axG",@progbits,_ZN2at6native12_GLOBAL__N_135CatArrayBatchedCopy_alignedK_contigINS1_10OpaqueTypeILj4EEEjLi2ELi128ELi1ELi8EEEvPT_NS1_25CatArrInputTensorMetadataIS5_T0_XT2_EXT3_EEENS1_16TensorSizeStrideIS8_Lj4EEEiS8_,comdat
.Lfunc_end47:
	.size	_ZN2at6native12_GLOBAL__N_135CatArrayBatchedCopy_alignedK_contigINS1_10OpaqueTypeILj4EEEjLi2ELi128ELi1ELi8EEEvPT_NS1_25CatArrInputTensorMetadataIS5_T0_XT2_EXT3_EEENS1_16TensorSizeStrideIS8_Lj4EEEiS8_, .Lfunc_end47-_ZN2at6native12_GLOBAL__N_135CatArrayBatchedCopy_alignedK_contigINS1_10OpaqueTypeILj4EEEjLi2ELi128ELi1ELi8EEEvPT_NS1_25CatArrInputTensorMetadataIS5_T0_XT2_EXT3_EEENS1_16TensorSizeStrideIS8_Lj4EEEiS8_
                                        ; -- End function
	.set _ZN2at6native12_GLOBAL__N_135CatArrayBatchedCopy_alignedK_contigINS1_10OpaqueTypeILj4EEEjLi2ELi128ELi1ELi8EEEvPT_NS1_25CatArrInputTensorMetadataIS5_T0_XT2_EXT3_EEENS1_16TensorSizeStrideIS8_Lj4EEEiS8_.num_vgpr, 19
	.set _ZN2at6native12_GLOBAL__N_135CatArrayBatchedCopy_alignedK_contigINS1_10OpaqueTypeILj4EEEjLi2ELi128ELi1ELi8EEEvPT_NS1_25CatArrInputTensorMetadataIS5_T0_XT2_EXT3_EEENS1_16TensorSizeStrideIS8_Lj4EEEiS8_.num_agpr, 0
	.set _ZN2at6native12_GLOBAL__N_135CatArrayBatchedCopy_alignedK_contigINS1_10OpaqueTypeILj4EEEjLi2ELi128ELi1ELi8EEEvPT_NS1_25CatArrInputTensorMetadataIS5_T0_XT2_EXT3_EEENS1_16TensorSizeStrideIS8_Lj4EEEiS8_.numbered_sgpr, 22
	.set _ZN2at6native12_GLOBAL__N_135CatArrayBatchedCopy_alignedK_contigINS1_10OpaqueTypeILj4EEEjLi2ELi128ELi1ELi8EEEvPT_NS1_25CatArrInputTensorMetadataIS5_T0_XT2_EXT3_EEENS1_16TensorSizeStrideIS8_Lj4EEEiS8_.num_named_barrier, 0
	.set _ZN2at6native12_GLOBAL__N_135CatArrayBatchedCopy_alignedK_contigINS1_10OpaqueTypeILj4EEEjLi2ELi128ELi1ELi8EEEvPT_NS1_25CatArrInputTensorMetadataIS5_T0_XT2_EXT3_EEENS1_16TensorSizeStrideIS8_Lj4EEEiS8_.private_seg_size, 0
	.set _ZN2at6native12_GLOBAL__N_135CatArrayBatchedCopy_alignedK_contigINS1_10OpaqueTypeILj4EEEjLi2ELi128ELi1ELi8EEEvPT_NS1_25CatArrInputTensorMetadataIS5_T0_XT2_EXT3_EEENS1_16TensorSizeStrideIS8_Lj4EEEiS8_.uses_vcc, 1
	.set _ZN2at6native12_GLOBAL__N_135CatArrayBatchedCopy_alignedK_contigINS1_10OpaqueTypeILj4EEEjLi2ELi128ELi1ELi8EEEvPT_NS1_25CatArrInputTensorMetadataIS5_T0_XT2_EXT3_EEENS1_16TensorSizeStrideIS8_Lj4EEEiS8_.uses_flat_scratch, 0
	.set _ZN2at6native12_GLOBAL__N_135CatArrayBatchedCopy_alignedK_contigINS1_10OpaqueTypeILj4EEEjLi2ELi128ELi1ELi8EEEvPT_NS1_25CatArrInputTensorMetadataIS5_T0_XT2_EXT3_EEENS1_16TensorSizeStrideIS8_Lj4EEEiS8_.has_dyn_sized_stack, 0
	.set _ZN2at6native12_GLOBAL__N_135CatArrayBatchedCopy_alignedK_contigINS1_10OpaqueTypeILj4EEEjLi2ELi128ELi1ELi8EEEvPT_NS1_25CatArrInputTensorMetadataIS5_T0_XT2_EXT3_EEENS1_16TensorSizeStrideIS8_Lj4EEEiS8_.has_recursion, 0
	.set _ZN2at6native12_GLOBAL__N_135CatArrayBatchedCopy_alignedK_contigINS1_10OpaqueTypeILj4EEEjLi2ELi128ELi1ELi8EEEvPT_NS1_25CatArrInputTensorMetadataIS5_T0_XT2_EXT3_EEENS1_16TensorSizeStrideIS8_Lj4EEEiS8_.has_indirect_call, 0
	.section	.AMDGPU.csdata,"",@progbits
; Kernel info:
; codeLenInByte = 852
; TotalNumSgprs: 28
; NumVgprs: 19
; NumAgprs: 0
; TotalNumVgprs: 19
; ScratchSize: 0
; MemoryBound: 0
; FloatMode: 240
; IeeeMode: 1
; LDSByteSize: 0 bytes/workgroup (compile time only)
; SGPRBlocks: 3
; VGPRBlocks: 2
; NumSGPRsForWavesPerEU: 28
; NumVGPRsForWavesPerEU: 19
; AccumOffset: 20
; Occupancy: 8
; WaveLimiterHint : 1
; COMPUTE_PGM_RSRC2:SCRATCH_EN: 0
; COMPUTE_PGM_RSRC2:USER_SGPR: 2
; COMPUTE_PGM_RSRC2:TRAP_HANDLER: 0
; COMPUTE_PGM_RSRC2:TGID_X_EN: 1
; COMPUTE_PGM_RSRC2:TGID_Y_EN: 1
; COMPUTE_PGM_RSRC2:TGID_Z_EN: 0
; COMPUTE_PGM_RSRC2:TIDIG_COMP_CNT: 0
; COMPUTE_PGM_RSRC3_GFX90A:ACCUM_OFFSET: 4
; COMPUTE_PGM_RSRC3_GFX90A:TG_SPLIT: 0
	.section	.text._ZN2at6native12_GLOBAL__N_126CatArrayBatchedCopy_contigINS1_10OpaqueTypeILj4EEEjLi2ELi128ELi1EEEvPT_NS1_25CatArrInputTensorMetadataIS5_T0_XT2_EXT3_EEENS1_16TensorSizeStrideIS8_Lj4EEEiS8_,"axG",@progbits,_ZN2at6native12_GLOBAL__N_126CatArrayBatchedCopy_contigINS1_10OpaqueTypeILj4EEEjLi2ELi128ELi1EEEvPT_NS1_25CatArrInputTensorMetadataIS5_T0_XT2_EXT3_EEENS1_16TensorSizeStrideIS8_Lj4EEEiS8_,comdat
	.globl	_ZN2at6native12_GLOBAL__N_126CatArrayBatchedCopy_contigINS1_10OpaqueTypeILj4EEEjLi2ELi128ELi1EEEvPT_NS1_25CatArrInputTensorMetadataIS5_T0_XT2_EXT3_EEENS1_16TensorSizeStrideIS8_Lj4EEEiS8_ ; -- Begin function _ZN2at6native12_GLOBAL__N_126CatArrayBatchedCopy_contigINS1_10OpaqueTypeILj4EEEjLi2ELi128ELi1EEEvPT_NS1_25CatArrInputTensorMetadataIS5_T0_XT2_EXT3_EEENS1_16TensorSizeStrideIS8_Lj4EEEiS8_
	.p2align	8
	.type	_ZN2at6native12_GLOBAL__N_126CatArrayBatchedCopy_contigINS1_10OpaqueTypeILj4EEEjLi2ELi128ELi1EEEvPT_NS1_25CatArrInputTensorMetadataIS5_T0_XT2_EXT3_EEENS1_16TensorSizeStrideIS8_Lj4EEEiS8_,@function
_ZN2at6native12_GLOBAL__N_126CatArrayBatchedCopy_contigINS1_10OpaqueTypeILj4EEEjLi2ELi128ELi1EEEvPT_NS1_25CatArrInputTensorMetadataIS5_T0_XT2_EXT3_EEENS1_16TensorSizeStrideIS8_Lj4EEEiS8_: ; @_ZN2at6native12_GLOBAL__N_126CatArrayBatchedCopy_contigINS1_10OpaqueTypeILj4EEEjLi2ELi128ELi1EEEvPT_NS1_25CatArrInputTensorMetadataIS5_T0_XT2_EXT3_EEENS1_16TensorSizeStrideIS8_Lj4EEEiS8_
; %bb.0:
	s_mov_b32 s4, s3
	s_load_dword s3, s[0:1], 0xadc
	s_add_u32 s6, s0, 0xad0
	s_mov_b32 s5, 0
	s_addc_u32 s7, s1, 0
	s_lshl_b64 s[4:5], s[4:5], 2
	s_waitcnt lgkmcnt(0)
	s_and_b32 s10, s3, 0xffff
	s_add_u32 s12, s0, s4
	s_addc_u32 s13, s1, s5
	s_load_dword s8, s[12:13], 0x808
	s_mul_i32 s2, s2, s10
	v_add_u32_e32 v0, s2, v0
	s_add_u32 s2, s12, 8
	s_addc_u32 s3, s13, 0
	s_waitcnt lgkmcnt(0)
	v_cmp_gt_u32_e32 vcc, s8, v0
	s_and_saveexec_b64 s[12:13], vcc
	s_cbranch_execz .LBB48_3
; %bb.1:
	s_add_u32 s12, s2, s4
	s_addc_u32 s13, s3, s5
	s_sub_u32 s2, 0, s4
	s_subb_u32 s3, 0, s5
	s_add_u32 s14, s12, s2
	s_addc_u32 s15, s13, s3
	s_load_dword s4, s[14:15], 0x600
	s_load_dwordx2 s[16:17], s[0:1], 0xac8
	s_load_dword s5, s[0:1], 0xaac
	s_load_dwordx2 s[2:3], s[0:1], 0xab8
	s_waitcnt lgkmcnt(0)
	s_cmp_eq_u32 s16, 1
	s_cselect_b32 s9, s4, s5
	v_cvt_f32_u32_e32 v1, s9
	s_load_dwordx2 s[4:5], s[0:1], 0x0
	s_load_dword s11, s[6:7], 0x0
	s_nop 0
	s_load_dwordx2 s[0:1], s[12:13], 0x0
	s_load_dword s16, s[14:15], 0x400
	s_sub_i32 s12, 0, s9
	v_rcp_iflag_f32_e32 v1, v1
	s_mov_b64 s[6:7], 0
	s_waitcnt lgkmcnt(0)
	s_mul_i32 s10, s11, s10
	s_mul_i32 s11, s16, s17
	v_mul_f32_e32 v1, 0x4f7ffffe, v1
	v_cvt_u32_f32_e32 v1, v1
	v_mul_lo_u32 v2, s12, v1
	v_mul_hi_u32 v2, v1, v2
	v_add_u32_e32 v2, v1, v2
	v_mov_b32_e32 v1, 0
.LBB48_2:                               ; =>This Inner Loop Header: Depth=1
	v_lshl_add_u64 v[4:5], v[0:1], 2, s[0:1]
	global_load_dword v3, v[4:5], off
	v_mul_hi_u32 v4, v2, v0
	v_mul_lo_u32 v6, s9, v4
	v_not_b32_e32 v7, v4
	v_sub_u32_e32 v9, v0, v6
	v_add_u32_e32 v8, 1, v4
	v_mad_u64_u32 v[6:7], s[14:15], s9, v7, v[0:1]
	v_cmp_le_u32_e32 vcc, s9, v9
	v_mov_b32_e32 v5, v1
	s_nop 0
	v_cndmask_b32_e32 v4, v4, v8, vcc
	v_cndmask_b32_e32 v6, v9, v6, vcc
	v_add_u32_e32 v7, 1, v4
	v_cmp_le_u32_e32 vcc, s9, v6
	s_nop 1
	v_cndmask_b32_e32 v4, v4, v7, vcc
	v_mad_u64_u32 v[6:7], s[14:15], s12, v4, v[0:1]
	v_mul_lo_u32 v4, v4, s2
	v_add_u32_e32 v0, s10, v0
	v_mul_lo_u32 v6, v6, s3
	v_cmp_le_u32_e32 vcc, s8, v0
	v_add3_u32 v4, v4, s11, v6
	s_or_b64 s[6:7], vcc, s[6:7]
	v_lshl_add_u64 v[4:5], v[4:5], 2, s[4:5]
	s_waitcnt vmcnt(0)
	global_store_dword v[4:5], v3, off
	s_andn2_b64 exec, exec, s[6:7]
	s_cbranch_execnz .LBB48_2
.LBB48_3:
	s_endpgm
	.section	.rodata,"a",@progbits
	.p2align	6, 0x0
	.amdhsa_kernel _ZN2at6native12_GLOBAL__N_126CatArrayBatchedCopy_contigINS1_10OpaqueTypeILj4EEEjLi2ELi128ELi1EEEvPT_NS1_25CatArrInputTensorMetadataIS5_T0_XT2_EXT3_EEENS1_16TensorSizeStrideIS8_Lj4EEEiS8_
		.amdhsa_group_segment_fixed_size 0
		.amdhsa_private_segment_fixed_size 0
		.amdhsa_kernarg_size 3024
		.amdhsa_user_sgpr_count 2
		.amdhsa_user_sgpr_dispatch_ptr 0
		.amdhsa_user_sgpr_queue_ptr 0
		.amdhsa_user_sgpr_kernarg_segment_ptr 1
		.amdhsa_user_sgpr_dispatch_id 0
		.amdhsa_user_sgpr_kernarg_preload_length 0
		.amdhsa_user_sgpr_kernarg_preload_offset 0
		.amdhsa_user_sgpr_private_segment_size 0
		.amdhsa_uses_dynamic_stack 0
		.amdhsa_enable_private_segment 0
		.amdhsa_system_sgpr_workgroup_id_x 1
		.amdhsa_system_sgpr_workgroup_id_y 1
		.amdhsa_system_sgpr_workgroup_id_z 0
		.amdhsa_system_sgpr_workgroup_info 0
		.amdhsa_system_vgpr_workitem_id 0
		.amdhsa_next_free_vgpr 10
		.amdhsa_next_free_sgpr 18
		.amdhsa_accum_offset 12
		.amdhsa_reserve_vcc 1
		.amdhsa_float_round_mode_32 0
		.amdhsa_float_round_mode_16_64 0
		.amdhsa_float_denorm_mode_32 3
		.amdhsa_float_denorm_mode_16_64 3
		.amdhsa_dx10_clamp 1
		.amdhsa_ieee_mode 1
		.amdhsa_fp16_overflow 0
		.amdhsa_tg_split 0
		.amdhsa_exception_fp_ieee_invalid_op 0
		.amdhsa_exception_fp_denorm_src 0
		.amdhsa_exception_fp_ieee_div_zero 0
		.amdhsa_exception_fp_ieee_overflow 0
		.amdhsa_exception_fp_ieee_underflow 0
		.amdhsa_exception_fp_ieee_inexact 0
		.amdhsa_exception_int_div_zero 0
	.end_amdhsa_kernel
	.section	.text._ZN2at6native12_GLOBAL__N_126CatArrayBatchedCopy_contigINS1_10OpaqueTypeILj4EEEjLi2ELi128ELi1EEEvPT_NS1_25CatArrInputTensorMetadataIS5_T0_XT2_EXT3_EEENS1_16TensorSizeStrideIS8_Lj4EEEiS8_,"axG",@progbits,_ZN2at6native12_GLOBAL__N_126CatArrayBatchedCopy_contigINS1_10OpaqueTypeILj4EEEjLi2ELi128ELi1EEEvPT_NS1_25CatArrInputTensorMetadataIS5_T0_XT2_EXT3_EEENS1_16TensorSizeStrideIS8_Lj4EEEiS8_,comdat
.Lfunc_end48:
	.size	_ZN2at6native12_GLOBAL__N_126CatArrayBatchedCopy_contigINS1_10OpaqueTypeILj4EEEjLi2ELi128ELi1EEEvPT_NS1_25CatArrInputTensorMetadataIS5_T0_XT2_EXT3_EEENS1_16TensorSizeStrideIS8_Lj4EEEiS8_, .Lfunc_end48-_ZN2at6native12_GLOBAL__N_126CatArrayBatchedCopy_contigINS1_10OpaqueTypeILj4EEEjLi2ELi128ELi1EEEvPT_NS1_25CatArrInputTensorMetadataIS5_T0_XT2_EXT3_EEENS1_16TensorSizeStrideIS8_Lj4EEEiS8_
                                        ; -- End function
	.set _ZN2at6native12_GLOBAL__N_126CatArrayBatchedCopy_contigINS1_10OpaqueTypeILj4EEEjLi2ELi128ELi1EEEvPT_NS1_25CatArrInputTensorMetadataIS5_T0_XT2_EXT3_EEENS1_16TensorSizeStrideIS8_Lj4EEEiS8_.num_vgpr, 10
	.set _ZN2at6native12_GLOBAL__N_126CatArrayBatchedCopy_contigINS1_10OpaqueTypeILj4EEEjLi2ELi128ELi1EEEvPT_NS1_25CatArrInputTensorMetadataIS5_T0_XT2_EXT3_EEENS1_16TensorSizeStrideIS8_Lj4EEEiS8_.num_agpr, 0
	.set _ZN2at6native12_GLOBAL__N_126CatArrayBatchedCopy_contigINS1_10OpaqueTypeILj4EEEjLi2ELi128ELi1EEEvPT_NS1_25CatArrInputTensorMetadataIS5_T0_XT2_EXT3_EEENS1_16TensorSizeStrideIS8_Lj4EEEiS8_.numbered_sgpr, 18
	.set _ZN2at6native12_GLOBAL__N_126CatArrayBatchedCopy_contigINS1_10OpaqueTypeILj4EEEjLi2ELi128ELi1EEEvPT_NS1_25CatArrInputTensorMetadataIS5_T0_XT2_EXT3_EEENS1_16TensorSizeStrideIS8_Lj4EEEiS8_.num_named_barrier, 0
	.set _ZN2at6native12_GLOBAL__N_126CatArrayBatchedCopy_contigINS1_10OpaqueTypeILj4EEEjLi2ELi128ELi1EEEvPT_NS1_25CatArrInputTensorMetadataIS5_T0_XT2_EXT3_EEENS1_16TensorSizeStrideIS8_Lj4EEEiS8_.private_seg_size, 0
	.set _ZN2at6native12_GLOBAL__N_126CatArrayBatchedCopy_contigINS1_10OpaqueTypeILj4EEEjLi2ELi128ELi1EEEvPT_NS1_25CatArrInputTensorMetadataIS5_T0_XT2_EXT3_EEENS1_16TensorSizeStrideIS8_Lj4EEEiS8_.uses_vcc, 1
	.set _ZN2at6native12_GLOBAL__N_126CatArrayBatchedCopy_contigINS1_10OpaqueTypeILj4EEEjLi2ELi128ELi1EEEvPT_NS1_25CatArrInputTensorMetadataIS5_T0_XT2_EXT3_EEENS1_16TensorSizeStrideIS8_Lj4EEEiS8_.uses_flat_scratch, 0
	.set _ZN2at6native12_GLOBAL__N_126CatArrayBatchedCopy_contigINS1_10OpaqueTypeILj4EEEjLi2ELi128ELi1EEEvPT_NS1_25CatArrInputTensorMetadataIS5_T0_XT2_EXT3_EEENS1_16TensorSizeStrideIS8_Lj4EEEiS8_.has_dyn_sized_stack, 0
	.set _ZN2at6native12_GLOBAL__N_126CatArrayBatchedCopy_contigINS1_10OpaqueTypeILj4EEEjLi2ELi128ELi1EEEvPT_NS1_25CatArrInputTensorMetadataIS5_T0_XT2_EXT3_EEENS1_16TensorSizeStrideIS8_Lj4EEEiS8_.has_recursion, 0
	.set _ZN2at6native12_GLOBAL__N_126CatArrayBatchedCopy_contigINS1_10OpaqueTypeILj4EEEjLi2ELi128ELi1EEEvPT_NS1_25CatArrInputTensorMetadataIS5_T0_XT2_EXT3_EEENS1_16TensorSizeStrideIS8_Lj4EEEiS8_.has_indirect_call, 0
	.section	.AMDGPU.csdata,"",@progbits
; Kernel info:
; codeLenInByte = 424
; TotalNumSgprs: 24
; NumVgprs: 10
; NumAgprs: 0
; TotalNumVgprs: 10
; ScratchSize: 0
; MemoryBound: 0
; FloatMode: 240
; IeeeMode: 1
; LDSByteSize: 0 bytes/workgroup (compile time only)
; SGPRBlocks: 2
; VGPRBlocks: 1
; NumSGPRsForWavesPerEU: 24
; NumVGPRsForWavesPerEU: 10
; AccumOffset: 12
; Occupancy: 8
; WaveLimiterHint : 1
; COMPUTE_PGM_RSRC2:SCRATCH_EN: 0
; COMPUTE_PGM_RSRC2:USER_SGPR: 2
; COMPUTE_PGM_RSRC2:TRAP_HANDLER: 0
; COMPUTE_PGM_RSRC2:TGID_X_EN: 1
; COMPUTE_PGM_RSRC2:TGID_Y_EN: 1
; COMPUTE_PGM_RSRC2:TGID_Z_EN: 0
; COMPUTE_PGM_RSRC2:TIDIG_COMP_CNT: 0
; COMPUTE_PGM_RSRC3_GFX90A:ACCUM_OFFSET: 2
; COMPUTE_PGM_RSRC3_GFX90A:TG_SPLIT: 0
	.section	.text._ZN2at6native12_GLOBAL__N_119CatArrayBatchedCopyINS1_10OpaqueTypeILj4EEEjLi2ELi128ELi1EEEvPT_NS1_25CatArrInputTensorMetadataIS5_T0_XT2_EXT3_EEENS1_16TensorSizeStrideIS8_Lj4EEEiS8_,"axG",@progbits,_ZN2at6native12_GLOBAL__N_119CatArrayBatchedCopyINS1_10OpaqueTypeILj4EEEjLi2ELi128ELi1EEEvPT_NS1_25CatArrInputTensorMetadataIS5_T0_XT2_EXT3_EEENS1_16TensorSizeStrideIS8_Lj4EEEiS8_,comdat
	.globl	_ZN2at6native12_GLOBAL__N_119CatArrayBatchedCopyINS1_10OpaqueTypeILj4EEEjLi2ELi128ELi1EEEvPT_NS1_25CatArrInputTensorMetadataIS5_T0_XT2_EXT3_EEENS1_16TensorSizeStrideIS8_Lj4EEEiS8_ ; -- Begin function _ZN2at6native12_GLOBAL__N_119CatArrayBatchedCopyINS1_10OpaqueTypeILj4EEEjLi2ELi128ELi1EEEvPT_NS1_25CatArrInputTensorMetadataIS5_T0_XT2_EXT3_EEENS1_16TensorSizeStrideIS8_Lj4EEEiS8_
	.p2align	8
	.type	_ZN2at6native12_GLOBAL__N_119CatArrayBatchedCopyINS1_10OpaqueTypeILj4EEEjLi2ELi128ELi1EEEvPT_NS1_25CatArrInputTensorMetadataIS5_T0_XT2_EXT3_EEENS1_16TensorSizeStrideIS8_Lj4EEEiS8_,@function
_ZN2at6native12_GLOBAL__N_119CatArrayBatchedCopyINS1_10OpaqueTypeILj4EEEjLi2ELi128ELi1EEEvPT_NS1_25CatArrInputTensorMetadataIS5_T0_XT2_EXT3_EEENS1_16TensorSizeStrideIS8_Lj4EEEiS8_: ; @_ZN2at6native12_GLOBAL__N_119CatArrayBatchedCopyINS1_10OpaqueTypeILj4EEEjLi2ELi128ELi1EEEvPT_NS1_25CatArrInputTensorMetadataIS5_T0_XT2_EXT3_EEENS1_16TensorSizeStrideIS8_Lj4EEEiS8_
; %bb.0:
	s_mov_b32 s6, s3
	s_load_dword s3, s[0:1], 0xadc
	s_or_b32 s10, s0, 8
	s_add_u32 s12, s0, 0xad0
	s_mov_b32 s7, 0
	s_addc_u32 s13, s1, 0
	s_waitcnt lgkmcnt(0)
	s_and_b32 s15, s3, 0xffff
	s_lshl_b64 s[8:9], s[6:7], 2
	s_add_u32 s4, s10, s8
	s_addc_u32 s5, s1, s9
	s_load_dword s14, s[4:5], 0x800
	s_mul_i32 s2, s2, s15
	v_add_u32_e32 v0, s2, v0
	s_waitcnt lgkmcnt(0)
	v_cmp_gt_u32_e32 vcc, s14, v0
	s_and_saveexec_b64 s[2:3], vcc
	s_cbranch_execz .LBB49_5
; %bb.1:
	s_add_u32 s16, s10, s6
	s_addc_u32 s17, s1, 0
	v_mov_b32_e32 v1, 0
	global_load_ubyte v2, v1, s[16:17] offset:2560
	s_mov_b32 s11, s1
	s_load_dwordx2 s[18:19], s[0:1], 0xac8
	s_load_dwordx2 s[2:3], s[0:1], 0x0
	;; [unrolled: 1-line block ×3, first 2 shown]
	s_load_dword s20, s[0:1], 0xa8c
	s_load_dword s21, s[0:1], 0xaac
	;; [unrolled: 1-line block ×3, first 2 shown]
	s_mul_hi_u32 s7, s6, 7
	s_mul_i32 s6, s6, 7
	s_waitcnt lgkmcnt(0)
	s_mul_i32 s15, s22, s15
	s_waitcnt vmcnt(0)
	v_and_b32_e32 v2, 1, v2
	v_cmp_eq_u32_e32 vcc, 1, v2
	s_xor_b64 s[0:1], vcc, -1
	s_add_u32 s12, s16, s6
	s_addc_u32 s13, s17, s7
	s_sub_u32 s6, 0, s8
	s_subb_u32 s7, 0, s9
	s_add_u32 s16, s12, s6
	s_addc_u32 s17, s13, s7
	s_load_dword s23, s[16:17], 0x600
	s_load_dwordx2 s[6:7], s[10:11], 0xa90
	s_load_dwordx2 s[8:9], s[12:13], 0x0
	s_load_dword s24, s[16:17], 0x400
	s_cmp_eq_u32 s18, 1
	s_waitcnt lgkmcnt(0)
	s_cselect_b32 s12, s23, s21
	s_cselect_b32 s13, s23, s20
	v_cvt_f32_u32_e32 v2, s12
	v_cvt_f32_u32_e32 v3, s13
	s_sub_i32 s17, 0, s12
	s_sub_i32 s18, 0, s13
	v_rcp_iflag_f32_e32 v2, v2
	v_rcp_iflag_f32_e32 v3, v3
	v_cndmask_b32_e64 v6, 0, 1, s[0:1]
	s_mov_b64 s[10:11], 0
	v_mul_f32_e32 v2, 0x4f7ffffe, v2
	v_mul_f32_e32 v3, 0x4f7ffffe, v3
	v_cvt_u32_f32_e32 v2, v2
	v_cvt_u32_f32_e32 v3, v3
	s_mul_i32 s16, s24, s19
	v_cmp_ne_u32_e64 s[0:1], 1, v6
	v_mul_lo_u32 v4, s17, v2
	v_mul_lo_u32 v5, s18, v3
	v_mul_hi_u32 v4, v2, v4
	v_mul_hi_u32 v5, v3, v5
	v_add_u32_e32 v4, v2, v4
	v_add_u32_e32 v5, v3, v5
	s_branch .LBB49_3
.LBB49_2:                               ;   in Loop: Header=BB49_3 Depth=1
	v_lshl_add_u64 v[2:3], v[2:3], 2, s[8:9]
	global_load_dword v8, v[2:3], off
	v_mul_hi_u32 v6, v4, v0
	v_mad_u64_u32 v[2:3], s[20:21], s17, v6, v[0:1]
	v_not_b32_e32 v7, v6
	v_add_u32_e32 v3, 1, v6
	v_cmp_le_u32_e32 vcc, s12, v2
	s_nop 1
	v_cndmask_b32_e32 v3, v6, v3, vcc
	v_mad_u64_u32 v[6:7], s[20:21], s12, v7, v[0:1]
	v_cndmask_b32_e32 v2, v2, v6, vcc
	v_add_u32_e32 v6, 1, v3
	v_cmp_le_u32_e32 vcc, s12, v2
	s_nop 1
	v_cndmask_b32_e32 v6, v3, v6, vcc
	v_mad_u64_u32 v[2:3], s[20:21], s17, v6, v[0:1]
	v_mul_lo_u32 v2, v2, s5
	v_mul_lo_u32 v3, v6, s4
	v_add_u32_e32 v0, s15, v0
	v_add3_u32 v2, v2, v3, s16
	v_mov_b32_e32 v3, v1
	v_cmp_le_u32_e32 vcc, s14, v0
	v_lshl_add_u64 v[2:3], v[2:3], 2, s[2:3]
	s_or_b64 s[10:11], vcc, s[10:11]
	s_waitcnt vmcnt(0)
	global_store_dword v[2:3], v8, off
	s_andn2_b64 exec, exec, s[10:11]
	s_cbranch_execz .LBB49_5
.LBB49_3:                               ; =>This Inner Loop Header: Depth=1
	s_and_b64 vcc, exec, s[0:1]
	v_mov_b64_e32 v[2:3], v[0:1]
	s_cbranch_vccnz .LBB49_2
; %bb.4:                                ;   in Loop: Header=BB49_3 Depth=1
	v_mul_hi_u32 v6, v5, v0
	v_mad_u64_u32 v[2:3], s[20:21], s18, v6, v[0:1]
	v_not_b32_e32 v7, v6
	v_add_u32_e32 v3, 1, v6
	v_cmp_le_u32_e32 vcc, s13, v2
	s_nop 1
	v_cndmask_b32_e32 v3, v6, v3, vcc
	v_mad_u64_u32 v[6:7], s[20:21], s13, v7, v[0:1]
	v_cndmask_b32_e32 v2, v2, v6, vcc
	v_add_u32_e32 v6, 1, v3
	v_cmp_le_u32_e32 vcc, s13, v2
	s_nop 1
	v_cndmask_b32_e32 v6, v3, v6, vcc
	v_mad_u64_u32 v[2:3], s[20:21], s18, v6, v[0:1]
	v_mul_lo_u32 v6, v6, s6
	v_mad_u64_u32 v[2:3], s[20:21], v2, s7, v[6:7]
	v_mov_b32_e32 v3, v1
	s_branch .LBB49_2
.LBB49_5:
	s_endpgm
	.section	.rodata,"a",@progbits
	.p2align	6, 0x0
	.amdhsa_kernel _ZN2at6native12_GLOBAL__N_119CatArrayBatchedCopyINS1_10OpaqueTypeILj4EEEjLi2ELi128ELi1EEEvPT_NS1_25CatArrInputTensorMetadataIS5_T0_XT2_EXT3_EEENS1_16TensorSizeStrideIS8_Lj4EEEiS8_
		.amdhsa_group_segment_fixed_size 0
		.amdhsa_private_segment_fixed_size 0
		.amdhsa_kernarg_size 3024
		.amdhsa_user_sgpr_count 2
		.amdhsa_user_sgpr_dispatch_ptr 0
		.amdhsa_user_sgpr_queue_ptr 0
		.amdhsa_user_sgpr_kernarg_segment_ptr 1
		.amdhsa_user_sgpr_dispatch_id 0
		.amdhsa_user_sgpr_kernarg_preload_length 0
		.amdhsa_user_sgpr_kernarg_preload_offset 0
		.amdhsa_user_sgpr_private_segment_size 0
		.amdhsa_uses_dynamic_stack 0
		.amdhsa_enable_private_segment 0
		.amdhsa_system_sgpr_workgroup_id_x 1
		.amdhsa_system_sgpr_workgroup_id_y 1
		.amdhsa_system_sgpr_workgroup_id_z 0
		.amdhsa_system_sgpr_workgroup_info 0
		.amdhsa_system_vgpr_workitem_id 0
		.amdhsa_next_free_vgpr 9
		.amdhsa_next_free_sgpr 25
		.amdhsa_accum_offset 12
		.amdhsa_reserve_vcc 1
		.amdhsa_float_round_mode_32 0
		.amdhsa_float_round_mode_16_64 0
		.amdhsa_float_denorm_mode_32 3
		.amdhsa_float_denorm_mode_16_64 3
		.amdhsa_dx10_clamp 1
		.amdhsa_ieee_mode 1
		.amdhsa_fp16_overflow 0
		.amdhsa_tg_split 0
		.amdhsa_exception_fp_ieee_invalid_op 0
		.amdhsa_exception_fp_denorm_src 0
		.amdhsa_exception_fp_ieee_div_zero 0
		.amdhsa_exception_fp_ieee_overflow 0
		.amdhsa_exception_fp_ieee_underflow 0
		.amdhsa_exception_fp_ieee_inexact 0
		.amdhsa_exception_int_div_zero 0
	.end_amdhsa_kernel
	.section	.text._ZN2at6native12_GLOBAL__N_119CatArrayBatchedCopyINS1_10OpaqueTypeILj4EEEjLi2ELi128ELi1EEEvPT_NS1_25CatArrInputTensorMetadataIS5_T0_XT2_EXT3_EEENS1_16TensorSizeStrideIS8_Lj4EEEiS8_,"axG",@progbits,_ZN2at6native12_GLOBAL__N_119CatArrayBatchedCopyINS1_10OpaqueTypeILj4EEEjLi2ELi128ELi1EEEvPT_NS1_25CatArrInputTensorMetadataIS5_T0_XT2_EXT3_EEENS1_16TensorSizeStrideIS8_Lj4EEEiS8_,comdat
.Lfunc_end49:
	.size	_ZN2at6native12_GLOBAL__N_119CatArrayBatchedCopyINS1_10OpaqueTypeILj4EEEjLi2ELi128ELi1EEEvPT_NS1_25CatArrInputTensorMetadataIS5_T0_XT2_EXT3_EEENS1_16TensorSizeStrideIS8_Lj4EEEiS8_, .Lfunc_end49-_ZN2at6native12_GLOBAL__N_119CatArrayBatchedCopyINS1_10OpaqueTypeILj4EEEjLi2ELi128ELi1EEEvPT_NS1_25CatArrInputTensorMetadataIS5_T0_XT2_EXT3_EEENS1_16TensorSizeStrideIS8_Lj4EEEiS8_
                                        ; -- End function
	.set _ZN2at6native12_GLOBAL__N_119CatArrayBatchedCopyINS1_10OpaqueTypeILj4EEEjLi2ELi128ELi1EEEvPT_NS1_25CatArrInputTensorMetadataIS5_T0_XT2_EXT3_EEENS1_16TensorSizeStrideIS8_Lj4EEEiS8_.num_vgpr, 9
	.set _ZN2at6native12_GLOBAL__N_119CatArrayBatchedCopyINS1_10OpaqueTypeILj4EEEjLi2ELi128ELi1EEEvPT_NS1_25CatArrInputTensorMetadataIS5_T0_XT2_EXT3_EEENS1_16TensorSizeStrideIS8_Lj4EEEiS8_.num_agpr, 0
	.set _ZN2at6native12_GLOBAL__N_119CatArrayBatchedCopyINS1_10OpaqueTypeILj4EEEjLi2ELi128ELi1EEEvPT_NS1_25CatArrInputTensorMetadataIS5_T0_XT2_EXT3_EEENS1_16TensorSizeStrideIS8_Lj4EEEiS8_.numbered_sgpr, 25
	.set _ZN2at6native12_GLOBAL__N_119CatArrayBatchedCopyINS1_10OpaqueTypeILj4EEEjLi2ELi128ELi1EEEvPT_NS1_25CatArrInputTensorMetadataIS5_T0_XT2_EXT3_EEENS1_16TensorSizeStrideIS8_Lj4EEEiS8_.num_named_barrier, 0
	.set _ZN2at6native12_GLOBAL__N_119CatArrayBatchedCopyINS1_10OpaqueTypeILj4EEEjLi2ELi128ELi1EEEvPT_NS1_25CatArrInputTensorMetadataIS5_T0_XT2_EXT3_EEENS1_16TensorSizeStrideIS8_Lj4EEEiS8_.private_seg_size, 0
	.set _ZN2at6native12_GLOBAL__N_119CatArrayBatchedCopyINS1_10OpaqueTypeILj4EEEjLi2ELi128ELi1EEEvPT_NS1_25CatArrInputTensorMetadataIS5_T0_XT2_EXT3_EEENS1_16TensorSizeStrideIS8_Lj4EEEiS8_.uses_vcc, 1
	.set _ZN2at6native12_GLOBAL__N_119CatArrayBatchedCopyINS1_10OpaqueTypeILj4EEEjLi2ELi128ELi1EEEvPT_NS1_25CatArrInputTensorMetadataIS5_T0_XT2_EXT3_EEENS1_16TensorSizeStrideIS8_Lj4EEEiS8_.uses_flat_scratch, 0
	.set _ZN2at6native12_GLOBAL__N_119CatArrayBatchedCopyINS1_10OpaqueTypeILj4EEEjLi2ELi128ELi1EEEvPT_NS1_25CatArrInputTensorMetadataIS5_T0_XT2_EXT3_EEENS1_16TensorSizeStrideIS8_Lj4EEEiS8_.has_dyn_sized_stack, 0
	.set _ZN2at6native12_GLOBAL__N_119CatArrayBatchedCopyINS1_10OpaqueTypeILj4EEEjLi2ELi128ELi1EEEvPT_NS1_25CatArrInputTensorMetadataIS5_T0_XT2_EXT3_EEENS1_16TensorSizeStrideIS8_Lj4EEEiS8_.has_recursion, 0
	.set _ZN2at6native12_GLOBAL__N_119CatArrayBatchedCopyINS1_10OpaqueTypeILj4EEEjLi2ELi128ELi1EEEvPT_NS1_25CatArrInputTensorMetadataIS5_T0_XT2_EXT3_EEENS1_16TensorSizeStrideIS8_Lj4EEEiS8_.has_indirect_call, 0
	.section	.AMDGPU.csdata,"",@progbits
; Kernel info:
; codeLenInByte = 648
; TotalNumSgprs: 31
; NumVgprs: 9
; NumAgprs: 0
; TotalNumVgprs: 9
; ScratchSize: 0
; MemoryBound: 0
; FloatMode: 240
; IeeeMode: 1
; LDSByteSize: 0 bytes/workgroup (compile time only)
; SGPRBlocks: 3
; VGPRBlocks: 1
; NumSGPRsForWavesPerEU: 31
; NumVGPRsForWavesPerEU: 9
; AccumOffset: 12
; Occupancy: 8
; WaveLimiterHint : 1
; COMPUTE_PGM_RSRC2:SCRATCH_EN: 0
; COMPUTE_PGM_RSRC2:USER_SGPR: 2
; COMPUTE_PGM_RSRC2:TRAP_HANDLER: 0
; COMPUTE_PGM_RSRC2:TGID_X_EN: 1
; COMPUTE_PGM_RSRC2:TGID_Y_EN: 1
; COMPUTE_PGM_RSRC2:TGID_Z_EN: 0
; COMPUTE_PGM_RSRC2:TIDIG_COMP_CNT: 0
; COMPUTE_PGM_RSRC3_GFX90A:ACCUM_OFFSET: 2
; COMPUTE_PGM_RSRC3_GFX90A:TG_SPLIT: 0
	.section	.text._ZN2at6native12_GLOBAL__N_130CatArrayBatchedCopy_vectorizedINS1_10OpaqueTypeILj4EEEjLi3ELi128ELi1ELi16ELi4EEEvPcNS1_25CatArrInputTensorMetadataIT_T0_XT2_EXT3_EEENS1_16TensorSizeStrideIS8_Lj4EEEiS8_,"axG",@progbits,_ZN2at6native12_GLOBAL__N_130CatArrayBatchedCopy_vectorizedINS1_10OpaqueTypeILj4EEEjLi3ELi128ELi1ELi16ELi4EEEvPcNS1_25CatArrInputTensorMetadataIT_T0_XT2_EXT3_EEENS1_16TensorSizeStrideIS8_Lj4EEEiS8_,comdat
	.globl	_ZN2at6native12_GLOBAL__N_130CatArrayBatchedCopy_vectorizedINS1_10OpaqueTypeILj4EEEjLi3ELi128ELi1ELi16ELi4EEEvPcNS1_25CatArrInputTensorMetadataIT_T0_XT2_EXT3_EEENS1_16TensorSizeStrideIS8_Lj4EEEiS8_ ; -- Begin function _ZN2at6native12_GLOBAL__N_130CatArrayBatchedCopy_vectorizedINS1_10OpaqueTypeILj4EEEjLi3ELi128ELi1ELi16ELi4EEEvPcNS1_25CatArrInputTensorMetadataIT_T0_XT2_EXT3_EEENS1_16TensorSizeStrideIS8_Lj4EEEiS8_
	.p2align	8
	.type	_ZN2at6native12_GLOBAL__N_130CatArrayBatchedCopy_vectorizedINS1_10OpaqueTypeILj4EEEjLi3ELi128ELi1ELi16ELi4EEEvPcNS1_25CatArrInputTensorMetadataIT_T0_XT2_EXT3_EEENS1_16TensorSizeStrideIS8_Lj4EEEiS8_,@function
_ZN2at6native12_GLOBAL__N_130CatArrayBatchedCopy_vectorizedINS1_10OpaqueTypeILj4EEEjLi3ELi128ELi1ELi16ELi4EEEvPcNS1_25CatArrInputTensorMetadataIT_T0_XT2_EXT3_EEENS1_16TensorSizeStrideIS8_Lj4EEEiS8_: ; @_ZN2at6native12_GLOBAL__N_130CatArrayBatchedCopy_vectorizedINS1_10OpaqueTypeILj4EEEjLi3ELi128ELi1ELi16ELi4EEEvPcNS1_25CatArrInputTensorMetadataIT_T0_XT2_EXT3_EEENS1_16TensorSizeStrideIS8_Lj4EEEiS8_
; %bb.0:
	s_mov_b32 s8, s3
	s_load_dword s3, s[0:1], 0xadc
	s_add_u32 s10, s0, 0xad0
	s_mov_b32 s9, 0
	s_addc_u32 s11, s1, 0
	s_lshl_b64 s[12:13], s[8:9], 2
	s_waitcnt lgkmcnt(0)
	s_and_b32 s15, s3, 0xffff
	s_add_u32 s4, s0, s12
	s_addc_u32 s5, s1, s13
	s_load_dword s6, s[4:5], 0x808
	s_mul_i32 s2, s2, s15
	v_add_u32_e32 v0, s2, v0
	s_add_u32 s2, s4, 8
	s_addc_u32 s3, s5, 0
	s_waitcnt lgkmcnt(0)
	s_lshr_b32 s14, s6, 2
	v_cmp_gt_u32_e32 vcc, s14, v0
	s_and_saveexec_b64 s[4:5], vcc
	s_cbranch_execz .LBB50_3
; %bb.1:
	s_add_u32 s18, s2, s12
	s_addc_u32 s19, s3, s13
	s_load_dwordx2 s[16:17], s[0:1], 0xac8
	s_load_dwordx4 s[4:7], s[0:1], 0xab8
	s_sub_u32 s2, 0, s12
	s_subb_u32 s3, 0, s13
	s_add_u32 s12, s18, s2
	s_addc_u32 s13, s19, s3
	s_load_dwordx2 s[2:3], s[18:19], 0x0
	s_waitcnt lgkmcnt(0)
	s_load_dword s7, s[12:13], 0x400
	s_load_dword s24, s[12:13], 0x600
	s_load_dwordx2 s[20:21], s[0:1], 0x0
	s_load_dwordx2 s[22:23], s[0:1], 0xaac
	s_load_dword s25, s[10:11], 0x0
	s_waitcnt lgkmcnt(0)
	s_mul_i32 s7, s7, s17
	s_lshr_b32 s8, s7, 2
	s_mul_i32 s24, s24, s17
	s_lshr_b32 s11, s24, 2
	s_lshl_b64 s[8:9], s[8:9], 4
	s_cmp_eq_u32 s16, 2
	s_cselect_b32 s7, s11, s23
	v_cvt_f32_u32_e32 v1, s7
	s_cmp_eq_u32 s16, 1
	s_cselect_b32 s11, s11, s22
	v_cvt_f32_u32_e32 v2, s11
	v_rcp_iflag_f32_e32 v1, v1
	s_add_u32 s8, s20, s8
	s_addc_u32 s9, s21, s9
	v_rcp_iflag_f32_e32 v2, v2
	v_mul_f32_e32 v1, 0x4f7ffffe, v1
	v_cvt_u32_f32_e32 v1, v1
	s_sub_i32 s12, 0, s7
	v_mul_f32_e32 v2, 0x4f7ffffe, v2
	v_cvt_u32_f32_e32 v4, v2
	v_mul_lo_u32 v3, s12, v1
	v_mul_hi_u32 v3, v1, v3
	s_sub_i32 s13, 0, s11
	v_add_u32_e32 v2, v1, v3
	v_mul_lo_u32 v3, s13, v4
	v_mul_hi_u32 v3, v4, v3
	s_mov_b64 s[0:1], 0
	s_mul_i32 s10, s25, s15
	v_mov_b32_e32 v1, 0
	v_add_u32_e32 v3, v4, v3
.LBB50_2:                               ; =>This Inner Loop Header: Depth=1
	v_lshl_add_u64 v[4:5], v[0:1], 4, s[2:3]
	global_load_dwordx4 v[4:7], v[4:5], off
	v_mul_hi_u32 v8, v2, v0
	v_mul_lo_u32 v10, s7, v8
	v_not_b32_e32 v11, v8
	v_sub_u32_e32 v13, v0, v10
	v_add_u32_e32 v12, 1, v8
	v_mad_u64_u32 v[10:11], s[16:17], s7, v11, v[0:1]
	v_cmp_le_u32_e32 vcc, s7, v13
	v_mov_b32_e32 v9, v1
	s_nop 0
	v_cndmask_b32_e32 v8, v8, v12, vcc
	v_cndmask_b32_e32 v10, v13, v10, vcc
	v_add_u32_e32 v11, 1, v8
	v_cmp_le_u32_e32 vcc, s7, v10
	s_nop 1
	v_cndmask_b32_e32 v8, v8, v11, vcc
	v_mad_u64_u32 v[10:11], s[16:17], s12, v8, v[0:1]
	v_mul_hi_u32 v11, v8, v3
	v_add_u32_e32 v0, s10, v0
	v_mul_lo_u32 v12, v11, s11
	v_cmp_le_u32_e32 vcc, s14, v0
	v_sub_u32_e32 v12, v8, v12
	v_add_u32_e32 v13, 1, v11
	s_or_b64 s[0:1], vcc, s[0:1]
	v_cmp_le_u32_e32 vcc, s11, v12
	v_mul_lo_u32 v10, v10, s6
	s_nop 0
	v_cndmask_b32_e32 v11, v11, v13, vcc
	v_subrev_u32_e32 v13, s11, v12
	v_cndmask_b32_e32 v12, v12, v13, vcc
	v_add_u32_e32 v13, 1, v11
	v_cmp_le_u32_e32 vcc, s11, v12
	s_nop 1
	v_cndmask_b32_e32 v11, v11, v13, vcc
	v_mul_lo_u32 v12, v11, s11
	v_sub_u32_e32 v8, v8, v12
	v_mul_lo_u32 v11, v11, s4
	v_mul_lo_u32 v8, v8, s5
	v_add3_u32 v8, v10, v11, v8
	v_lshl_add_u64 v[8:9], v[8:9], 4, s[8:9]
	s_waitcnt vmcnt(0)
	global_store_dwordx4 v[8:9], v[4:7], off
	s_andn2_b64 exec, exec, s[0:1]
	s_cbranch_execnz .LBB50_2
.LBB50_3:
	s_endpgm
	.section	.rodata,"a",@progbits
	.p2align	6, 0x0
	.amdhsa_kernel _ZN2at6native12_GLOBAL__N_130CatArrayBatchedCopy_vectorizedINS1_10OpaqueTypeILj4EEEjLi3ELi128ELi1ELi16ELi4EEEvPcNS1_25CatArrInputTensorMetadataIT_T0_XT2_EXT3_EEENS1_16TensorSizeStrideIS8_Lj4EEEiS8_
		.amdhsa_group_segment_fixed_size 0
		.amdhsa_private_segment_fixed_size 0
		.amdhsa_kernarg_size 3024
		.amdhsa_user_sgpr_count 2
		.amdhsa_user_sgpr_dispatch_ptr 0
		.amdhsa_user_sgpr_queue_ptr 0
		.amdhsa_user_sgpr_kernarg_segment_ptr 1
		.amdhsa_user_sgpr_dispatch_id 0
		.amdhsa_user_sgpr_kernarg_preload_length 0
		.amdhsa_user_sgpr_kernarg_preload_offset 0
		.amdhsa_user_sgpr_private_segment_size 0
		.amdhsa_uses_dynamic_stack 0
		.amdhsa_enable_private_segment 0
		.amdhsa_system_sgpr_workgroup_id_x 1
		.amdhsa_system_sgpr_workgroup_id_y 1
		.amdhsa_system_sgpr_workgroup_id_z 0
		.amdhsa_system_sgpr_workgroup_info 0
		.amdhsa_system_vgpr_workitem_id 0
		.amdhsa_next_free_vgpr 14
		.amdhsa_next_free_sgpr 26
		.amdhsa_accum_offset 16
		.amdhsa_reserve_vcc 1
		.amdhsa_float_round_mode_32 0
		.amdhsa_float_round_mode_16_64 0
		.amdhsa_float_denorm_mode_32 3
		.amdhsa_float_denorm_mode_16_64 3
		.amdhsa_dx10_clamp 1
		.amdhsa_ieee_mode 1
		.amdhsa_fp16_overflow 0
		.amdhsa_tg_split 0
		.amdhsa_exception_fp_ieee_invalid_op 0
		.amdhsa_exception_fp_denorm_src 0
		.amdhsa_exception_fp_ieee_div_zero 0
		.amdhsa_exception_fp_ieee_overflow 0
		.amdhsa_exception_fp_ieee_underflow 0
		.amdhsa_exception_fp_ieee_inexact 0
		.amdhsa_exception_int_div_zero 0
	.end_amdhsa_kernel
	.section	.text._ZN2at6native12_GLOBAL__N_130CatArrayBatchedCopy_vectorizedINS1_10OpaqueTypeILj4EEEjLi3ELi128ELi1ELi16ELi4EEEvPcNS1_25CatArrInputTensorMetadataIT_T0_XT2_EXT3_EEENS1_16TensorSizeStrideIS8_Lj4EEEiS8_,"axG",@progbits,_ZN2at6native12_GLOBAL__N_130CatArrayBatchedCopy_vectorizedINS1_10OpaqueTypeILj4EEEjLi3ELi128ELi1ELi16ELi4EEEvPcNS1_25CatArrInputTensorMetadataIT_T0_XT2_EXT3_EEENS1_16TensorSizeStrideIS8_Lj4EEEiS8_,comdat
.Lfunc_end50:
	.size	_ZN2at6native12_GLOBAL__N_130CatArrayBatchedCopy_vectorizedINS1_10OpaqueTypeILj4EEEjLi3ELi128ELi1ELi16ELi4EEEvPcNS1_25CatArrInputTensorMetadataIT_T0_XT2_EXT3_EEENS1_16TensorSizeStrideIS8_Lj4EEEiS8_, .Lfunc_end50-_ZN2at6native12_GLOBAL__N_130CatArrayBatchedCopy_vectorizedINS1_10OpaqueTypeILj4EEEjLi3ELi128ELi1ELi16ELi4EEEvPcNS1_25CatArrInputTensorMetadataIT_T0_XT2_EXT3_EEENS1_16TensorSizeStrideIS8_Lj4EEEiS8_
                                        ; -- End function
	.set _ZN2at6native12_GLOBAL__N_130CatArrayBatchedCopy_vectorizedINS1_10OpaqueTypeILj4EEEjLi3ELi128ELi1ELi16ELi4EEEvPcNS1_25CatArrInputTensorMetadataIT_T0_XT2_EXT3_EEENS1_16TensorSizeStrideIS8_Lj4EEEiS8_.num_vgpr, 14
	.set _ZN2at6native12_GLOBAL__N_130CatArrayBatchedCopy_vectorizedINS1_10OpaqueTypeILj4EEEjLi3ELi128ELi1ELi16ELi4EEEvPcNS1_25CatArrInputTensorMetadataIT_T0_XT2_EXT3_EEENS1_16TensorSizeStrideIS8_Lj4EEEiS8_.num_agpr, 0
	.set _ZN2at6native12_GLOBAL__N_130CatArrayBatchedCopy_vectorizedINS1_10OpaqueTypeILj4EEEjLi3ELi128ELi1ELi16ELi4EEEvPcNS1_25CatArrInputTensorMetadataIT_T0_XT2_EXT3_EEENS1_16TensorSizeStrideIS8_Lj4EEEiS8_.numbered_sgpr, 26
	.set _ZN2at6native12_GLOBAL__N_130CatArrayBatchedCopy_vectorizedINS1_10OpaqueTypeILj4EEEjLi3ELi128ELi1ELi16ELi4EEEvPcNS1_25CatArrInputTensorMetadataIT_T0_XT2_EXT3_EEENS1_16TensorSizeStrideIS8_Lj4EEEiS8_.num_named_barrier, 0
	.set _ZN2at6native12_GLOBAL__N_130CatArrayBatchedCopy_vectorizedINS1_10OpaqueTypeILj4EEEjLi3ELi128ELi1ELi16ELi4EEEvPcNS1_25CatArrInputTensorMetadataIT_T0_XT2_EXT3_EEENS1_16TensorSizeStrideIS8_Lj4EEEiS8_.private_seg_size, 0
	.set _ZN2at6native12_GLOBAL__N_130CatArrayBatchedCopy_vectorizedINS1_10OpaqueTypeILj4EEEjLi3ELi128ELi1ELi16ELi4EEEvPcNS1_25CatArrInputTensorMetadataIT_T0_XT2_EXT3_EEENS1_16TensorSizeStrideIS8_Lj4EEEiS8_.uses_vcc, 1
	.set _ZN2at6native12_GLOBAL__N_130CatArrayBatchedCopy_vectorizedINS1_10OpaqueTypeILj4EEEjLi3ELi128ELi1ELi16ELi4EEEvPcNS1_25CatArrInputTensorMetadataIT_T0_XT2_EXT3_EEENS1_16TensorSizeStrideIS8_Lj4EEEiS8_.uses_flat_scratch, 0
	.set _ZN2at6native12_GLOBAL__N_130CatArrayBatchedCopy_vectorizedINS1_10OpaqueTypeILj4EEEjLi3ELi128ELi1ELi16ELi4EEEvPcNS1_25CatArrInputTensorMetadataIT_T0_XT2_EXT3_EEENS1_16TensorSizeStrideIS8_Lj4EEEiS8_.has_dyn_sized_stack, 0
	.set _ZN2at6native12_GLOBAL__N_130CatArrayBatchedCopy_vectorizedINS1_10OpaqueTypeILj4EEEjLi3ELi128ELi1ELi16ELi4EEEvPcNS1_25CatArrInputTensorMetadataIT_T0_XT2_EXT3_EEENS1_16TensorSizeStrideIS8_Lj4EEEiS8_.has_recursion, 0
	.set _ZN2at6native12_GLOBAL__N_130CatArrayBatchedCopy_vectorizedINS1_10OpaqueTypeILj4EEEjLi3ELi128ELi1ELi16ELi4EEEvPcNS1_25CatArrInputTensorMetadataIT_T0_XT2_EXT3_EEENS1_16TensorSizeStrideIS8_Lj4EEEiS8_.has_indirect_call, 0
	.section	.AMDGPU.csdata,"",@progbits
; Kernel info:
; codeLenInByte = 580
; TotalNumSgprs: 32
; NumVgprs: 14
; NumAgprs: 0
; TotalNumVgprs: 14
; ScratchSize: 0
; MemoryBound: 0
; FloatMode: 240
; IeeeMode: 1
; LDSByteSize: 0 bytes/workgroup (compile time only)
; SGPRBlocks: 3
; VGPRBlocks: 1
; NumSGPRsForWavesPerEU: 32
; NumVGPRsForWavesPerEU: 14
; AccumOffset: 16
; Occupancy: 8
; WaveLimiterHint : 1
; COMPUTE_PGM_RSRC2:SCRATCH_EN: 0
; COMPUTE_PGM_RSRC2:USER_SGPR: 2
; COMPUTE_PGM_RSRC2:TRAP_HANDLER: 0
; COMPUTE_PGM_RSRC2:TGID_X_EN: 1
; COMPUTE_PGM_RSRC2:TGID_Y_EN: 1
; COMPUTE_PGM_RSRC2:TGID_Z_EN: 0
; COMPUTE_PGM_RSRC2:TIDIG_COMP_CNT: 0
; COMPUTE_PGM_RSRC3_GFX90A:ACCUM_OFFSET: 3
; COMPUTE_PGM_RSRC3_GFX90A:TG_SPLIT: 0
	.section	.text._ZN2at6native12_GLOBAL__N_135CatArrayBatchedCopy_alignedK_contigINS1_10OpaqueTypeILj4EEEjLi3ELi128ELi1ELi16EEEvPT_NS1_25CatArrInputTensorMetadataIS5_T0_XT2_EXT3_EEENS1_16TensorSizeStrideIS8_Lj4EEEiS8_,"axG",@progbits,_ZN2at6native12_GLOBAL__N_135CatArrayBatchedCopy_alignedK_contigINS1_10OpaqueTypeILj4EEEjLi3ELi128ELi1ELi16EEEvPT_NS1_25CatArrInputTensorMetadataIS5_T0_XT2_EXT3_EEENS1_16TensorSizeStrideIS8_Lj4EEEiS8_,comdat
	.globl	_ZN2at6native12_GLOBAL__N_135CatArrayBatchedCopy_alignedK_contigINS1_10OpaqueTypeILj4EEEjLi3ELi128ELi1ELi16EEEvPT_NS1_25CatArrInputTensorMetadataIS5_T0_XT2_EXT3_EEENS1_16TensorSizeStrideIS8_Lj4EEEiS8_ ; -- Begin function _ZN2at6native12_GLOBAL__N_135CatArrayBatchedCopy_alignedK_contigINS1_10OpaqueTypeILj4EEEjLi3ELi128ELi1ELi16EEEvPT_NS1_25CatArrInputTensorMetadataIS5_T0_XT2_EXT3_EEENS1_16TensorSizeStrideIS8_Lj4EEEiS8_
	.p2align	8
	.type	_ZN2at6native12_GLOBAL__N_135CatArrayBatchedCopy_alignedK_contigINS1_10OpaqueTypeILj4EEEjLi3ELi128ELi1ELi16EEEvPT_NS1_25CatArrInputTensorMetadataIS5_T0_XT2_EXT3_EEENS1_16TensorSizeStrideIS8_Lj4EEEiS8_,@function
_ZN2at6native12_GLOBAL__N_135CatArrayBatchedCopy_alignedK_contigINS1_10OpaqueTypeILj4EEEjLi3ELi128ELi1ELi16EEEvPT_NS1_25CatArrInputTensorMetadataIS5_T0_XT2_EXT3_EEENS1_16TensorSizeStrideIS8_Lj4EEEiS8_: ; @_ZN2at6native12_GLOBAL__N_135CatArrayBatchedCopy_alignedK_contigINS1_10OpaqueTypeILj4EEEjLi3ELi128ELi1ELi16EEEvPT_NS1_25CatArrInputTensorMetadataIS5_T0_XT2_EXT3_EEENS1_16TensorSizeStrideIS8_Lj4EEEiS8_
; %bb.0:
	s_mov_b32 s6, s3
	s_load_dword s3, s[0:1], 0xadc
	s_add_u32 s4, s0, 0xad0
	s_mov_b32 s7, 0
	s_addc_u32 s5, s1, 0
	s_lshl_b64 s[6:7], s[6:7], 2
	s_waitcnt lgkmcnt(0)
	s_and_b32 s3, s3, 0xffff
	s_add_u32 s8, s0, s6
	s_addc_u32 s9, s1, s7
	s_load_dword s22, s[8:9], 0x808
	s_mul_i32 s2, s2, s3
	v_add_lshl_u32 v0, s2, v0, 2
	s_add_u32 s2, s8, 8
	s_addc_u32 s12, s9, 0
	s_waitcnt lgkmcnt(0)
	v_cmp_gt_u32_e32 vcc, s22, v0
	s_and_saveexec_b64 s[8:9], vcc
	s_cbranch_execz .LBB51_8
; %bb.1:
	s_add_u32 s18, s2, s6
	s_addc_u32 s19, s12, s7
	s_sub_u32 s2, 0, s6
	s_load_dwordx2 s[14:15], s[0:1], 0xac8
	s_load_dwordx4 s[8:11], s[0:1], 0xab8
	s_subb_u32 s6, 0, s7
	s_add_u32 s20, s18, s2
	s_addc_u32 s21, s19, s6
	s_waitcnt lgkmcnt(0)
	s_load_dword s11, s[20:21], 0x400
	s_load_dwordx2 s[6:7], s[0:1], 0x0
	s_load_dwordx2 s[16:17], s[0:1], 0xaac
	;; [unrolled: 1-line block ×3, first 2 shown]
	s_load_dword s23, s[20:21], 0x600
	v_add_u32_e32 v1, 4, v0
	s_mov_b64 s[18:19], 0
	s_waitcnt lgkmcnt(0)
	s_mul_i32 s11, s11, s15
	v_cmp_ge_u32_e32 vcc, s22, v1
	s_and_saveexec_b64 s[20:21], vcc
	s_cbranch_execz .LBB51_5
; %bb.2:
	s_load_dword s0, s[4:5], 0x0
	v_mov_b32_e32 v1, 0
	v_add_u32_e32 v10, 3, v0
	v_add_u32_e32 v11, 2, v0
	;; [unrolled: 1-line block ×3, first 2 shown]
	s_waitcnt lgkmcnt(0)
	s_mul_i32 s0, s0, s3
	s_lshl_b32 s15, s0, 2
	s_cmp_eq_u32 s14, 2
	s_cselect_b32 s24, s23, s17
	s_cmp_eq_u32 s14, 1
	v_cvt_f32_u32_e32 v2, s24
	s_cselect_b32 s25, s23, s16
	v_cvt_f32_u32_e32 v3, s25
	s_sub_i32 s26, 0, s24
	v_rcp_iflag_f32_e32 v2, v2
	s_sub_i32 s0, 0, s25
	v_rcp_iflag_f32_e32 v3, v3
	v_mul_f32_e32 v2, 0x4f7ffffe, v2
	v_cvt_u32_f32_e32 v2, v2
	v_mul_f32_e32 v3, 0x4f7ffffe, v3
	v_cvt_u32_f32_e32 v3, v3
	v_mul_lo_u32 v4, s26, v2
	v_mul_hi_u32 v4, v2, v4
	v_mul_lo_u32 v5, s0, v3
	v_add_u32_e32 v12, v2, v4
	v_mul_hi_u32 v2, v3, v5
	v_add_u32_e32 v13, v3, v2
.LBB51_3:                               ; =>This Inner Loop Header: Depth=1
	v_mul_hi_u32 v18, v12, v11
	v_mul_hi_u32 v19, v12, v14
	v_add_u32_e32 v4, 1, v0
	v_add_u32_e32 v2, 2, v0
	v_lshl_add_u64 v[16:17], v[0:1], 2, s[12:13]
	v_mov_b32_e32 v3, v1
	v_mov_b32_e32 v5, v1
	v_not_b32_e32 v32, v18
	v_not_b32_e32 v30, v19
	v_mad_u64_u32 v[22:23], s[0:1], s26, v19, v[4:5]
	v_mad_u64_u32 v[24:25], s[0:1], s26, v18, v[2:3]
	global_load_dwordx4 v[16:19], v[16:17], off
	v_mul_hi_u32 v8, v12, v0
	v_not_b32_e32 v28, v8
	v_mad_u64_u32 v[20:21], s[0:1], s26, v8, v[0:1]
	v_mul_hi_u32 v15, v12, v10
	v_add_u32_e32 v6, 3, v0
	v_mov_b32_e32 v7, v1
	v_add_u32_e32 v21, 1, v8
	v_cmp_le_u32_e32 vcc, s24, v20
	v_mad_u64_u32 v[28:29], s[0:1], s24, v28, v[0:1]
	v_not_b32_e32 v34, v15
	v_mul_hi_u32 v36, v4, v12
	v_mul_hi_u32 v23, v2, v12
	;; [unrolled: 1-line block ×3, first 2 shown]
	v_mad_u64_u32 v[26:27], s[0:1], s26, v15, v[6:7]
	v_cndmask_b32_e32 v8, v8, v21, vcc
	v_mad_u64_u32 v[30:31], s[2:3], s24, v30, v[4:5]
	v_mad_u64_u32 v[32:33], s[4:5], s24, v32, v[2:3]
	v_cndmask_b32_e32 v20, v20, v28, vcc
	v_add_u32_e32 v15, 1, v36
	v_cmp_le_u32_e64 s[0:1], s24, v22
	v_add_u32_e32 v4, 1, v23
	v_cmp_le_u32_e64 s[2:3], s24, v24
	;; [unrolled: 2-line block ×3, first 2 shown]
	v_mad_u64_u32 v[34:35], s[28:29], s24, v34, v[6:7]
	v_add_u32_e32 v27, 1, v8
	v_cmp_le_u32_e32 vcc, s24, v20
	v_cndmask_b32_e64 v15, v36, v15, s[0:1]
	v_cndmask_b32_e64 v22, v22, v30, s[0:1]
	;; [unrolled: 1-line block ×6, first 2 shown]
	v_cndmask_b32_e32 v8, v8, v27, vcc
	v_add_u32_e32 v25, 1, v15
	v_cmp_le_u32_e32 vcc, s24, v22
	v_cmp_le_u32_e64 s[2:3], s24, v21
	v_mad_u64_u32 v[20:21], s[4:5], s26, v8, v[0:1]
	v_add_u32_e32 v22, 1, v4
	v_cmp_le_u32_e64 s[0:1], s24, v23
	v_add_u32_e32 v23, 1, v24
	v_mul_hi_u32 v21, v8, v13
	v_cndmask_b32_e32 v15, v15, v25, vcc
	v_cndmask_b32_e64 v28, v4, v22, s[0:1]
	v_cndmask_b32_e64 v29, v24, v23, s[2:3]
	v_mul_lo_u32 v4, v21, s25
	v_mad_u64_u32 v[22:23], s[0:1], s26, v15, v[0:1]
	v_mul_hi_u32 v23, v15, v13
	v_mad_u64_u32 v[24:25], s[0:1], s26, v28, v[2:3]
	v_sub_u32_e32 v4, v8, v4
	v_add_u32_e32 v30, 1, v21
	v_mul_hi_u32 v2, v28, v13
	v_add_u32_e32 v0, s15, v0
	v_mul_lo_u32 v25, v23, s25
	v_cmp_le_u32_e32 vcc, s25, v4
	v_mad_u64_u32 v[26:27], s[0:1], s26, v29, v[6:7]
	v_mul_hi_u32 v6, v29, v13
	v_mul_lo_u32 v31, v2, s25
	v_add_u32_e32 v35, 4, v0
	v_cndmask_b32_e32 v21, v21, v30, vcc
	v_subrev_u32_e32 v30, s25, v4
	v_sub_u32_e32 v25, v15, v25
	v_add_u32_e32 v27, 1, v23
	v_mul_lo_u32 v33, v6, s25
	v_sub_u32_e32 v31, v28, v31
	v_cmp_lt_u32_e64 s[0:1], s22, v35
	v_cndmask_b32_e32 v4, v4, v30, vcc
	v_cmp_le_u32_e32 vcc, s25, v25
	v_add_u32_e32 v32, 1, v2
	v_sub_u32_e32 v33, v29, v33
	v_add_u32_e32 v30, 1, v21
	v_cndmask_b32_e32 v23, v23, v27, vcc
	v_subrev_u32_e32 v27, s25, v25
	v_cmp_le_u32_e64 s[2:3], s25, v31
	s_or_b64 s[18:19], s[0:1], s[18:19]
	v_cmp_le_u32_e64 s[0:1], s25, v4
	v_add_u32_e32 v34, 1, v6
	v_cndmask_b32_e64 v32, v2, v32, s[2:3]
	v_subrev_u32_e32 v2, s25, v31
	v_cmp_le_u32_e64 s[4:5], s25, v33
	v_cndmask_b32_e64 v4, v21, v30, s[0:1]
	v_cndmask_b32_e32 v21, v25, v27, vcc
	v_cndmask_b32_e64 v6, v6, v34, s[4:5]
	v_subrev_u32_e32 v34, s25, v33
	v_add_u32_e32 v25, 1, v23
	v_cndmask_b32_e64 v27, v31, v2, s[2:3]
	v_cmp_le_u32_e32 vcc, s25, v21
	v_add_u32_e32 v30, 1, v32
	v_cndmask_b32_e64 v31, v33, v34, s[4:5]
	v_mul_lo_u32 v34, v4, s25
	v_mul_lo_u32 v2, v4, s8
	v_cndmask_b32_e32 v4, v23, v25, vcc
	v_cmp_le_u32_e32 vcc, s25, v27
	v_add_u32_e32 v33, 1, v6
	v_mad_u64_u32 v[20:21], s[0:1], v20, s10, v[2:3]
	v_cndmask_b32_e32 v23, v32, v30, vcc
	v_cmp_le_u32_e32 vcc, s25, v31
	v_mul_lo_u32 v22, s10, v22
	v_sub_u32_e32 v8, v8, v34
	v_cndmask_b32_e32 v6, v6, v33, vcc
	v_mul_lo_u32 v21, v4, s25
	v_mul_lo_u32 v25, v4, s8
	;; [unrolled: 1-line block ×7, first 2 shown]
	v_sub_u32_e32 v8, v15, v21
	v_add3_u32 v15, v22, s10, v25
	v_sub_u32_e32 v21, v28, v27
	v_mad_u64_u32 v[22:23], s[0:1], v24, s10, v[2:3]
	v_sub_u32_e32 v2, v29, v30
	v_mad_u64_u32 v[24:25], s[0:1], v26, s10, v[4:5]
	v_mul_lo_u32 v4, v8, s9
	v_mul_lo_u32 v8, v21, s9
	;; [unrolled: 1-line block ×3, first 2 shown]
	v_add3_u32 v2, v20, v6, s11
	v_mov_b32_e32 v9, v1
	v_add_u32_e32 v10, s15, v10
	v_add_u32_e32 v11, s15, v11
	;; [unrolled: 1-line block ×3, first 2 shown]
	v_lshl_add_u64 v[2:3], v[2:3], 2, s[6:7]
	v_add3_u32 v4, v15, v4, s11
	v_add3_u32 v6, v22, v8, s11
	;; [unrolled: 1-line block ×3, first 2 shown]
	v_lshl_add_u64 v[4:5], v[4:5], 2, s[6:7]
	v_lshl_add_u64 v[6:7], v[6:7], 2, s[6:7]
	;; [unrolled: 1-line block ×3, first 2 shown]
	s_waitcnt vmcnt(0)
	global_store_dword v[2:3], v16, off
	global_store_dword v[4:5], v17, off
	global_store_dword v[6:7], v18, off
	global_store_dword v[8:9], v19, off
	s_andn2_b64 exec, exec, s[18:19]
	s_cbranch_execnz .LBB51_3
; %bb.4:
	s_or_b64 exec, exec, s[18:19]
.LBB51_5:
	s_or_b64 exec, exec, s[20:21]
	v_cmp_gt_u32_e32 vcc, s22, v0
	s_and_b64 exec, exec, vcc
	s_cbranch_execz .LBB51_8
; %bb.6:
	s_cmp_eq_u32 s14, 2
	s_cselect_b32 s4, s23, s17
	v_cvt_f32_u32_e32 v1, s4
	s_cmp_eq_u32 s14, 1
	s_cselect_b32 s5, s23, s16
	v_cvt_f32_u32_e32 v2, s5
	v_rcp_iflag_f32_e32 v1, v1
	s_sub_i32 s0, 0, s4
	v_mov_b32_e32 v3, 0
	v_rcp_iflag_f32_e32 v2, v2
	v_mul_f32_e32 v1, 0x4f7ffffe, v1
	v_cvt_u32_f32_e32 v1, v1
	v_mov_b32_e32 v5, v3
	v_mul_f32_e32 v2, 0x4f7ffffe, v2
	v_cvt_u32_f32_e32 v2, v2
	v_mul_lo_u32 v4, s0, v1
	v_mul_hi_u32 v4, v1, v4
	s_sub_i32 s0, 0, s5
	v_add_u32_e32 v4, v1, v4
	v_mul_lo_u32 v1, s0, v2
	v_mul_hi_u32 v1, v2, v1
	v_add_u32_e32 v10, v2, v1
	v_mov_b32_e32 v1, v3
	v_mad_u64_u32 v[6:7], s[0:1], v0, v4, 0
	v_lshl_add_u64 v[8:9], v[0:1], 2, s[12:13]
	s_mov_b64 s[2:3], 0
.LBB51_7:                               ; =>This Inner Loop Header: Depth=1
	global_load_dword v1, v[8:9], off
	v_mul_lo_u32 v2, s4, v7
	v_not_b32_e32 v11, v7
	v_sub_u32_e32 v2, v0, v2
	v_add_u32_e32 v14, 1, v7
	v_cmp_le_u32_e32 vcc, s4, v2
	v_lshl_add_u64 v[8:9], v[8:9], 0, 4
	s_waitcnt vmcnt(0)
	v_mad_u64_u32 v[12:13], s[0:1], s4, v11, v[0:1]
	v_cndmask_b32_e32 v11, v7, v14, vcc
	v_cndmask_b32_e32 v2, v2, v12, vcc
	v_add_u32_e32 v12, 1, v11
	v_cmp_le_u32_e32 vcc, s4, v2
	v_lshl_add_u64 v[6:7], v[6:7], 0, v[4:5]
	s_nop 0
	v_cndmask_b32_e32 v11, v11, v12, vcc
	v_mul_hi_u32 v2, v11, v10
	v_mul_lo_u32 v13, v2, s5
	v_sub_u32_e32 v13, v11, v13
	v_mul_lo_u32 v12, v11, s4
	v_add_u32_e32 v14, 1, v2
	v_cmp_le_u32_e64 s[0:1], s5, v13
	v_sub_u32_e32 v12, v0, v12
	v_add_u32_e32 v0, 1, v0
	v_cndmask_b32_e64 v2, v2, v14, s[0:1]
	v_subrev_u32_e32 v14, s5, v13
	v_cmp_le_u32_e32 vcc, s22, v0
	v_cndmask_b32_e64 v13, v13, v14, s[0:1]
	s_or_b64 s[2:3], vcc, s[2:3]
	v_add_u32_e32 v14, 1, v2
	v_cmp_le_u32_e32 vcc, s5, v13
	s_nop 1
	v_cndmask_b32_e32 v2, v2, v14, vcc
	v_mul_lo_u32 v13, v2, s5
	v_mul_lo_u32 v2, v2, s8
	v_sub_u32_e32 v11, v11, v13
	v_mad_u64_u32 v[12:13], s[0:1], v12, s10, v[2:3]
	v_mul_lo_u32 v2, v11, s9
	v_add3_u32 v2, v12, v2, s11
	v_lshl_add_u64 v[12:13], v[2:3], 2, s[6:7]
	global_store_dword v[12:13], v1, off
	s_andn2_b64 exec, exec, s[2:3]
	s_cbranch_execnz .LBB51_7
.LBB51_8:
	s_endpgm
	.section	.rodata,"a",@progbits
	.p2align	6, 0x0
	.amdhsa_kernel _ZN2at6native12_GLOBAL__N_135CatArrayBatchedCopy_alignedK_contigINS1_10OpaqueTypeILj4EEEjLi3ELi128ELi1ELi16EEEvPT_NS1_25CatArrInputTensorMetadataIS5_T0_XT2_EXT3_EEENS1_16TensorSizeStrideIS8_Lj4EEEiS8_
		.amdhsa_group_segment_fixed_size 0
		.amdhsa_private_segment_fixed_size 0
		.amdhsa_kernarg_size 3024
		.amdhsa_user_sgpr_count 2
		.amdhsa_user_sgpr_dispatch_ptr 0
		.amdhsa_user_sgpr_queue_ptr 0
		.amdhsa_user_sgpr_kernarg_segment_ptr 1
		.amdhsa_user_sgpr_dispatch_id 0
		.amdhsa_user_sgpr_kernarg_preload_length 0
		.amdhsa_user_sgpr_kernarg_preload_offset 0
		.amdhsa_user_sgpr_private_segment_size 0
		.amdhsa_uses_dynamic_stack 0
		.amdhsa_enable_private_segment 0
		.amdhsa_system_sgpr_workgroup_id_x 1
		.amdhsa_system_sgpr_workgroup_id_y 1
		.amdhsa_system_sgpr_workgroup_id_z 0
		.amdhsa_system_sgpr_workgroup_info 0
		.amdhsa_system_vgpr_workitem_id 0
		.amdhsa_next_free_vgpr 37
		.amdhsa_next_free_sgpr 30
		.amdhsa_accum_offset 40
		.amdhsa_reserve_vcc 1
		.amdhsa_float_round_mode_32 0
		.amdhsa_float_round_mode_16_64 0
		.amdhsa_float_denorm_mode_32 3
		.amdhsa_float_denorm_mode_16_64 3
		.amdhsa_dx10_clamp 1
		.amdhsa_ieee_mode 1
		.amdhsa_fp16_overflow 0
		.amdhsa_tg_split 0
		.amdhsa_exception_fp_ieee_invalid_op 0
		.amdhsa_exception_fp_denorm_src 0
		.amdhsa_exception_fp_ieee_div_zero 0
		.amdhsa_exception_fp_ieee_overflow 0
		.amdhsa_exception_fp_ieee_underflow 0
		.amdhsa_exception_fp_ieee_inexact 0
		.amdhsa_exception_int_div_zero 0
	.end_amdhsa_kernel
	.section	.text._ZN2at6native12_GLOBAL__N_135CatArrayBatchedCopy_alignedK_contigINS1_10OpaqueTypeILj4EEEjLi3ELi128ELi1ELi16EEEvPT_NS1_25CatArrInputTensorMetadataIS5_T0_XT2_EXT3_EEENS1_16TensorSizeStrideIS8_Lj4EEEiS8_,"axG",@progbits,_ZN2at6native12_GLOBAL__N_135CatArrayBatchedCopy_alignedK_contigINS1_10OpaqueTypeILj4EEEjLi3ELi128ELi1ELi16EEEvPT_NS1_25CatArrInputTensorMetadataIS5_T0_XT2_EXT3_EEENS1_16TensorSizeStrideIS8_Lj4EEEiS8_,comdat
.Lfunc_end51:
	.size	_ZN2at6native12_GLOBAL__N_135CatArrayBatchedCopy_alignedK_contigINS1_10OpaqueTypeILj4EEEjLi3ELi128ELi1ELi16EEEvPT_NS1_25CatArrInputTensorMetadataIS5_T0_XT2_EXT3_EEENS1_16TensorSizeStrideIS8_Lj4EEEiS8_, .Lfunc_end51-_ZN2at6native12_GLOBAL__N_135CatArrayBatchedCopy_alignedK_contigINS1_10OpaqueTypeILj4EEEjLi3ELi128ELi1ELi16EEEvPT_NS1_25CatArrInputTensorMetadataIS5_T0_XT2_EXT3_EEENS1_16TensorSizeStrideIS8_Lj4EEEiS8_
                                        ; -- End function
	.set _ZN2at6native12_GLOBAL__N_135CatArrayBatchedCopy_alignedK_contigINS1_10OpaqueTypeILj4EEEjLi3ELi128ELi1ELi16EEEvPT_NS1_25CatArrInputTensorMetadataIS5_T0_XT2_EXT3_EEENS1_16TensorSizeStrideIS8_Lj4EEEiS8_.num_vgpr, 37
	.set _ZN2at6native12_GLOBAL__N_135CatArrayBatchedCopy_alignedK_contigINS1_10OpaqueTypeILj4EEEjLi3ELi128ELi1ELi16EEEvPT_NS1_25CatArrInputTensorMetadataIS5_T0_XT2_EXT3_EEENS1_16TensorSizeStrideIS8_Lj4EEEiS8_.num_agpr, 0
	.set _ZN2at6native12_GLOBAL__N_135CatArrayBatchedCopy_alignedK_contigINS1_10OpaqueTypeILj4EEEjLi3ELi128ELi1ELi16EEEvPT_NS1_25CatArrInputTensorMetadataIS5_T0_XT2_EXT3_EEENS1_16TensorSizeStrideIS8_Lj4EEEiS8_.numbered_sgpr, 30
	.set _ZN2at6native12_GLOBAL__N_135CatArrayBatchedCopy_alignedK_contigINS1_10OpaqueTypeILj4EEEjLi3ELi128ELi1ELi16EEEvPT_NS1_25CatArrInputTensorMetadataIS5_T0_XT2_EXT3_EEENS1_16TensorSizeStrideIS8_Lj4EEEiS8_.num_named_barrier, 0
	.set _ZN2at6native12_GLOBAL__N_135CatArrayBatchedCopy_alignedK_contigINS1_10OpaqueTypeILj4EEEjLi3ELi128ELi1ELi16EEEvPT_NS1_25CatArrInputTensorMetadataIS5_T0_XT2_EXT3_EEENS1_16TensorSizeStrideIS8_Lj4EEEiS8_.private_seg_size, 0
	.set _ZN2at6native12_GLOBAL__N_135CatArrayBatchedCopy_alignedK_contigINS1_10OpaqueTypeILj4EEEjLi3ELi128ELi1ELi16EEEvPT_NS1_25CatArrInputTensorMetadataIS5_T0_XT2_EXT3_EEENS1_16TensorSizeStrideIS8_Lj4EEEiS8_.uses_vcc, 1
	.set _ZN2at6native12_GLOBAL__N_135CatArrayBatchedCopy_alignedK_contigINS1_10OpaqueTypeILj4EEEjLi3ELi128ELi1ELi16EEEvPT_NS1_25CatArrInputTensorMetadataIS5_T0_XT2_EXT3_EEENS1_16TensorSizeStrideIS8_Lj4EEEiS8_.uses_flat_scratch, 0
	.set _ZN2at6native12_GLOBAL__N_135CatArrayBatchedCopy_alignedK_contigINS1_10OpaqueTypeILj4EEEjLi3ELi128ELi1ELi16EEEvPT_NS1_25CatArrInputTensorMetadataIS5_T0_XT2_EXT3_EEENS1_16TensorSizeStrideIS8_Lj4EEEiS8_.has_dyn_sized_stack, 0
	.set _ZN2at6native12_GLOBAL__N_135CatArrayBatchedCopy_alignedK_contigINS1_10OpaqueTypeILj4EEEjLi3ELi128ELi1ELi16EEEvPT_NS1_25CatArrInputTensorMetadataIS5_T0_XT2_EXT3_EEENS1_16TensorSizeStrideIS8_Lj4EEEiS8_.has_recursion, 0
	.set _ZN2at6native12_GLOBAL__N_135CatArrayBatchedCopy_alignedK_contigINS1_10OpaqueTypeILj4EEEjLi3ELi128ELi1ELi16EEEvPT_NS1_25CatArrInputTensorMetadataIS5_T0_XT2_EXT3_EEENS1_16TensorSizeStrideIS8_Lj4EEEiS8_.has_indirect_call, 0
	.section	.AMDGPU.csdata,"",@progbits
; Kernel info:
; codeLenInByte = 1660
; TotalNumSgprs: 36
; NumVgprs: 37
; NumAgprs: 0
; TotalNumVgprs: 37
; ScratchSize: 0
; MemoryBound: 0
; FloatMode: 240
; IeeeMode: 1
; LDSByteSize: 0 bytes/workgroup (compile time only)
; SGPRBlocks: 4
; VGPRBlocks: 4
; NumSGPRsForWavesPerEU: 36
; NumVGPRsForWavesPerEU: 37
; AccumOffset: 40
; Occupancy: 8
; WaveLimiterHint : 1
; COMPUTE_PGM_RSRC2:SCRATCH_EN: 0
; COMPUTE_PGM_RSRC2:USER_SGPR: 2
; COMPUTE_PGM_RSRC2:TRAP_HANDLER: 0
; COMPUTE_PGM_RSRC2:TGID_X_EN: 1
; COMPUTE_PGM_RSRC2:TGID_Y_EN: 1
; COMPUTE_PGM_RSRC2:TGID_Z_EN: 0
; COMPUTE_PGM_RSRC2:TIDIG_COMP_CNT: 0
; COMPUTE_PGM_RSRC3_GFX90A:ACCUM_OFFSET: 9
; COMPUTE_PGM_RSRC3_GFX90A:TG_SPLIT: 0
	.section	.text._ZN2at6native12_GLOBAL__N_135CatArrayBatchedCopy_alignedK_contigINS1_10OpaqueTypeILj4EEEjLi3ELi128ELi1ELi8EEEvPT_NS1_25CatArrInputTensorMetadataIS5_T0_XT2_EXT3_EEENS1_16TensorSizeStrideIS8_Lj4EEEiS8_,"axG",@progbits,_ZN2at6native12_GLOBAL__N_135CatArrayBatchedCopy_alignedK_contigINS1_10OpaqueTypeILj4EEEjLi3ELi128ELi1ELi8EEEvPT_NS1_25CatArrInputTensorMetadataIS5_T0_XT2_EXT3_EEENS1_16TensorSizeStrideIS8_Lj4EEEiS8_,comdat
	.globl	_ZN2at6native12_GLOBAL__N_135CatArrayBatchedCopy_alignedK_contigINS1_10OpaqueTypeILj4EEEjLi3ELi128ELi1ELi8EEEvPT_NS1_25CatArrInputTensorMetadataIS5_T0_XT2_EXT3_EEENS1_16TensorSizeStrideIS8_Lj4EEEiS8_ ; -- Begin function _ZN2at6native12_GLOBAL__N_135CatArrayBatchedCopy_alignedK_contigINS1_10OpaqueTypeILj4EEEjLi3ELi128ELi1ELi8EEEvPT_NS1_25CatArrInputTensorMetadataIS5_T0_XT2_EXT3_EEENS1_16TensorSizeStrideIS8_Lj4EEEiS8_
	.p2align	8
	.type	_ZN2at6native12_GLOBAL__N_135CatArrayBatchedCopy_alignedK_contigINS1_10OpaqueTypeILj4EEEjLi3ELi128ELi1ELi8EEEvPT_NS1_25CatArrInputTensorMetadataIS5_T0_XT2_EXT3_EEENS1_16TensorSizeStrideIS8_Lj4EEEiS8_,@function
_ZN2at6native12_GLOBAL__N_135CatArrayBatchedCopy_alignedK_contigINS1_10OpaqueTypeILj4EEEjLi3ELi128ELi1ELi8EEEvPT_NS1_25CatArrInputTensorMetadataIS5_T0_XT2_EXT3_EEENS1_16TensorSizeStrideIS8_Lj4EEEiS8_: ; @_ZN2at6native12_GLOBAL__N_135CatArrayBatchedCopy_alignedK_contigINS1_10OpaqueTypeILj4EEEjLi3ELi128ELi1ELi8EEEvPT_NS1_25CatArrInputTensorMetadataIS5_T0_XT2_EXT3_EEENS1_16TensorSizeStrideIS8_Lj4EEEiS8_
; %bb.0:
	s_mov_b32 s4, s3
	s_load_dword s3, s[0:1], 0xadc
	s_add_u32 s18, s0, 0xad0
	s_mov_b32 s5, 0
	s_addc_u32 s19, s1, 0
	s_lshl_b64 s[8:9], s[4:5], 2
	s_waitcnt lgkmcnt(0)
	s_and_b32 s22, s3, 0xffff
	s_add_u32 s4, s0, s8
	s_addc_u32 s5, s1, s9
	s_load_dword s20, s[4:5], 0x808
	s_mul_i32 s2, s2, s22
	v_add_lshl_u32 v0, s2, v0, 1
	s_add_u32 s2, s4, 8
	s_addc_u32 s3, s5, 0
	s_waitcnt lgkmcnt(0)
	v_cmp_gt_u32_e32 vcc, s20, v0
	s_and_saveexec_b64 s[4:5], vcc
	s_cbranch_execz .LBB52_8
; %bb.1:
	s_add_u32 s14, s2, s8
	s_addc_u32 s15, s3, s9
	s_sub_u32 s2, 0, s8
	s_load_dwordx2 s[10:11], s[0:1], 0xac8
	s_load_dwordx4 s[4:7], s[0:1], 0xab8
	s_subb_u32 s3, 0, s9
	s_add_u32 s16, s14, s2
	s_addc_u32 s17, s15, s3
	s_waitcnt lgkmcnt(0)
	s_load_dword s7, s[16:17], 0x400
	s_load_dwordx2 s[2:3], s[0:1], 0x0
	s_load_dwordx2 s[12:13], s[0:1], 0xaac
	;; [unrolled: 1-line block ×3, first 2 shown]
	s_load_dword s21, s[16:17], 0x600
	v_add_u32_e32 v1, 2, v0
	s_mov_b64 s[14:15], 0
	s_waitcnt lgkmcnt(0)
	s_mul_i32 s7, s7, s11
	v_cmp_ge_u32_e32 vcc, s20, v1
	s_and_saveexec_b64 s[16:17], vcc
	s_cbranch_execz .LBB52_5
; %bb.2:
	s_load_dword s0, s[18:19], 0x0
	s_waitcnt lgkmcnt(0)
	s_mul_i32 s0, s0, s22
	s_lshl_b32 s11, s0, 1
	s_cmp_eq_u32 s10, 2
	s_cselect_b32 s18, s21, s13
	s_cmp_eq_u32 s10, 1
	v_cvt_f32_u32_e32 v1, s18
	s_cselect_b32 s19, s21, s12
	v_cvt_f32_u32_e32 v2, s19
	s_sub_i32 s22, 0, s18
	v_rcp_iflag_f32_e32 v3, v1
	s_sub_i32 s0, 0, s19
	v_rcp_iflag_f32_e32 v2, v2
	v_mov_b32_e32 v1, 0
	v_mul_f32_e32 v3, 0x4f7ffffe, v3
	v_cvt_u32_f32_e32 v3, v3
	v_mul_f32_e32 v2, 0x4f7ffffe, v2
	v_cvt_u32_f32_e32 v4, v2
	v_mul_lo_u32 v2, s22, v3
	v_mul_hi_u32 v2, v3, v2
	v_mul_lo_u32 v5, s0, v4
	v_add_u32_e32 v2, v3, v2
	v_mul_hi_u32 v3, v4, v5
	v_add_u32_e32 v3, v4, v3
	v_add_u32_e32 v4, 1, v0
.LBB52_3:                               ; =>This Inner Loop Header: Depth=1
	v_lshl_add_u64 v[6:7], v[0:1], 2, s[8:9]
	global_load_dwordx2 v[6:7], v[6:7], off
	v_mul_hi_u32 v5, v2, v0
	v_mul_hi_u32 v10, v2, v4
	v_not_b32_e32 v16, v5
	v_mad_u64_u32 v[12:13], s[0:1], s22, v5, v[0:1]
	v_add_u32_e32 v8, 1, v0
	v_mov_b32_e32 v9, v1
	v_not_b32_e32 v18, v10
	v_add_u32_e32 v13, 1, v5
	v_cmp_le_u32_e32 vcc, s18, v12
	v_mad_u64_u32 v[16:17], s[0:1], s18, v16, v[0:1]
	v_mul_hi_u32 v20, v8, v2
	v_mad_u64_u32 v[14:15], s[0:1], s22, v10, v[8:9]
	v_cndmask_b32_e32 v5, v5, v13, vcc
	v_mad_u64_u32 v[18:19], s[24:25], s18, v18, v[8:9]
	v_cndmask_b32_e32 v8, v12, v16, vcc
	v_add_u32_e32 v10, 1, v20
	v_cmp_le_u32_e64 s[0:1], s18, v14
	v_add_u32_e32 v12, 1, v5
	v_cmp_le_u32_e32 vcc, s18, v8
	v_cndmask_b32_e64 v10, v20, v10, s[0:1]
	v_cndmask_b32_e64 v13, v14, v18, s[0:1]
	v_cndmask_b32_e32 v5, v5, v12, vcc
	v_add_u32_e32 v8, 1, v10
	v_cmp_le_u32_e32 vcc, s18, v13
	v_mad_u64_u32 v[12:13], s[0:1], s22, v5, v[0:1]
	v_mul_hi_u32 v13, v5, v3
	v_cndmask_b32_e32 v10, v10, v8, vcc
	v_mul_lo_u32 v8, v13, s19
	v_mad_u64_u32 v[14:15], s[0:1], s22, v10, v[0:1]
	v_mul_hi_u32 v15, v10, v3
	v_sub_u32_e32 v8, v5, v8
	v_add_u32_e32 v16, 1, v13
	v_add_u32_e32 v0, s11, v0
	v_mul_lo_u32 v17, v15, s19
	v_cmp_le_u32_e32 vcc, s19, v8
	v_add_u32_e32 v19, 2, v0
	v_sub_u32_e32 v17, v10, v17
	v_cndmask_b32_e32 v13, v13, v16, vcc
	v_subrev_u32_e32 v16, s19, v8
	v_add_u32_e32 v18, 1, v15
	v_cmp_lt_u32_e64 s[0:1], s20, v19
	v_cndmask_b32_e32 v8, v8, v16, vcc
	v_cmp_le_u32_e32 vcc, s19, v17
	v_add_u32_e32 v16, 1, v13
	s_or_b64 s[14:15], s[0:1], s[14:15]
	v_cndmask_b32_e32 v15, v15, v18, vcc
	v_subrev_u32_e32 v18, s19, v17
	v_cmp_le_u32_e64 s[0:1], s19, v8
	v_mul_lo_u32 v14, s6, v14
	v_mov_b32_e32 v11, v1
	v_cndmask_b32_e64 v8, v13, v16, s[0:1]
	v_cndmask_b32_e32 v13, v17, v18, vcc
	v_add_u32_e32 v16, 1, v15
	v_cmp_le_u32_e32 vcc, s19, v13
	v_mul_lo_u32 v17, v8, s19
	v_mul_lo_u32 v8, v8, s4
	v_cndmask_b32_e32 v15, v15, v16, vcc
	v_sub_u32_e32 v5, v5, v17
	v_mad_u64_u32 v[12:13], s[0:1], v12, s6, v[8:9]
	v_mul_lo_u32 v8, v15, s19
	v_mul_lo_u32 v13, v15, s4
	;; [unrolled: 1-line block ×3, first 2 shown]
	v_sub_u32_e32 v8, v10, v8
	v_add3_u32 v10, v14, s6, v13
	v_mul_lo_u32 v13, v8, s5
	v_add3_u32 v8, v12, v5, s7
	v_add_u32_e32 v4, s11, v4
	v_lshl_add_u64 v[8:9], v[8:9], 2, s[2:3]
	v_add3_u32 v10, v10, v13, s7
	v_lshl_add_u64 v[10:11], v[10:11], 2, s[2:3]
	s_waitcnt vmcnt(0)
	global_store_dword v[8:9], v6, off
	global_store_dword v[10:11], v7, off
	s_andn2_b64 exec, exec, s[14:15]
	s_cbranch_execnz .LBB52_3
; %bb.4:
	s_or_b64 exec, exec, s[14:15]
.LBB52_5:
	s_or_b64 exec, exec, s[16:17]
	v_cmp_gt_u32_e32 vcc, s20, v0
	s_and_b64 exec, exec, vcc
	s_cbranch_execz .LBB52_8
; %bb.6:
	s_cmp_eq_u32 s10, 2
	s_cselect_b32 s11, s21, s13
	v_cvt_f32_u32_e32 v1, s11
	s_cmp_eq_u32 s10, 1
	s_cselect_b32 s10, s21, s12
	v_cvt_f32_u32_e32 v2, s10
	v_rcp_iflag_f32_e32 v1, v1
	s_sub_i32 s0, 0, s11
	v_mov_b32_e32 v3, 0
	v_rcp_iflag_f32_e32 v2, v2
	v_mul_f32_e32 v1, 0x4f7ffffe, v1
	v_cvt_u32_f32_e32 v1, v1
	v_mov_b32_e32 v5, v3
	v_mul_f32_e32 v2, 0x4f7ffffe, v2
	v_cvt_u32_f32_e32 v2, v2
	v_mul_lo_u32 v4, s0, v1
	v_mul_hi_u32 v4, v1, v4
	s_sub_i32 s0, 0, s10
	v_add_u32_e32 v4, v1, v4
	v_mul_lo_u32 v1, s0, v2
	v_mul_hi_u32 v1, v2, v1
	v_add_u32_e32 v10, v2, v1
	v_mov_b32_e32 v1, v3
	v_mad_u64_u32 v[6:7], s[0:1], v0, v4, 0
	v_lshl_add_u64 v[8:9], v[0:1], 2, s[8:9]
	s_mov_b64 s[8:9], 0
.LBB52_7:                               ; =>This Inner Loop Header: Depth=1
	global_load_dword v1, v[8:9], off
	v_mul_lo_u32 v2, s11, v7
	v_not_b32_e32 v11, v7
	v_sub_u32_e32 v2, v0, v2
	v_add_u32_e32 v14, 1, v7
	v_cmp_le_u32_e32 vcc, s11, v2
	v_lshl_add_u64 v[8:9], v[8:9], 0, 4
	s_waitcnt vmcnt(0)
	v_mad_u64_u32 v[12:13], s[0:1], s11, v11, v[0:1]
	v_cndmask_b32_e32 v11, v7, v14, vcc
	v_cndmask_b32_e32 v2, v2, v12, vcc
	v_add_u32_e32 v12, 1, v11
	v_cmp_le_u32_e32 vcc, s11, v2
	v_lshl_add_u64 v[6:7], v[6:7], 0, v[4:5]
	s_nop 0
	v_cndmask_b32_e32 v11, v11, v12, vcc
	v_mul_hi_u32 v2, v11, v10
	v_mul_lo_u32 v13, v2, s10
	v_sub_u32_e32 v13, v11, v13
	v_mul_lo_u32 v12, v11, s11
	v_add_u32_e32 v14, 1, v2
	v_cmp_le_u32_e64 s[0:1], s10, v13
	v_sub_u32_e32 v12, v0, v12
	v_add_u32_e32 v0, 1, v0
	v_cndmask_b32_e64 v2, v2, v14, s[0:1]
	v_subrev_u32_e32 v14, s10, v13
	v_cmp_le_u32_e32 vcc, s20, v0
	v_cndmask_b32_e64 v13, v13, v14, s[0:1]
	s_or_b64 s[8:9], vcc, s[8:9]
	v_add_u32_e32 v14, 1, v2
	v_cmp_le_u32_e32 vcc, s10, v13
	s_nop 1
	v_cndmask_b32_e32 v2, v2, v14, vcc
	v_mul_lo_u32 v13, v2, s10
	v_mul_lo_u32 v2, v2, s4
	v_sub_u32_e32 v11, v11, v13
	v_mad_u64_u32 v[12:13], s[0:1], v12, s6, v[2:3]
	v_mul_lo_u32 v2, v11, s5
	v_add3_u32 v2, v12, v2, s7
	v_lshl_add_u64 v[12:13], v[2:3], 2, s[2:3]
	global_store_dword v[12:13], v1, off
	s_andn2_b64 exec, exec, s[8:9]
	s_cbranch_execnz .LBB52_7
.LBB52_8:
	s_endpgm
	.section	.rodata,"a",@progbits
	.p2align	6, 0x0
	.amdhsa_kernel _ZN2at6native12_GLOBAL__N_135CatArrayBatchedCopy_alignedK_contigINS1_10OpaqueTypeILj4EEEjLi3ELi128ELi1ELi8EEEvPT_NS1_25CatArrInputTensorMetadataIS5_T0_XT2_EXT3_EEENS1_16TensorSizeStrideIS8_Lj4EEEiS8_
		.amdhsa_group_segment_fixed_size 0
		.amdhsa_private_segment_fixed_size 0
		.amdhsa_kernarg_size 3024
		.amdhsa_user_sgpr_count 2
		.amdhsa_user_sgpr_dispatch_ptr 0
		.amdhsa_user_sgpr_queue_ptr 0
		.amdhsa_user_sgpr_kernarg_segment_ptr 1
		.amdhsa_user_sgpr_dispatch_id 0
		.amdhsa_user_sgpr_kernarg_preload_length 0
		.amdhsa_user_sgpr_kernarg_preload_offset 0
		.amdhsa_user_sgpr_private_segment_size 0
		.amdhsa_uses_dynamic_stack 0
		.amdhsa_enable_private_segment 0
		.amdhsa_system_sgpr_workgroup_id_x 1
		.amdhsa_system_sgpr_workgroup_id_y 1
		.amdhsa_system_sgpr_workgroup_id_z 0
		.amdhsa_system_sgpr_workgroup_info 0
		.amdhsa_system_vgpr_workitem_id 0
		.amdhsa_next_free_vgpr 21
		.amdhsa_next_free_sgpr 26
		.amdhsa_accum_offset 24
		.amdhsa_reserve_vcc 1
		.amdhsa_float_round_mode_32 0
		.amdhsa_float_round_mode_16_64 0
		.amdhsa_float_denorm_mode_32 3
		.amdhsa_float_denorm_mode_16_64 3
		.amdhsa_dx10_clamp 1
		.amdhsa_ieee_mode 1
		.amdhsa_fp16_overflow 0
		.amdhsa_tg_split 0
		.amdhsa_exception_fp_ieee_invalid_op 0
		.amdhsa_exception_fp_denorm_src 0
		.amdhsa_exception_fp_ieee_div_zero 0
		.amdhsa_exception_fp_ieee_overflow 0
		.amdhsa_exception_fp_ieee_underflow 0
		.amdhsa_exception_fp_ieee_inexact 0
		.amdhsa_exception_int_div_zero 0
	.end_amdhsa_kernel
	.section	.text._ZN2at6native12_GLOBAL__N_135CatArrayBatchedCopy_alignedK_contigINS1_10OpaqueTypeILj4EEEjLi3ELi128ELi1ELi8EEEvPT_NS1_25CatArrInputTensorMetadataIS5_T0_XT2_EXT3_EEENS1_16TensorSizeStrideIS8_Lj4EEEiS8_,"axG",@progbits,_ZN2at6native12_GLOBAL__N_135CatArrayBatchedCopy_alignedK_contigINS1_10OpaqueTypeILj4EEEjLi3ELi128ELi1ELi8EEEvPT_NS1_25CatArrInputTensorMetadataIS5_T0_XT2_EXT3_EEENS1_16TensorSizeStrideIS8_Lj4EEEiS8_,comdat
.Lfunc_end52:
	.size	_ZN2at6native12_GLOBAL__N_135CatArrayBatchedCopy_alignedK_contigINS1_10OpaqueTypeILj4EEEjLi3ELi128ELi1ELi8EEEvPT_NS1_25CatArrInputTensorMetadataIS5_T0_XT2_EXT3_EEENS1_16TensorSizeStrideIS8_Lj4EEEiS8_, .Lfunc_end52-_ZN2at6native12_GLOBAL__N_135CatArrayBatchedCopy_alignedK_contigINS1_10OpaqueTypeILj4EEEjLi3ELi128ELi1ELi8EEEvPT_NS1_25CatArrInputTensorMetadataIS5_T0_XT2_EXT3_EEENS1_16TensorSizeStrideIS8_Lj4EEEiS8_
                                        ; -- End function
	.set _ZN2at6native12_GLOBAL__N_135CatArrayBatchedCopy_alignedK_contigINS1_10OpaqueTypeILj4EEEjLi3ELi128ELi1ELi8EEEvPT_NS1_25CatArrInputTensorMetadataIS5_T0_XT2_EXT3_EEENS1_16TensorSizeStrideIS8_Lj4EEEiS8_.num_vgpr, 21
	.set _ZN2at6native12_GLOBAL__N_135CatArrayBatchedCopy_alignedK_contigINS1_10OpaqueTypeILj4EEEjLi3ELi128ELi1ELi8EEEvPT_NS1_25CatArrInputTensorMetadataIS5_T0_XT2_EXT3_EEENS1_16TensorSizeStrideIS8_Lj4EEEiS8_.num_agpr, 0
	.set _ZN2at6native12_GLOBAL__N_135CatArrayBatchedCopy_alignedK_contigINS1_10OpaqueTypeILj4EEEjLi3ELi128ELi1ELi8EEEvPT_NS1_25CatArrInputTensorMetadataIS5_T0_XT2_EXT3_EEENS1_16TensorSizeStrideIS8_Lj4EEEiS8_.numbered_sgpr, 26
	.set _ZN2at6native12_GLOBAL__N_135CatArrayBatchedCopy_alignedK_contigINS1_10OpaqueTypeILj4EEEjLi3ELi128ELi1ELi8EEEvPT_NS1_25CatArrInputTensorMetadataIS5_T0_XT2_EXT3_EEENS1_16TensorSizeStrideIS8_Lj4EEEiS8_.num_named_barrier, 0
	.set _ZN2at6native12_GLOBAL__N_135CatArrayBatchedCopy_alignedK_contigINS1_10OpaqueTypeILj4EEEjLi3ELi128ELi1ELi8EEEvPT_NS1_25CatArrInputTensorMetadataIS5_T0_XT2_EXT3_EEENS1_16TensorSizeStrideIS8_Lj4EEEiS8_.private_seg_size, 0
	.set _ZN2at6native12_GLOBAL__N_135CatArrayBatchedCopy_alignedK_contigINS1_10OpaqueTypeILj4EEEjLi3ELi128ELi1ELi8EEEvPT_NS1_25CatArrInputTensorMetadataIS5_T0_XT2_EXT3_EEENS1_16TensorSizeStrideIS8_Lj4EEEiS8_.uses_vcc, 1
	.set _ZN2at6native12_GLOBAL__N_135CatArrayBatchedCopy_alignedK_contigINS1_10OpaqueTypeILj4EEEjLi3ELi128ELi1ELi8EEEvPT_NS1_25CatArrInputTensorMetadataIS5_T0_XT2_EXT3_EEENS1_16TensorSizeStrideIS8_Lj4EEEiS8_.uses_flat_scratch, 0
	.set _ZN2at6native12_GLOBAL__N_135CatArrayBatchedCopy_alignedK_contigINS1_10OpaqueTypeILj4EEEjLi3ELi128ELi1ELi8EEEvPT_NS1_25CatArrInputTensorMetadataIS5_T0_XT2_EXT3_EEENS1_16TensorSizeStrideIS8_Lj4EEEiS8_.has_dyn_sized_stack, 0
	.set _ZN2at6native12_GLOBAL__N_135CatArrayBatchedCopy_alignedK_contigINS1_10OpaqueTypeILj4EEEjLi3ELi128ELi1ELi8EEEvPT_NS1_25CatArrInputTensorMetadataIS5_T0_XT2_EXT3_EEENS1_16TensorSizeStrideIS8_Lj4EEEiS8_.has_recursion, 0
	.set _ZN2at6native12_GLOBAL__N_135CatArrayBatchedCopy_alignedK_contigINS1_10OpaqueTypeILj4EEEjLi3ELi128ELi1ELi8EEEvPT_NS1_25CatArrInputTensorMetadataIS5_T0_XT2_EXT3_EEENS1_16TensorSizeStrideIS8_Lj4EEEiS8_.has_indirect_call, 0
	.section	.AMDGPU.csdata,"",@progbits
; Kernel info:
; codeLenInByte = 1196
; TotalNumSgprs: 32
; NumVgprs: 21
; NumAgprs: 0
; TotalNumVgprs: 21
; ScratchSize: 0
; MemoryBound: 0
; FloatMode: 240
; IeeeMode: 1
; LDSByteSize: 0 bytes/workgroup (compile time only)
; SGPRBlocks: 3
; VGPRBlocks: 2
; NumSGPRsForWavesPerEU: 32
; NumVGPRsForWavesPerEU: 21
; AccumOffset: 24
; Occupancy: 8
; WaveLimiterHint : 1
; COMPUTE_PGM_RSRC2:SCRATCH_EN: 0
; COMPUTE_PGM_RSRC2:USER_SGPR: 2
; COMPUTE_PGM_RSRC2:TRAP_HANDLER: 0
; COMPUTE_PGM_RSRC2:TGID_X_EN: 1
; COMPUTE_PGM_RSRC2:TGID_Y_EN: 1
; COMPUTE_PGM_RSRC2:TGID_Z_EN: 0
; COMPUTE_PGM_RSRC2:TIDIG_COMP_CNT: 0
; COMPUTE_PGM_RSRC3_GFX90A:ACCUM_OFFSET: 5
; COMPUTE_PGM_RSRC3_GFX90A:TG_SPLIT: 0
	.section	.text._ZN2at6native12_GLOBAL__N_126CatArrayBatchedCopy_contigINS1_10OpaqueTypeILj4EEEjLi3ELi128ELi1EEEvPT_NS1_25CatArrInputTensorMetadataIS5_T0_XT2_EXT3_EEENS1_16TensorSizeStrideIS8_Lj4EEEiS8_,"axG",@progbits,_ZN2at6native12_GLOBAL__N_126CatArrayBatchedCopy_contigINS1_10OpaqueTypeILj4EEEjLi3ELi128ELi1EEEvPT_NS1_25CatArrInputTensorMetadataIS5_T0_XT2_EXT3_EEENS1_16TensorSizeStrideIS8_Lj4EEEiS8_,comdat
	.globl	_ZN2at6native12_GLOBAL__N_126CatArrayBatchedCopy_contigINS1_10OpaqueTypeILj4EEEjLi3ELi128ELi1EEEvPT_NS1_25CatArrInputTensorMetadataIS5_T0_XT2_EXT3_EEENS1_16TensorSizeStrideIS8_Lj4EEEiS8_ ; -- Begin function _ZN2at6native12_GLOBAL__N_126CatArrayBatchedCopy_contigINS1_10OpaqueTypeILj4EEEjLi3ELi128ELi1EEEvPT_NS1_25CatArrInputTensorMetadataIS5_T0_XT2_EXT3_EEENS1_16TensorSizeStrideIS8_Lj4EEEiS8_
	.p2align	8
	.type	_ZN2at6native12_GLOBAL__N_126CatArrayBatchedCopy_contigINS1_10OpaqueTypeILj4EEEjLi3ELi128ELi1EEEvPT_NS1_25CatArrInputTensorMetadataIS5_T0_XT2_EXT3_EEENS1_16TensorSizeStrideIS8_Lj4EEEiS8_,@function
_ZN2at6native12_GLOBAL__N_126CatArrayBatchedCopy_contigINS1_10OpaqueTypeILj4EEEjLi3ELi128ELi1EEEvPT_NS1_25CatArrInputTensorMetadataIS5_T0_XT2_EXT3_EEENS1_16TensorSizeStrideIS8_Lj4EEEiS8_: ; @_ZN2at6native12_GLOBAL__N_126CatArrayBatchedCopy_contigINS1_10OpaqueTypeILj4EEEjLi3ELi128ELi1EEEvPT_NS1_25CatArrInputTensorMetadataIS5_T0_XT2_EXT3_EEENS1_16TensorSizeStrideIS8_Lj4EEEiS8_
; %bb.0:
	s_mov_b32 s4, s3
	s_load_dword s3, s[0:1], 0xadc
	s_add_u32 s10, s0, 0xad0
	s_mov_b32 s5, 0
	s_addc_u32 s11, s1, 0
	s_lshl_b64 s[8:9], s[4:5], 2
	s_waitcnt lgkmcnt(0)
	s_and_b32 s15, s3, 0xffff
	s_add_u32 s4, s0, s8
	s_addc_u32 s5, s1, s9
	s_load_dword s12, s[4:5], 0x808
	s_mul_i32 s2, s2, s15
	v_add_u32_e32 v0, s2, v0
	s_add_u32 s13, s4, 8
	s_addc_u32 s14, s5, 0
	s_waitcnt lgkmcnt(0)
	v_cmp_gt_u32_e32 vcc, s12, v0
	s_and_saveexec_b64 s[2:3], vcc
	s_cbranch_execz .LBB53_3
; %bb.1:
	s_load_dwordx2 s[16:17], s[0:1], 0xac8
	s_load_dwordx4 s[4:7], s[0:1], 0xab8
	s_load_dwordx2 s[2:3], s[0:1], 0x0
	s_load_dwordx2 s[18:19], s[0:1], 0xaac
	s_add_u32 s0, s13, s8
	s_addc_u32 s1, s14, s9
	s_waitcnt lgkmcnt(0)
	s_sub_u32 s7, 0, s8
	s_subb_u32 s8, 0, s9
	s_add_u32 s20, s0, s7
	s_addc_u32 s21, s1, s8
	s_load_dwordx2 s[8:9], s[0:1], 0x0
	s_load_dword s22, s[20:21], 0x600
	s_load_dword s23, s[20:21], 0x400
	s_cmp_eq_u32 s16, 2
	s_load_dword s0, s[10:11], 0x0
	s_mov_b32 s13, s6
	s_waitcnt lgkmcnt(0)
	s_cselect_b32 s14, s22, s19
	v_cvt_f32_u32_e32 v1, s14
	s_cmp_eq_u32 s16, 1
	s_cselect_b32 s11, s22, s18
	v_cvt_f32_u32_e32 v2, s11
	v_rcp_iflag_f32_e32 v1, v1
	s_mul_i32 s15, s0, s15
	s_sub_i32 s0, 0, s14
	v_rcp_iflag_f32_e32 v2, v2
	v_mul_f32_e32 v1, 0x4f7ffffe, v1
	v_cvt_u32_f32_e32 v1, v1
	s_mov_b64 s[6:7], 0
	v_mul_f32_e32 v2, 0x4f7ffffe, v2
	v_cvt_u32_f32_e32 v4, v2
	v_mul_lo_u32 v3, s0, v1
	v_mul_hi_u32 v3, v1, v3
	s_sub_i32 s0, 0, s11
	v_add_u32_e32 v2, v1, v3
	v_mul_lo_u32 v3, s0, v4
	v_mul_hi_u32 v3, v4, v3
	s_mul_i32 s10, s23, s17
	v_mov_b32_e32 v1, 0
	v_add_u32_e32 v3, v4, v3
.LBB53_2:                               ; =>This Inner Loop Header: Depth=1
	v_lshl_add_u64 v[4:5], v[0:1], 2, s[8:9]
	global_load_dword v8, v[4:5], off
	v_mul_hi_u32 v4, v2, v0
	v_mul_lo_u32 v6, s14, v4
	v_not_b32_e32 v7, v4
	v_sub_u32_e32 v10, v0, v6
	v_add_u32_e32 v9, 1, v4
	v_mad_u64_u32 v[6:7], s[0:1], s14, v7, v[0:1]
	v_cmp_le_u32_e32 vcc, s14, v10
	v_mov_b32_e32 v5, v1
	s_nop 0
	v_cndmask_b32_e32 v4, v4, v9, vcc
	v_cndmask_b32_e32 v6, v10, v6, vcc
	v_add_u32_e32 v7, 1, v4
	v_cmp_le_u32_e32 vcc, s14, v6
	s_nop 1
	v_cndmask_b32_e32 v4, v4, v7, vcc
	v_mul_hi_u32 v6, v4, v3
	v_mul_lo_u32 v9, v6, s11
	v_sub_u32_e32 v9, v4, v9
	v_mul_lo_u32 v7, v4, s14
	v_add_u32_e32 v10, 1, v6
	v_cmp_le_u32_e64 s[0:1], s11, v9
	v_sub_u32_e32 v7, v0, v7
	v_add_u32_e32 v0, s15, v0
	v_cndmask_b32_e64 v6, v6, v10, s[0:1]
	v_subrev_u32_e32 v10, s11, v9
	v_cmp_le_u32_e32 vcc, s12, v0
	v_cndmask_b32_e64 v9, v9, v10, s[0:1]
	s_or_b64 s[6:7], vcc, s[6:7]
	v_add_u32_e32 v10, 1, v6
	v_cmp_le_u32_e32 vcc, s11, v9
	v_mul_lo_u32 v7, v7, s13
	s_nop 0
	v_cndmask_b32_e32 v6, v6, v10, vcc
	v_mul_lo_u32 v9, v6, s11
	v_mul_lo_u32 v6, v6, s4
	v_sub_u32_e32 v4, v4, v9
	v_add_u32_e32 v6, s10, v6
	v_mul_lo_u32 v4, v4, s5
	v_add3_u32 v4, v6, v7, v4
	v_lshl_add_u64 v[4:5], v[4:5], 2, s[2:3]
	s_waitcnt vmcnt(0)
	global_store_dword v[4:5], v8, off
	s_andn2_b64 exec, exec, s[6:7]
	s_cbranch_execnz .LBB53_2
.LBB53_3:
	s_endpgm
	.section	.rodata,"a",@progbits
	.p2align	6, 0x0
	.amdhsa_kernel _ZN2at6native12_GLOBAL__N_126CatArrayBatchedCopy_contigINS1_10OpaqueTypeILj4EEEjLi3ELi128ELi1EEEvPT_NS1_25CatArrInputTensorMetadataIS5_T0_XT2_EXT3_EEENS1_16TensorSizeStrideIS8_Lj4EEEiS8_
		.amdhsa_group_segment_fixed_size 0
		.amdhsa_private_segment_fixed_size 0
		.amdhsa_kernarg_size 3024
		.amdhsa_user_sgpr_count 2
		.amdhsa_user_sgpr_dispatch_ptr 0
		.amdhsa_user_sgpr_queue_ptr 0
		.amdhsa_user_sgpr_kernarg_segment_ptr 1
		.amdhsa_user_sgpr_dispatch_id 0
		.amdhsa_user_sgpr_kernarg_preload_length 0
		.amdhsa_user_sgpr_kernarg_preload_offset 0
		.amdhsa_user_sgpr_private_segment_size 0
		.amdhsa_uses_dynamic_stack 0
		.amdhsa_enable_private_segment 0
		.amdhsa_system_sgpr_workgroup_id_x 1
		.amdhsa_system_sgpr_workgroup_id_y 1
		.amdhsa_system_sgpr_workgroup_id_z 0
		.amdhsa_system_sgpr_workgroup_info 0
		.amdhsa_system_vgpr_workitem_id 0
		.amdhsa_next_free_vgpr 11
		.amdhsa_next_free_sgpr 24
		.amdhsa_accum_offset 12
		.amdhsa_reserve_vcc 1
		.amdhsa_float_round_mode_32 0
		.amdhsa_float_round_mode_16_64 0
		.amdhsa_float_denorm_mode_32 3
		.amdhsa_float_denorm_mode_16_64 3
		.amdhsa_dx10_clamp 1
		.amdhsa_ieee_mode 1
		.amdhsa_fp16_overflow 0
		.amdhsa_tg_split 0
		.amdhsa_exception_fp_ieee_invalid_op 0
		.amdhsa_exception_fp_denorm_src 0
		.amdhsa_exception_fp_ieee_div_zero 0
		.amdhsa_exception_fp_ieee_overflow 0
		.amdhsa_exception_fp_ieee_underflow 0
		.amdhsa_exception_fp_ieee_inexact 0
		.amdhsa_exception_int_div_zero 0
	.end_amdhsa_kernel
	.section	.text._ZN2at6native12_GLOBAL__N_126CatArrayBatchedCopy_contigINS1_10OpaqueTypeILj4EEEjLi3ELi128ELi1EEEvPT_NS1_25CatArrInputTensorMetadataIS5_T0_XT2_EXT3_EEENS1_16TensorSizeStrideIS8_Lj4EEEiS8_,"axG",@progbits,_ZN2at6native12_GLOBAL__N_126CatArrayBatchedCopy_contigINS1_10OpaqueTypeILj4EEEjLi3ELi128ELi1EEEvPT_NS1_25CatArrInputTensorMetadataIS5_T0_XT2_EXT3_EEENS1_16TensorSizeStrideIS8_Lj4EEEiS8_,comdat
.Lfunc_end53:
	.size	_ZN2at6native12_GLOBAL__N_126CatArrayBatchedCopy_contigINS1_10OpaqueTypeILj4EEEjLi3ELi128ELi1EEEvPT_NS1_25CatArrInputTensorMetadataIS5_T0_XT2_EXT3_EEENS1_16TensorSizeStrideIS8_Lj4EEEiS8_, .Lfunc_end53-_ZN2at6native12_GLOBAL__N_126CatArrayBatchedCopy_contigINS1_10OpaqueTypeILj4EEEjLi3ELi128ELi1EEEvPT_NS1_25CatArrInputTensorMetadataIS5_T0_XT2_EXT3_EEENS1_16TensorSizeStrideIS8_Lj4EEEiS8_
                                        ; -- End function
	.set _ZN2at6native12_GLOBAL__N_126CatArrayBatchedCopy_contigINS1_10OpaqueTypeILj4EEEjLi3ELi128ELi1EEEvPT_NS1_25CatArrInputTensorMetadataIS5_T0_XT2_EXT3_EEENS1_16TensorSizeStrideIS8_Lj4EEEiS8_.num_vgpr, 11
	.set _ZN2at6native12_GLOBAL__N_126CatArrayBatchedCopy_contigINS1_10OpaqueTypeILj4EEEjLi3ELi128ELi1EEEvPT_NS1_25CatArrInputTensorMetadataIS5_T0_XT2_EXT3_EEENS1_16TensorSizeStrideIS8_Lj4EEEiS8_.num_agpr, 0
	.set _ZN2at6native12_GLOBAL__N_126CatArrayBatchedCopy_contigINS1_10OpaqueTypeILj4EEEjLi3ELi128ELi1EEEvPT_NS1_25CatArrInputTensorMetadataIS5_T0_XT2_EXT3_EEENS1_16TensorSizeStrideIS8_Lj4EEEiS8_.numbered_sgpr, 24
	.set _ZN2at6native12_GLOBAL__N_126CatArrayBatchedCopy_contigINS1_10OpaqueTypeILj4EEEjLi3ELi128ELi1EEEvPT_NS1_25CatArrInputTensorMetadataIS5_T0_XT2_EXT3_EEENS1_16TensorSizeStrideIS8_Lj4EEEiS8_.num_named_barrier, 0
	.set _ZN2at6native12_GLOBAL__N_126CatArrayBatchedCopy_contigINS1_10OpaqueTypeILj4EEEjLi3ELi128ELi1EEEvPT_NS1_25CatArrInputTensorMetadataIS5_T0_XT2_EXT3_EEENS1_16TensorSizeStrideIS8_Lj4EEEiS8_.private_seg_size, 0
	.set _ZN2at6native12_GLOBAL__N_126CatArrayBatchedCopy_contigINS1_10OpaqueTypeILj4EEEjLi3ELi128ELi1EEEvPT_NS1_25CatArrInputTensorMetadataIS5_T0_XT2_EXT3_EEENS1_16TensorSizeStrideIS8_Lj4EEEiS8_.uses_vcc, 1
	.set _ZN2at6native12_GLOBAL__N_126CatArrayBatchedCopy_contigINS1_10OpaqueTypeILj4EEEjLi3ELi128ELi1EEEvPT_NS1_25CatArrInputTensorMetadataIS5_T0_XT2_EXT3_EEENS1_16TensorSizeStrideIS8_Lj4EEEiS8_.uses_flat_scratch, 0
	.set _ZN2at6native12_GLOBAL__N_126CatArrayBatchedCopy_contigINS1_10OpaqueTypeILj4EEEjLi3ELi128ELi1EEEvPT_NS1_25CatArrInputTensorMetadataIS5_T0_XT2_EXT3_EEENS1_16TensorSizeStrideIS8_Lj4EEEiS8_.has_dyn_sized_stack, 0
	.set _ZN2at6native12_GLOBAL__N_126CatArrayBatchedCopy_contigINS1_10OpaqueTypeILj4EEEjLi3ELi128ELi1EEEvPT_NS1_25CatArrInputTensorMetadataIS5_T0_XT2_EXT3_EEENS1_16TensorSizeStrideIS8_Lj4EEEiS8_.has_recursion, 0
	.set _ZN2at6native12_GLOBAL__N_126CatArrayBatchedCopy_contigINS1_10OpaqueTypeILj4EEEjLi3ELi128ELi1EEEvPT_NS1_25CatArrInputTensorMetadataIS5_T0_XT2_EXT3_EEENS1_16TensorSizeStrideIS8_Lj4EEEiS8_.has_indirect_call, 0
	.section	.AMDGPU.csdata,"",@progbits
; Kernel info:
; codeLenInByte = 572
; TotalNumSgprs: 30
; NumVgprs: 11
; NumAgprs: 0
; TotalNumVgprs: 11
; ScratchSize: 0
; MemoryBound: 0
; FloatMode: 240
; IeeeMode: 1
; LDSByteSize: 0 bytes/workgroup (compile time only)
; SGPRBlocks: 3
; VGPRBlocks: 1
; NumSGPRsForWavesPerEU: 30
; NumVGPRsForWavesPerEU: 11
; AccumOffset: 12
; Occupancy: 8
; WaveLimiterHint : 1
; COMPUTE_PGM_RSRC2:SCRATCH_EN: 0
; COMPUTE_PGM_RSRC2:USER_SGPR: 2
; COMPUTE_PGM_RSRC2:TRAP_HANDLER: 0
; COMPUTE_PGM_RSRC2:TGID_X_EN: 1
; COMPUTE_PGM_RSRC2:TGID_Y_EN: 1
; COMPUTE_PGM_RSRC2:TGID_Z_EN: 0
; COMPUTE_PGM_RSRC2:TIDIG_COMP_CNT: 0
; COMPUTE_PGM_RSRC3_GFX90A:ACCUM_OFFSET: 2
; COMPUTE_PGM_RSRC3_GFX90A:TG_SPLIT: 0
	.section	.text._ZN2at6native12_GLOBAL__N_119CatArrayBatchedCopyINS1_10OpaqueTypeILj4EEEjLi3ELi128ELi1EEEvPT_NS1_25CatArrInputTensorMetadataIS5_T0_XT2_EXT3_EEENS1_16TensorSizeStrideIS8_Lj4EEEiS8_,"axG",@progbits,_ZN2at6native12_GLOBAL__N_119CatArrayBatchedCopyINS1_10OpaqueTypeILj4EEEjLi3ELi128ELi1EEEvPT_NS1_25CatArrInputTensorMetadataIS5_T0_XT2_EXT3_EEENS1_16TensorSizeStrideIS8_Lj4EEEiS8_,comdat
	.globl	_ZN2at6native12_GLOBAL__N_119CatArrayBatchedCopyINS1_10OpaqueTypeILj4EEEjLi3ELi128ELi1EEEvPT_NS1_25CatArrInputTensorMetadataIS5_T0_XT2_EXT3_EEENS1_16TensorSizeStrideIS8_Lj4EEEiS8_ ; -- Begin function _ZN2at6native12_GLOBAL__N_119CatArrayBatchedCopyINS1_10OpaqueTypeILj4EEEjLi3ELi128ELi1EEEvPT_NS1_25CatArrInputTensorMetadataIS5_T0_XT2_EXT3_EEENS1_16TensorSizeStrideIS8_Lj4EEEiS8_
	.p2align	8
	.type	_ZN2at6native12_GLOBAL__N_119CatArrayBatchedCopyINS1_10OpaqueTypeILj4EEEjLi3ELi128ELi1EEEvPT_NS1_25CatArrInputTensorMetadataIS5_T0_XT2_EXT3_EEENS1_16TensorSizeStrideIS8_Lj4EEEiS8_,@function
_ZN2at6native12_GLOBAL__N_119CatArrayBatchedCopyINS1_10OpaqueTypeILj4EEEjLi3ELi128ELi1EEEvPT_NS1_25CatArrInputTensorMetadataIS5_T0_XT2_EXT3_EEENS1_16TensorSizeStrideIS8_Lj4EEEiS8_: ; @_ZN2at6native12_GLOBAL__N_119CatArrayBatchedCopyINS1_10OpaqueTypeILj4EEEjLi3ELi128ELi1EEEvPT_NS1_25CatArrInputTensorMetadataIS5_T0_XT2_EXT3_EEENS1_16TensorSizeStrideIS8_Lj4EEEiS8_
; %bb.0:
	s_mov_b32 s12, s3
	s_load_dword s3, s[0:1], 0xadc
	s_or_b32 s18, s0, 8
	s_add_u32 s16, s0, 0xad0
	s_mov_b32 s13, 0
	s_addc_u32 s17, s1, 0
	s_waitcnt lgkmcnt(0)
	s_and_b32 s21, s3, 0xffff
	s_lshl_b64 s[14:15], s[12:13], 2
	s_add_u32 s4, s18, s14
	s_addc_u32 s5, s1, s15
	s_load_dword s20, s[4:5], 0x800
	s_mul_i32 s2, s2, s21
	v_add_u32_e32 v0, s2, v0
	s_waitcnt lgkmcnt(0)
	v_cmp_gt_u32_e32 vcc, s20, v0
	s_and_saveexec_b64 s[2:3], vcc
	s_cbranch_execz .LBB54_5
; %bb.1:
	s_add_u32 s22, s18, s12
	s_addc_u32 s23, s1, 0
	v_mov_b32_e32 v1, 0
	global_load_ubyte v2, v1, s[22:23] offset:2560
	s_mov_b32 s19, s1
	s_load_dwordx2 s[24:25], s[0:1], 0xac8
	s_load_dwordx4 s[4:7], s[0:1], 0xab8
	s_load_dwordx4 s[8:11], s[18:19], 0xa90
	s_waitcnt lgkmcnt(0)
	s_load_dword s7, s[18:19], 0xa94
	s_load_dwordx2 s[2:3], s[0:1], 0x0
	s_load_dwordx2 s[26:27], s[0:1], 0xa8c
	;; [unrolled: 1-line block ×3, first 2 shown]
	s_load_dword s30, s[16:17], 0x0
	s_mul_i32 s16, s12, 7
	s_mul_hi_u32 s11, s12, 7
	s_mov_b64 s[12:13], 0
	s_mov_b32 s9, s10
	s_waitcnt vmcnt(0)
	v_and_b32_e32 v2, 1, v2
	v_cmp_eq_u32_e32 vcc, 1, v2
	s_xor_b64 s[0:1], vcc, -1
	s_add_u32 s16, s22, s16
	s_addc_u32 s17, s23, s11
	s_sub_u32 s10, 0, s14
	s_subb_u32 s11, 0, s15
	s_add_u32 s14, s16, s10
	s_addc_u32 s15, s17, s11
	s_load_dwordx2 s[10:11], s[16:17], 0x0
	s_load_dword s18, s[14:15], 0x400
	s_load_dword s19, s[14:15], 0x600
	s_cmp_eq_u32 s24, 2
	s_waitcnt lgkmcnt(0)
	s_mul_i32 s14, s30, s21
	v_cndmask_b32_e64 v2, 0, 1, s[0:1]
	s_mul_i32 s15, s18, s25
	s_cselect_b32 s16, s19, s29
	s_cselect_b32 s17, s19, s27
	s_cmp_eq_u32 s24, 1
	s_cselect_b32 s18, s19, s28
	s_cselect_b32 s19, s19, s26
	v_cvt_f32_u32_e32 v3, s16
	v_cvt_f32_u32_e32 v4, s17
	;; [unrolled: 1-line block ×4, first 2 shown]
	v_rcp_iflag_f32_e32 v3, v3
	v_rcp_iflag_f32_e32 v4, v4
	;; [unrolled: 1-line block ×4, first 2 shown]
	v_mul_f32_e32 v3, 0x4f7ffffe, v3
	v_mul_f32_e32 v4, 0x4f7ffffe, v4
	v_cvt_u32_f32_e32 v3, v3
	v_mul_f32_e32 v5, 0x4f7ffffe, v5
	v_cvt_u32_f32_e32 v7, v4
	;; [unrolled: 2-line block ×3, first 2 shown]
	v_cvt_u32_f32_e32 v8, v4
	s_sub_i32 s21, 0, s16
	s_sub_i32 s22, 0, s17
	;; [unrolled: 1-line block ×4, first 2 shown]
	v_mul_lo_u32 v4, s21, v3
	v_mul_lo_u32 v5, s22, v7
	v_mul_hi_u32 v4, v3, v4
	v_mul_lo_u32 v9, s0, v6
	v_mul_hi_u32 v5, v7, v5
	v_mul_lo_u32 v10, s1, v8
	v_add_u32_e32 v4, v3, v4
	v_mul_hi_u32 v3, v6, v9
	v_add_u32_e32 v5, v7, v5
	v_mul_hi_u32 v7, v8, v10
	v_add_u32_e32 v6, v6, v3
	v_add_u32_e32 v7, v8, v7
	v_cmp_ne_u32_e64 s[0:1], 1, v2
	s_branch .LBB54_3
.LBB54_2:                               ;   in Loop: Header=BB54_3 Depth=1
	v_lshl_add_u64 v[2:3], v[2:3], 2, s[10:11]
	global_load_dword v10, v[2:3], off
	v_mul_hi_u32 v8, v4, v0
	v_mad_u64_u32 v[2:3], s[24:25], s21, v8, v[0:1]
	v_not_b32_e32 v9, v8
	v_add_u32_e32 v3, 1, v8
	v_cmp_le_u32_e32 vcc, s16, v2
	s_nop 1
	v_cndmask_b32_e32 v3, v8, v3, vcc
	v_mad_u64_u32 v[8:9], s[24:25], s16, v9, v[0:1]
	v_cndmask_b32_e32 v2, v2, v8, vcc
	v_add_u32_e32 v8, 1, v3
	v_cmp_le_u32_e32 vcc, s16, v2
	s_nop 1
	v_cndmask_b32_e32 v8, v3, v8, vcc
	v_mad_u64_u32 v[2:3], s[24:25], s21, v8, v[0:1]
	v_mul_hi_u32 v3, v8, v6
	v_mul_lo_u32 v9, v3, s18
	v_sub_u32_e32 v9, v8, v9
	v_add_u32_e32 v11, 1, v3
	v_cmp_le_u32_e32 vcc, s18, v9
	v_add_u32_e32 v0, s14, v0
	s_nop 0
	v_cndmask_b32_e32 v3, v3, v11, vcc
	v_subrev_u32_e32 v11, s18, v9
	v_cndmask_b32_e32 v9, v9, v11, vcc
	v_add_u32_e32 v11, 1, v3
	v_cmp_le_u32_e32 vcc, s18, v9
	s_nop 1
	v_cndmask_b32_e32 v3, v3, v11, vcc
	v_mul_lo_u32 v9, v3, s18
	v_sub_u32_e32 v8, v8, v9
	v_mul_lo_u32 v9, v8, s5
	v_mul_lo_u32 v8, v3, s4
	v_mad_u64_u32 v[2:3], s[24:25], v2, s6, v[8:9]
	v_add3_u32 v2, v2, v9, s15
	v_mov_b32_e32 v3, v1
	v_cmp_le_u32_e32 vcc, s20, v0
	v_lshl_add_u64 v[2:3], v[2:3], 2, s[2:3]
	s_or_b64 s[12:13], vcc, s[12:13]
	s_waitcnt vmcnt(0)
	global_store_dword v[2:3], v10, off
	s_andn2_b64 exec, exec, s[12:13]
	s_cbranch_execz .LBB54_5
.LBB54_3:                               ; =>This Inner Loop Header: Depth=1
	s_and_b64 vcc, exec, s[0:1]
	v_mov_b64_e32 v[2:3], v[0:1]
	s_cbranch_vccnz .LBB54_2
; %bb.4:                                ;   in Loop: Header=BB54_3 Depth=1
	v_mul_hi_u32 v8, v5, v0
	v_mad_u64_u32 v[2:3], s[24:25], s22, v8, v[0:1]
	v_not_b32_e32 v9, v8
	v_add_u32_e32 v3, 1, v8
	v_cmp_le_u32_e32 vcc, s17, v2
	s_nop 1
	v_cndmask_b32_e32 v3, v8, v3, vcc
	v_mad_u64_u32 v[8:9], s[24:25], s17, v9, v[0:1]
	v_cndmask_b32_e32 v2, v2, v8, vcc
	v_add_u32_e32 v8, 1, v3
	v_cmp_le_u32_e32 vcc, s17, v2
	s_nop 1
	v_cndmask_b32_e32 v8, v3, v8, vcc
	v_mad_u64_u32 v[2:3], s[24:25], s22, v8, v[0:1]
	v_mul_hi_u32 v3, v8, v7
	v_mul_lo_u32 v9, v3, s19
	v_sub_u32_e32 v9, v8, v9
	v_add_u32_e32 v10, 1, v3
	v_cmp_le_u32_e32 vcc, s19, v9
	v_mul_lo_u32 v2, v2, s9
	s_nop 0
	v_cndmask_b32_e32 v3, v3, v10, vcc
	v_subrev_u32_e32 v10, s19, v9
	v_cndmask_b32_e32 v9, v9, v10, vcc
	v_add_u32_e32 v10, 1, v3
	v_cmp_le_u32_e32 vcc, s19, v9
	s_nop 1
	v_cndmask_b32_e32 v3, v3, v10, vcc
	v_mul_lo_u32 v9, v3, s19
	v_sub_u32_e32 v8, v8, v9
	v_mul_lo_u32 v8, v8, s7
	v_mul_lo_u32 v3, v3, s8
	v_add3_u32 v2, v2, v3, v8
	v_mov_b32_e32 v3, v1
	s_branch .LBB54_2
.LBB54_5:
	s_endpgm
	.section	.rodata,"a",@progbits
	.p2align	6, 0x0
	.amdhsa_kernel _ZN2at6native12_GLOBAL__N_119CatArrayBatchedCopyINS1_10OpaqueTypeILj4EEEjLi3ELi128ELi1EEEvPT_NS1_25CatArrInputTensorMetadataIS5_T0_XT2_EXT3_EEENS1_16TensorSizeStrideIS8_Lj4EEEiS8_
		.amdhsa_group_segment_fixed_size 0
		.amdhsa_private_segment_fixed_size 0
		.amdhsa_kernarg_size 3024
		.amdhsa_user_sgpr_count 2
		.amdhsa_user_sgpr_dispatch_ptr 0
		.amdhsa_user_sgpr_queue_ptr 0
		.amdhsa_user_sgpr_kernarg_segment_ptr 1
		.amdhsa_user_sgpr_dispatch_id 0
		.amdhsa_user_sgpr_kernarg_preload_length 0
		.amdhsa_user_sgpr_kernarg_preload_offset 0
		.amdhsa_user_sgpr_private_segment_size 0
		.amdhsa_uses_dynamic_stack 0
		.amdhsa_enable_private_segment 0
		.amdhsa_system_sgpr_workgroup_id_x 1
		.amdhsa_system_sgpr_workgroup_id_y 1
		.amdhsa_system_sgpr_workgroup_id_z 0
		.amdhsa_system_sgpr_workgroup_info 0
		.amdhsa_system_vgpr_workitem_id 0
		.amdhsa_next_free_vgpr 12
		.amdhsa_next_free_sgpr 31
		.amdhsa_accum_offset 12
		.amdhsa_reserve_vcc 1
		.amdhsa_float_round_mode_32 0
		.amdhsa_float_round_mode_16_64 0
		.amdhsa_float_denorm_mode_32 3
		.amdhsa_float_denorm_mode_16_64 3
		.amdhsa_dx10_clamp 1
		.amdhsa_ieee_mode 1
		.amdhsa_fp16_overflow 0
		.amdhsa_tg_split 0
		.amdhsa_exception_fp_ieee_invalid_op 0
		.amdhsa_exception_fp_denorm_src 0
		.amdhsa_exception_fp_ieee_div_zero 0
		.amdhsa_exception_fp_ieee_overflow 0
		.amdhsa_exception_fp_ieee_underflow 0
		.amdhsa_exception_fp_ieee_inexact 0
		.amdhsa_exception_int_div_zero 0
	.end_amdhsa_kernel
	.section	.text._ZN2at6native12_GLOBAL__N_119CatArrayBatchedCopyINS1_10OpaqueTypeILj4EEEjLi3ELi128ELi1EEEvPT_NS1_25CatArrInputTensorMetadataIS5_T0_XT2_EXT3_EEENS1_16TensorSizeStrideIS8_Lj4EEEiS8_,"axG",@progbits,_ZN2at6native12_GLOBAL__N_119CatArrayBatchedCopyINS1_10OpaqueTypeILj4EEEjLi3ELi128ELi1EEEvPT_NS1_25CatArrInputTensorMetadataIS5_T0_XT2_EXT3_EEENS1_16TensorSizeStrideIS8_Lj4EEEiS8_,comdat
.Lfunc_end54:
	.size	_ZN2at6native12_GLOBAL__N_119CatArrayBatchedCopyINS1_10OpaqueTypeILj4EEEjLi3ELi128ELi1EEEvPT_NS1_25CatArrInputTensorMetadataIS5_T0_XT2_EXT3_EEENS1_16TensorSizeStrideIS8_Lj4EEEiS8_, .Lfunc_end54-_ZN2at6native12_GLOBAL__N_119CatArrayBatchedCopyINS1_10OpaqueTypeILj4EEEjLi3ELi128ELi1EEEvPT_NS1_25CatArrInputTensorMetadataIS5_T0_XT2_EXT3_EEENS1_16TensorSizeStrideIS8_Lj4EEEiS8_
                                        ; -- End function
	.set _ZN2at6native12_GLOBAL__N_119CatArrayBatchedCopyINS1_10OpaqueTypeILj4EEEjLi3ELi128ELi1EEEvPT_NS1_25CatArrInputTensorMetadataIS5_T0_XT2_EXT3_EEENS1_16TensorSizeStrideIS8_Lj4EEEiS8_.num_vgpr, 12
	.set _ZN2at6native12_GLOBAL__N_119CatArrayBatchedCopyINS1_10OpaqueTypeILj4EEEjLi3ELi128ELi1EEEvPT_NS1_25CatArrInputTensorMetadataIS5_T0_XT2_EXT3_EEENS1_16TensorSizeStrideIS8_Lj4EEEiS8_.num_agpr, 0
	.set _ZN2at6native12_GLOBAL__N_119CatArrayBatchedCopyINS1_10OpaqueTypeILj4EEEjLi3ELi128ELi1EEEvPT_NS1_25CatArrInputTensorMetadataIS5_T0_XT2_EXT3_EEENS1_16TensorSizeStrideIS8_Lj4EEEiS8_.numbered_sgpr, 31
	.set _ZN2at6native12_GLOBAL__N_119CatArrayBatchedCopyINS1_10OpaqueTypeILj4EEEjLi3ELi128ELi1EEEvPT_NS1_25CatArrInputTensorMetadataIS5_T0_XT2_EXT3_EEENS1_16TensorSizeStrideIS8_Lj4EEEiS8_.num_named_barrier, 0
	.set _ZN2at6native12_GLOBAL__N_119CatArrayBatchedCopyINS1_10OpaqueTypeILj4EEEjLi3ELi128ELi1EEEvPT_NS1_25CatArrInputTensorMetadataIS5_T0_XT2_EXT3_EEENS1_16TensorSizeStrideIS8_Lj4EEEiS8_.private_seg_size, 0
	.set _ZN2at6native12_GLOBAL__N_119CatArrayBatchedCopyINS1_10OpaqueTypeILj4EEEjLi3ELi128ELi1EEEvPT_NS1_25CatArrInputTensorMetadataIS5_T0_XT2_EXT3_EEENS1_16TensorSizeStrideIS8_Lj4EEEiS8_.uses_vcc, 1
	.set _ZN2at6native12_GLOBAL__N_119CatArrayBatchedCopyINS1_10OpaqueTypeILj4EEEjLi3ELi128ELi1EEEvPT_NS1_25CatArrInputTensorMetadataIS5_T0_XT2_EXT3_EEENS1_16TensorSizeStrideIS8_Lj4EEEiS8_.uses_flat_scratch, 0
	.set _ZN2at6native12_GLOBAL__N_119CatArrayBatchedCopyINS1_10OpaqueTypeILj4EEEjLi3ELi128ELi1EEEvPT_NS1_25CatArrInputTensorMetadataIS5_T0_XT2_EXT3_EEENS1_16TensorSizeStrideIS8_Lj4EEEiS8_.has_dyn_sized_stack, 0
	.set _ZN2at6native12_GLOBAL__N_119CatArrayBatchedCopyINS1_10OpaqueTypeILj4EEEjLi3ELi128ELi1EEEvPT_NS1_25CatArrInputTensorMetadataIS5_T0_XT2_EXT3_EEENS1_16TensorSizeStrideIS8_Lj4EEEiS8_.has_recursion, 0
	.set _ZN2at6native12_GLOBAL__N_119CatArrayBatchedCopyINS1_10OpaqueTypeILj4EEEjLi3ELi128ELi1EEEvPT_NS1_25CatArrInputTensorMetadataIS5_T0_XT2_EXT3_EEENS1_16TensorSizeStrideIS8_Lj4EEEiS8_.has_indirect_call, 0
	.section	.AMDGPU.csdata,"",@progbits
; Kernel info:
; codeLenInByte = 928
; TotalNumSgprs: 37
; NumVgprs: 12
; NumAgprs: 0
; TotalNumVgprs: 12
; ScratchSize: 0
; MemoryBound: 0
; FloatMode: 240
; IeeeMode: 1
; LDSByteSize: 0 bytes/workgroup (compile time only)
; SGPRBlocks: 4
; VGPRBlocks: 1
; NumSGPRsForWavesPerEU: 37
; NumVGPRsForWavesPerEU: 12
; AccumOffset: 12
; Occupancy: 8
; WaveLimiterHint : 1
; COMPUTE_PGM_RSRC2:SCRATCH_EN: 0
; COMPUTE_PGM_RSRC2:USER_SGPR: 2
; COMPUTE_PGM_RSRC2:TRAP_HANDLER: 0
; COMPUTE_PGM_RSRC2:TGID_X_EN: 1
; COMPUTE_PGM_RSRC2:TGID_Y_EN: 1
; COMPUTE_PGM_RSRC2:TGID_Z_EN: 0
; COMPUTE_PGM_RSRC2:TIDIG_COMP_CNT: 0
; COMPUTE_PGM_RSRC3_GFX90A:ACCUM_OFFSET: 2
; COMPUTE_PGM_RSRC3_GFX90A:TG_SPLIT: 0
	.section	.text._ZN2at6native12_GLOBAL__N_130CatArrayBatchedCopy_vectorizedINS1_10OpaqueTypeILj4EEEjLi4ELi128ELi1ELi16ELi4EEEvPcNS1_25CatArrInputTensorMetadataIT_T0_XT2_EXT3_EEENS1_16TensorSizeStrideIS8_Lj4EEEiS8_,"axG",@progbits,_ZN2at6native12_GLOBAL__N_130CatArrayBatchedCopy_vectorizedINS1_10OpaqueTypeILj4EEEjLi4ELi128ELi1ELi16ELi4EEEvPcNS1_25CatArrInputTensorMetadataIT_T0_XT2_EXT3_EEENS1_16TensorSizeStrideIS8_Lj4EEEiS8_,comdat
	.globl	_ZN2at6native12_GLOBAL__N_130CatArrayBatchedCopy_vectorizedINS1_10OpaqueTypeILj4EEEjLi4ELi128ELi1ELi16ELi4EEEvPcNS1_25CatArrInputTensorMetadataIT_T0_XT2_EXT3_EEENS1_16TensorSizeStrideIS8_Lj4EEEiS8_ ; -- Begin function _ZN2at6native12_GLOBAL__N_130CatArrayBatchedCopy_vectorizedINS1_10OpaqueTypeILj4EEEjLi4ELi128ELi1ELi16ELi4EEEvPcNS1_25CatArrInputTensorMetadataIT_T0_XT2_EXT3_EEENS1_16TensorSizeStrideIS8_Lj4EEEiS8_
	.p2align	8
	.type	_ZN2at6native12_GLOBAL__N_130CatArrayBatchedCopy_vectorizedINS1_10OpaqueTypeILj4EEEjLi4ELi128ELi1ELi16ELi4EEEvPcNS1_25CatArrInputTensorMetadataIT_T0_XT2_EXT3_EEENS1_16TensorSizeStrideIS8_Lj4EEEiS8_,@function
_ZN2at6native12_GLOBAL__N_130CatArrayBatchedCopy_vectorizedINS1_10OpaqueTypeILj4EEEjLi4ELi128ELi1ELi16ELi4EEEvPcNS1_25CatArrInputTensorMetadataIT_T0_XT2_EXT3_EEENS1_16TensorSizeStrideIS8_Lj4EEEiS8_: ; @_ZN2at6native12_GLOBAL__N_130CatArrayBatchedCopy_vectorizedINS1_10OpaqueTypeILj4EEEjLi4ELi128ELi1ELi16ELi4EEEvPcNS1_25CatArrInputTensorMetadataIT_T0_XT2_EXT3_EEENS1_16TensorSizeStrideIS8_Lj4EEEiS8_
; %bb.0:
	s_mov_b32 s12, s3
	s_load_dword s3, s[0:1], 0xadc
	s_add_u32 s14, s0, 0xad0
	s_mov_b32 s13, 0
	s_addc_u32 s15, s1, 0
	s_lshl_b64 s[16:17], s[12:13], 2
	s_waitcnt lgkmcnt(0)
	s_and_b32 s19, s3, 0xffff
	s_add_u32 s4, s0, s16
	s_addc_u32 s5, s1, s17
	s_load_dword s6, s[4:5], 0x808
	s_mul_i32 s2, s2, s19
	v_add_u32_e32 v0, s2, v0
	s_add_u32 s2, s4, 8
	s_addc_u32 s3, s5, 0
	s_waitcnt lgkmcnt(0)
	s_lshr_b32 s18, s6, 2
	v_cmp_gt_u32_e32 vcc, s18, v0
	s_and_saveexec_b64 s[4:5], vcc
	s_cbranch_execz .LBB55_3
; %bb.1:
	s_add_u32 s2, s2, s16
	s_addc_u32 s3, s3, s17
	s_load_dwordx4 s[4:7], s[0:1], 0xab8
	s_load_dwordx2 s[20:21], s[0:1], 0xac8
	s_load_dwordx2 s[22:23], s[0:1], 0x0
	s_load_dwordx4 s[8:11], s[0:1], 0xaac
	s_sub_u32 s0, 0, s16
	s_subb_u32 s1, 0, s17
	s_add_u32 s16, s2, s0
	s_addc_u32 s17, s3, s1
	s_waitcnt lgkmcnt(0)
	s_load_dword s11, s[16:17], 0x400
	s_load_dwordx2 s[0:1], s[2:3], 0x0
	s_load_dword s24, s[16:17], 0x600
	s_load_dword s25, s[14:15], 0x0
	s_mov_b64 s[2:3], 0
	s_waitcnt lgkmcnt(0)
	s_mul_i32 s11, s11, s21
	s_lshr_b32 s12, s11, 2
	s_mul_i32 s24, s24, s21
	s_lshr_b32 s16, s24, 2
	s_lshl_b64 s[14:15], s[12:13], 4
	s_cmp_eq_u32 s20, 3
	s_cselect_b32 s10, s16, s10
	v_cvt_f32_u32_e32 v1, s10
	s_cmp_eq_u32 s20, 2
	s_cselect_b32 s12, s16, s9
	s_cmp_eq_u32 s20, 1
	v_rcp_iflag_f32_e32 v1, v1
	v_cvt_f32_u32_e32 v2, s12
	s_cselect_b32 s13, s16, s8
	s_add_u32 s8, s22, s14
	v_mul_f32_e32 v1, 0x4f7ffffe, v1
	v_cvt_u32_f32_e32 v1, v1
	s_addc_u32 s9, s23, s15
	s_sub_i32 s14, 0, s10
	v_rcp_iflag_f32_e32 v4, v2
	v_mul_lo_u32 v3, s14, v1
	v_mul_hi_u32 v2, v1, v3
	v_cvt_f32_u32_e32 v3, s13
	v_add_u32_e32 v2, v1, v2
	v_mul_f32_e32 v1, 0x4f7ffffe, v4
	v_cvt_u32_f32_e32 v4, v1
	v_rcp_iflag_f32_e32 v3, v3
	s_sub_i32 s15, 0, s12
	s_mul_i32 s11, s25, s19
	v_mul_lo_u32 v5, s15, v4
	v_mul_f32_e32 v3, 0x4f7ffffe, v3
	v_cvt_u32_f32_e32 v6, v3
	v_mul_hi_u32 v3, v4, v5
	s_sub_i32 s15, 0, s13
	v_add_u32_e32 v3, v4, v3
	v_mul_lo_u32 v4, s15, v6
	v_mul_hi_u32 v4, v6, v4
	v_mov_b32_e32 v1, 0
	v_add_u32_e32 v4, v6, v4
.LBB55_2:                               ; =>This Inner Loop Header: Depth=1
	v_lshl_add_u64 v[6:7], v[0:1], 4, s[0:1]
	global_load_dwordx4 v[6:9], v[6:7], off
	v_mul_hi_u32 v5, v2, v0
	v_mul_lo_u32 v10, s10, v5
	v_not_b32_e32 v12, v5
	v_sub_u32_e32 v10, v0, v10
	v_add_u32_e32 v14, 1, v5
	v_mad_u64_u32 v[12:13], s[16:17], s10, v12, v[0:1]
	v_cmp_le_u32_e32 vcc, s10, v10
	v_mov_b32_e32 v11, v1
	s_nop 0
	v_cndmask_b32_e32 v5, v5, v14, vcc
	v_cndmask_b32_e32 v10, v10, v12, vcc
	v_add_u32_e32 v12, 1, v5
	v_cmp_le_u32_e32 vcc, s10, v10
	s_nop 1
	v_cndmask_b32_e32 v5, v5, v12, vcc
	v_mul_hi_u32 v14, v5, v3
	v_mad_u64_u32 v[12:13], s[16:17], s14, v5, v[0:1]
	v_add_u32_e32 v0, s11, v0
	v_mul_lo_u32 v13, v14, s12
	v_mul_lo_u32 v10, v12, s7
	v_cmp_le_u32_e32 vcc, s18, v0
	v_sub_u32_e32 v12, v5, v13
	v_add_u32_e32 v15, 1, v14
	s_or_b64 s[2:3], vcc, s[2:3]
	v_cmp_le_u32_e32 vcc, s12, v12
	s_nop 1
	v_cndmask_b32_e32 v13, v14, v15, vcc
	v_subrev_u32_e32 v14, s12, v12
	v_cndmask_b32_e32 v12, v12, v14, vcc
	v_add_u32_e32 v14, 1, v13
	v_cmp_le_u32_e32 vcc, s12, v12
	s_nop 1
	v_cndmask_b32_e32 v14, v13, v14, vcc
	v_mul_lo_u32 v12, v14, s12
	v_mul_hi_u32 v13, v14, v4
	v_sub_u32_e32 v5, v5, v12
	v_mul_lo_u32 v12, v13, s13
	v_sub_u32_e32 v12, v14, v12
	v_add_u32_e32 v15, 1, v13
	v_cmp_le_u32_e32 vcc, s13, v12
	v_mul_lo_u32 v5, v5, s6
	s_nop 0
	v_cndmask_b32_e32 v13, v13, v15, vcc
	v_subrev_u32_e32 v15, s13, v12
	v_cndmask_b32_e32 v12, v12, v15, vcc
	v_add_u32_e32 v15, 1, v13
	v_cmp_le_u32_e32 vcc, s13, v12
	s_nop 1
	v_cndmask_b32_e32 v12, v13, v15, vcc
	v_mul_lo_u32 v15, v12, s13
	v_mad_u64_u32 v[12:13], s[16:17], v12, s4, v[10:11]
	v_sub_u32_e32 v10, v14, v15
	v_mul_lo_u32 v10, v10, s5
	v_add3_u32 v10, v12, v5, v10
	v_lshl_add_u64 v[10:11], v[10:11], 4, s[8:9]
	s_waitcnt vmcnt(0)
	global_store_dwordx4 v[10:11], v[6:9], off
	s_andn2_b64 exec, exec, s[2:3]
	s_cbranch_execnz .LBB55_2
.LBB55_3:
	s_endpgm
	.section	.rodata,"a",@progbits
	.p2align	6, 0x0
	.amdhsa_kernel _ZN2at6native12_GLOBAL__N_130CatArrayBatchedCopy_vectorizedINS1_10OpaqueTypeILj4EEEjLi4ELi128ELi1ELi16ELi4EEEvPcNS1_25CatArrInputTensorMetadataIT_T0_XT2_EXT3_EEENS1_16TensorSizeStrideIS8_Lj4EEEiS8_
		.amdhsa_group_segment_fixed_size 0
		.amdhsa_private_segment_fixed_size 0
		.amdhsa_kernarg_size 3024
		.amdhsa_user_sgpr_count 2
		.amdhsa_user_sgpr_dispatch_ptr 0
		.amdhsa_user_sgpr_queue_ptr 0
		.amdhsa_user_sgpr_kernarg_segment_ptr 1
		.amdhsa_user_sgpr_dispatch_id 0
		.amdhsa_user_sgpr_kernarg_preload_length 0
		.amdhsa_user_sgpr_kernarg_preload_offset 0
		.amdhsa_user_sgpr_private_segment_size 0
		.amdhsa_uses_dynamic_stack 0
		.amdhsa_enable_private_segment 0
		.amdhsa_system_sgpr_workgroup_id_x 1
		.amdhsa_system_sgpr_workgroup_id_y 1
		.amdhsa_system_sgpr_workgroup_id_z 0
		.amdhsa_system_sgpr_workgroup_info 0
		.amdhsa_system_vgpr_workitem_id 0
		.amdhsa_next_free_vgpr 16
		.amdhsa_next_free_sgpr 26
		.amdhsa_accum_offset 16
		.amdhsa_reserve_vcc 1
		.amdhsa_float_round_mode_32 0
		.amdhsa_float_round_mode_16_64 0
		.amdhsa_float_denorm_mode_32 3
		.amdhsa_float_denorm_mode_16_64 3
		.amdhsa_dx10_clamp 1
		.amdhsa_ieee_mode 1
		.amdhsa_fp16_overflow 0
		.amdhsa_tg_split 0
		.amdhsa_exception_fp_ieee_invalid_op 0
		.amdhsa_exception_fp_denorm_src 0
		.amdhsa_exception_fp_ieee_div_zero 0
		.amdhsa_exception_fp_ieee_overflow 0
		.amdhsa_exception_fp_ieee_underflow 0
		.amdhsa_exception_fp_ieee_inexact 0
		.amdhsa_exception_int_div_zero 0
	.end_amdhsa_kernel
	.section	.text._ZN2at6native12_GLOBAL__N_130CatArrayBatchedCopy_vectorizedINS1_10OpaqueTypeILj4EEEjLi4ELi128ELi1ELi16ELi4EEEvPcNS1_25CatArrInputTensorMetadataIT_T0_XT2_EXT3_EEENS1_16TensorSizeStrideIS8_Lj4EEEiS8_,"axG",@progbits,_ZN2at6native12_GLOBAL__N_130CatArrayBatchedCopy_vectorizedINS1_10OpaqueTypeILj4EEEjLi4ELi128ELi1ELi16ELi4EEEvPcNS1_25CatArrInputTensorMetadataIT_T0_XT2_EXT3_EEENS1_16TensorSizeStrideIS8_Lj4EEEiS8_,comdat
.Lfunc_end55:
	.size	_ZN2at6native12_GLOBAL__N_130CatArrayBatchedCopy_vectorizedINS1_10OpaqueTypeILj4EEEjLi4ELi128ELi1ELi16ELi4EEEvPcNS1_25CatArrInputTensorMetadataIT_T0_XT2_EXT3_EEENS1_16TensorSizeStrideIS8_Lj4EEEiS8_, .Lfunc_end55-_ZN2at6native12_GLOBAL__N_130CatArrayBatchedCopy_vectorizedINS1_10OpaqueTypeILj4EEEjLi4ELi128ELi1ELi16ELi4EEEvPcNS1_25CatArrInputTensorMetadataIT_T0_XT2_EXT3_EEENS1_16TensorSizeStrideIS8_Lj4EEEiS8_
                                        ; -- End function
	.set _ZN2at6native12_GLOBAL__N_130CatArrayBatchedCopy_vectorizedINS1_10OpaqueTypeILj4EEEjLi4ELi128ELi1ELi16ELi4EEEvPcNS1_25CatArrInputTensorMetadataIT_T0_XT2_EXT3_EEENS1_16TensorSizeStrideIS8_Lj4EEEiS8_.num_vgpr, 16
	.set _ZN2at6native12_GLOBAL__N_130CatArrayBatchedCopy_vectorizedINS1_10OpaqueTypeILj4EEEjLi4ELi128ELi1ELi16ELi4EEEvPcNS1_25CatArrInputTensorMetadataIT_T0_XT2_EXT3_EEENS1_16TensorSizeStrideIS8_Lj4EEEiS8_.num_agpr, 0
	.set _ZN2at6native12_GLOBAL__N_130CatArrayBatchedCopy_vectorizedINS1_10OpaqueTypeILj4EEEjLi4ELi128ELi1ELi16ELi4EEEvPcNS1_25CatArrInputTensorMetadataIT_T0_XT2_EXT3_EEENS1_16TensorSizeStrideIS8_Lj4EEEiS8_.numbered_sgpr, 26
	.set _ZN2at6native12_GLOBAL__N_130CatArrayBatchedCopy_vectorizedINS1_10OpaqueTypeILj4EEEjLi4ELi128ELi1ELi16ELi4EEEvPcNS1_25CatArrInputTensorMetadataIT_T0_XT2_EXT3_EEENS1_16TensorSizeStrideIS8_Lj4EEEiS8_.num_named_barrier, 0
	.set _ZN2at6native12_GLOBAL__N_130CatArrayBatchedCopy_vectorizedINS1_10OpaqueTypeILj4EEEjLi4ELi128ELi1ELi16ELi4EEEvPcNS1_25CatArrInputTensorMetadataIT_T0_XT2_EXT3_EEENS1_16TensorSizeStrideIS8_Lj4EEEiS8_.private_seg_size, 0
	.set _ZN2at6native12_GLOBAL__N_130CatArrayBatchedCopy_vectorizedINS1_10OpaqueTypeILj4EEEjLi4ELi128ELi1ELi16ELi4EEEvPcNS1_25CatArrInputTensorMetadataIT_T0_XT2_EXT3_EEENS1_16TensorSizeStrideIS8_Lj4EEEiS8_.uses_vcc, 1
	.set _ZN2at6native12_GLOBAL__N_130CatArrayBatchedCopy_vectorizedINS1_10OpaqueTypeILj4EEEjLi4ELi128ELi1ELi16ELi4EEEvPcNS1_25CatArrInputTensorMetadataIT_T0_XT2_EXT3_EEENS1_16TensorSizeStrideIS8_Lj4EEEiS8_.uses_flat_scratch, 0
	.set _ZN2at6native12_GLOBAL__N_130CatArrayBatchedCopy_vectorizedINS1_10OpaqueTypeILj4EEEjLi4ELi128ELi1ELi16ELi4EEEvPcNS1_25CatArrInputTensorMetadataIT_T0_XT2_EXT3_EEENS1_16TensorSizeStrideIS8_Lj4EEEiS8_.has_dyn_sized_stack, 0
	.set _ZN2at6native12_GLOBAL__N_130CatArrayBatchedCopy_vectorizedINS1_10OpaqueTypeILj4EEEjLi4ELi128ELi1ELi16ELi4EEEvPcNS1_25CatArrInputTensorMetadataIT_T0_XT2_EXT3_EEENS1_16TensorSizeStrideIS8_Lj4EEEiS8_.has_recursion, 0
	.set _ZN2at6native12_GLOBAL__N_130CatArrayBatchedCopy_vectorizedINS1_10OpaqueTypeILj4EEEjLi4ELi128ELi1ELi16ELi4EEEvPcNS1_25CatArrInputTensorMetadataIT_T0_XT2_EXT3_EEENS1_16TensorSizeStrideIS8_Lj4EEEiS8_.has_indirect_call, 0
	.section	.AMDGPU.csdata,"",@progbits
; Kernel info:
; codeLenInByte = 712
; TotalNumSgprs: 32
; NumVgprs: 16
; NumAgprs: 0
; TotalNumVgprs: 16
; ScratchSize: 0
; MemoryBound: 0
; FloatMode: 240
; IeeeMode: 1
; LDSByteSize: 0 bytes/workgroup (compile time only)
; SGPRBlocks: 3
; VGPRBlocks: 1
; NumSGPRsForWavesPerEU: 32
; NumVGPRsForWavesPerEU: 16
; AccumOffset: 16
; Occupancy: 8
; WaveLimiterHint : 1
; COMPUTE_PGM_RSRC2:SCRATCH_EN: 0
; COMPUTE_PGM_RSRC2:USER_SGPR: 2
; COMPUTE_PGM_RSRC2:TRAP_HANDLER: 0
; COMPUTE_PGM_RSRC2:TGID_X_EN: 1
; COMPUTE_PGM_RSRC2:TGID_Y_EN: 1
; COMPUTE_PGM_RSRC2:TGID_Z_EN: 0
; COMPUTE_PGM_RSRC2:TIDIG_COMP_CNT: 0
; COMPUTE_PGM_RSRC3_GFX90A:ACCUM_OFFSET: 3
; COMPUTE_PGM_RSRC3_GFX90A:TG_SPLIT: 0
	.section	.text._ZN2at6native12_GLOBAL__N_135CatArrayBatchedCopy_alignedK_contigINS1_10OpaqueTypeILj4EEEjLi4ELi128ELi1ELi16EEEvPT_NS1_25CatArrInputTensorMetadataIS5_T0_XT2_EXT3_EEENS1_16TensorSizeStrideIS8_Lj4EEEiS8_,"axG",@progbits,_ZN2at6native12_GLOBAL__N_135CatArrayBatchedCopy_alignedK_contigINS1_10OpaqueTypeILj4EEEjLi4ELi128ELi1ELi16EEEvPT_NS1_25CatArrInputTensorMetadataIS5_T0_XT2_EXT3_EEENS1_16TensorSizeStrideIS8_Lj4EEEiS8_,comdat
	.globl	_ZN2at6native12_GLOBAL__N_135CatArrayBatchedCopy_alignedK_contigINS1_10OpaqueTypeILj4EEEjLi4ELi128ELi1ELi16EEEvPT_NS1_25CatArrInputTensorMetadataIS5_T0_XT2_EXT3_EEENS1_16TensorSizeStrideIS8_Lj4EEEiS8_ ; -- Begin function _ZN2at6native12_GLOBAL__N_135CatArrayBatchedCopy_alignedK_contigINS1_10OpaqueTypeILj4EEEjLi4ELi128ELi1ELi16EEEvPT_NS1_25CatArrInputTensorMetadataIS5_T0_XT2_EXT3_EEENS1_16TensorSizeStrideIS8_Lj4EEEiS8_
	.p2align	8
	.type	_ZN2at6native12_GLOBAL__N_135CatArrayBatchedCopy_alignedK_contigINS1_10OpaqueTypeILj4EEEjLi4ELi128ELi1ELi16EEEvPT_NS1_25CatArrInputTensorMetadataIS5_T0_XT2_EXT3_EEENS1_16TensorSizeStrideIS8_Lj4EEEiS8_,@function
_ZN2at6native12_GLOBAL__N_135CatArrayBatchedCopy_alignedK_contigINS1_10OpaqueTypeILj4EEEjLi4ELi128ELi1ELi16EEEvPT_NS1_25CatArrInputTensorMetadataIS5_T0_XT2_EXT3_EEENS1_16TensorSizeStrideIS8_Lj4EEEiS8_: ; @_ZN2at6native12_GLOBAL__N_135CatArrayBatchedCopy_alignedK_contigINS1_10OpaqueTypeILj4EEEjLi4ELi128ELi1ELi16EEEvPT_NS1_25CatArrInputTensorMetadataIS5_T0_XT2_EXT3_EEENS1_16TensorSizeStrideIS8_Lj4EEEiS8_
; %bb.0:
	s_mov_b32 s6, s3
	s_load_dword s3, s[0:1], 0xadc
	s_add_u32 s4, s0, 0xad0
	s_mov_b32 s7, 0
	s_addc_u32 s5, s1, 0
	s_lshl_b64 s[8:9], s[6:7], 2
	s_waitcnt lgkmcnt(0)
	s_and_b32 s3, s3, 0xffff
	s_add_u32 s6, s0, s8
	s_addc_u32 s7, s1, s9
	s_load_dword s22, s[6:7], 0x808
	s_mul_i32 s2, s2, s3
	v_add_lshl_u32 v4, s2, v0, 2
	s_add_u32 s2, s6, 8
	s_addc_u32 s10, s7, 0
	s_waitcnt lgkmcnt(0)
	v_cmp_gt_u32_e32 vcc, s22, v4
	s_and_saveexec_b64 s[6:7], vcc
	s_cbranch_execz .LBB56_8
; %bb.1:
	s_add_u32 s18, s2, s8
	s_addc_u32 s19, s10, s9
	s_sub_u32 s2, 0, s8
	s_load_dwordx2 s[6:7], s[0:1], 0x0
	s_subb_u32 s8, 0, s9
	s_add_u32 s20, s18, s2
	s_addc_u32 s21, s19, s8
	s_load_dword s2, s[0:1], 0xacc
	s_load_dword s23, s[20:21], 0x400
	s_load_dwordx8 s[8:15], s[0:1], 0xaac
	s_load_dwordx2 s[16:17], s[18:19], 0x0
	s_load_dword s24, s[20:21], 0x600
	v_add_u32_e32 v0, 4, v4
	s_mov_b64 s[18:19], 0
	s_waitcnt lgkmcnt(0)
	s_mul_i32 s23, s23, s2
	v_cmp_ge_u32_e32 vcc, s22, v0
	s_and_saveexec_b64 s[20:21], vcc
	s_cbranch_execz .LBB56_5
; %bb.2:
	s_load_dword s0, s[4:5], 0x0
	v_mov_b32_e32 v5, 0
	v_add_u32_e32 v17, 3, v4
	v_add_u32_e32 v18, 2, v4
	;; [unrolled: 1-line block ×3, first 2 shown]
	s_waitcnt lgkmcnt(0)
	s_mul_i32 s0, s0, s3
	s_lshl_b32 s25, s0, 2
	s_cmp_eq_u32 s15, 3
	s_cselect_b32 s26, s24, s10
	s_cmp_eq_u32 s15, 2
	v_cvt_f32_u32_e32 v0, s26
	s_cselect_b32 s27, s24, s9
	s_cmp_eq_u32 s15, 1
	v_cvt_f32_u32_e32 v1, s27
	s_cselect_b32 s28, s24, s8
	v_rcp_iflag_f32_e32 v0, v0
	v_cvt_f32_u32_e32 v2, s28
	v_rcp_iflag_f32_e32 v1, v1
	s_sub_i32 s29, 0, s26
	v_mul_f32_e32 v0, 0x4f7ffffe, v0
	v_rcp_iflag_f32_e32 v2, v2
	v_cvt_u32_f32_e32 v0, v0
	v_mul_f32_e32 v1, 0x4f7ffffe, v1
	v_cvt_u32_f32_e32 v1, v1
	v_mul_f32_e32 v2, 0x4f7ffffe, v2
	v_mul_lo_u32 v3, s29, v0
	v_cvt_u32_f32_e32 v2, v2
	s_sub_i32 s0, 0, s27
	v_mul_hi_u32 v3, v0, v3
	v_add_u32_e32 v14, v0, v3
	v_mul_lo_u32 v0, s0, v1
	v_mul_hi_u32 v0, v1, v0
	s_sub_i32 s0, 0, s28
	v_add_u32_e32 v15, v1, v0
	v_mul_lo_u32 v0, s0, v2
	v_mul_hi_u32 v0, v2, v0
	v_add_u32_e32 v16, v2, v0
.LBB56_3:                               ; =>This Inner Loop Header: Depth=1
	v_mul_hi_u32 v2, v14, v17
	v_mul_hi_u32 v3, v14, v18
	v_add_u32_e32 v8, 2, v4
	v_add_u32_e32 v10, 3, v4
	v_lshl_add_u64 v[0:1], v[4:5], 2, s[16:17]
	v_mov_b32_e32 v9, v5
	v_mov_b32_e32 v11, v5
	v_not_b32_e32 v34, v2
	v_not_b32_e32 v32, v3
	v_mad_u64_u32 v[24:25], s[0:1], s29, v3, v[8:9]
	v_mad_u64_u32 v[26:27], s[0:1], s29, v2, v[10:11]
	global_load_dwordx4 v[0:3], v[0:1], off
	v_mul_hi_u32 v12, v14, v4
	v_mul_hi_u32 v22, v14, v19
	v_add_u32_e32 v6, 1, v4
	v_mov_b32_e32 v7, v5
	v_not_b32_e32 v28, v12
	v_mad_u64_u32 v[20:21], s[0:1], s29, v12, v[4:5]
	v_not_b32_e32 v30, v22
	v_add_u32_e32 v21, 1, v12
	v_mad_u64_u32 v[22:23], s[0:1], s29, v22, v[6:7]
	v_cmp_le_u32_e32 vcc, s26, v20
	v_mad_u64_u32 v[28:29], s[0:1], s26, v28, v[4:5]
	v_mul_hi_u32 v36, v6, v14
	v_mul_hi_u32 v23, v8, v14
	;; [unrolled: 1-line block ×3, first 2 shown]
	v_cndmask_b32_e32 v12, v12, v21, vcc
	v_mad_u64_u32 v[30:31], s[2:3], s26, v30, v[6:7]
	v_mad_u64_u32 v[32:33], s[4:5], s26, v32, v[8:9]
	v_cndmask_b32_e32 v20, v20, v28, vcc
	v_add_u32_e32 v21, 1, v36
	v_cmp_le_u32_e64 s[0:1], s26, v22
	v_add_u32_e32 v6, 1, v23
	v_cmp_le_u32_e64 s[2:3], s26, v24
	;; [unrolled: 2-line block ×3, first 2 shown]
	v_mad_u64_u32 v[34:35], s[30:31], s26, v34, v[10:11]
	v_add_u32_e32 v28, 1, v12
	v_cmp_le_u32_e32 vcc, s26, v20
	v_cndmask_b32_e64 v29, v36, v21, s[0:1]
	v_cndmask_b32_e64 v21, v22, v30, s[0:1]
	;; [unrolled: 1-line block ×6, first 2 shown]
	v_cndmask_b32_e32 v12, v12, v28, vcc
	v_add_u32_e32 v25, 1, v29
	v_cmp_le_u32_e32 vcc, s26, v21
	v_add_u32_e32 v26, 1, v6
	v_cmp_le_u32_e64 s[0:1], s26, v22
	v_add_u32_e32 v22, 1, v23
	v_cmp_le_u32_e64 s[2:3], s26, v24
	v_mul_hi_u32 v27, v12, v15
	v_mad_u64_u32 v[20:21], s[4:5], s29, v12, v[4:5]
	v_cndmask_b32_e32 v28, v29, v25, vcc
	v_cndmask_b32_e64 v6, v6, v26, s[0:1]
	v_cndmask_b32_e64 v26, v23, v22, s[2:3]
	v_mul_lo_u32 v29, v27, s27
	v_mul_lo_u32 v31, v20, s14
	v_mul_hi_u32 v32, v28, v15
	v_mad_u64_u32 v[20:21], s[0:1], s29, v28, v[4:5]
	v_mad_u64_u32 v[22:23], s[0:1], s29, v6, v[8:9]
	;; [unrolled: 1-line block ×3, first 2 shown]
	v_sub_u32_e32 v10, v12, v29
	v_add_u32_e32 v30, 1, v27
	v_mul_hi_u32 v21, v6, v15
	v_mul_hi_u32 v8, v26, v15
	v_add_u32_e32 v4, s25, v4
	v_mul_lo_u32 v23, v32, s27
	v_cmp_le_u32_e32 vcc, s27, v10
	v_mul_lo_u32 v29, v21, s27
	v_mul_lo_u32 v34, v8, s27
	v_add_u32_e32 v36, 4, v4
	v_cndmask_b32_e32 v27, v27, v30, vcc
	v_subrev_u32_e32 v30, s27, v10
	v_sub_u32_e32 v23, v28, v23
	v_add_u32_e32 v25, 1, v32
	v_sub_u32_e32 v29, v6, v29
	v_sub_u32_e32 v34, v26, v34
	v_cmp_lt_u32_e64 s[0:1], s22, v36
	v_cndmask_b32_e32 v10, v10, v30, vcc
	v_cmp_le_u32_e32 vcc, s27, v23
	v_add_u32_e32 v33, 1, v21
	v_add_u32_e32 v35, 1, v8
	;; [unrolled: 1-line block ×3, first 2 shown]
	v_cndmask_b32_e32 v25, v32, v25, vcc
	v_subrev_u32_e32 v32, s27, v23
	v_cmp_le_u32_e64 s[2:3], s27, v29
	v_cmp_le_u32_e64 s[4:5], s27, v34
	s_or_b64 s[18:19], s[0:1], s[18:19]
	v_cmp_le_u32_e64 s[0:1], s27, v10
	v_cndmask_b32_e64 v21, v21, v33, s[2:3]
	v_subrev_u32_e32 v33, s27, v29
	v_cndmask_b32_e64 v8, v8, v35, s[4:5]
	v_subrev_u32_e32 v35, s27, v34
	v_cndmask_b32_e64 v10, v27, v30, s[0:1]
	v_cndmask_b32_e32 v23, v23, v32, vcc
	v_add_u32_e32 v27, 1, v25
	v_cndmask_b32_e64 v29, v29, v33, s[2:3]
	v_cndmask_b32_e64 v32, v34, v35, s[4:5]
	v_mul_hi_u32 v35, v10, v16
	v_cmp_le_u32_e32 vcc, s27, v23
	v_add_u32_e32 v30, 1, v21
	v_add_u32_e32 v33, 1, v8
	v_cndmask_b32_e32 v23, v25, v27, vcc
	v_cmp_le_u32_e32 vcc, s27, v29
	v_mul_lo_u32 v25, v35, s28
	v_mul_lo_u32 v29, v23, s27
	v_cndmask_b32_e32 v21, v21, v30, vcc
	v_cmp_le_u32_e32 vcc, s27, v32
	v_mul_hi_u32 v30, v23, v16
	v_sub_u32_e32 v25, v10, v25
	v_mul_lo_u32 v34, v10, s27
	v_cndmask_b32_e32 v8, v8, v33, vcc
	v_add_u32_e32 v27, 1, v35
	v_mul_lo_u32 v32, v21, s27
	v_mul_hi_u32 v33, v21, v16
	v_sub_u32_e32 v28, v28, v29
	v_mul_lo_u32 v29, v30, s28
	v_cmp_le_u32_e32 vcc, s28, v25
	v_sub_u32_e32 v12, v12, v34
	v_mul_lo_u32 v34, v8, s27
	v_mul_hi_u32 v36, v8, v16
	v_sub_u32_e32 v6, v6, v32
	v_mul_lo_u32 v32, v33, s28
	v_cndmask_b32_e32 v27, v35, v27, vcc
	v_subrev_u32_e32 v35, s28, v25
	v_sub_u32_e32 v29, v23, v29
	v_add_u32_e32 v37, 1, v30
	v_sub_u32_e32 v26, v26, v34
	v_mul_lo_u32 v34, v36, s28
	v_sub_u32_e32 v32, v21, v32
	v_cndmask_b32_e32 v25, v25, v35, vcc
	v_cmp_le_u32_e32 vcc, s28, v29
	v_add_u32_e32 v38, 1, v33
	v_sub_u32_e32 v34, v8, v34
	v_add_u32_e32 v35, 1, v27
	v_cndmask_b32_e32 v30, v30, v37, vcc
	v_subrev_u32_e32 v37, s28, v29
	v_cmp_le_u32_e64 s[0:1], s28, v32
	v_cmp_le_u32_e64 s[4:5], s28, v25
	v_add_u32_e32 v39, 1, v36
	v_cndmask_b32_e64 v33, v33, v38, s[0:1]
	v_subrev_u32_e32 v38, s28, v32
	v_cmp_le_u32_e64 s[2:3], s28, v34
	v_cndmask_b32_e64 v25, v27, v35, s[4:5]
	v_cndmask_b32_e32 v27, v29, v37, vcc
	v_cndmask_b32_e64 v36, v36, v39, s[2:3]
	v_subrev_u32_e32 v39, s28, v34
	v_add_u32_e32 v29, 1, v30
	v_cndmask_b32_e64 v32, v32, v38, s[0:1]
	v_cmp_le_u32_e32 vcc, s28, v27
	v_add_u32_e32 v35, 1, v33
	v_cndmask_b32_e64 v34, v34, v39, s[2:3]
	v_cndmask_b32_e32 v27, v30, v29, vcc
	v_cmp_le_u32_e32 vcc, s28, v32
	v_add_u32_e32 v37, 1, v36
	v_mul_lo_u32 v12, v12, s13
	v_cndmask_b32_e32 v29, v33, v35, vcc
	v_cmp_le_u32_e32 vcc, s28, v34
	v_mul_lo_u32 v38, v25, s28
	v_mul_lo_u32 v25, v25, s11
	v_cndmask_b32_e32 v30, v36, v37, vcc
	v_mul_lo_u32 v20, s14, v20
	v_mul_lo_u32 v22, v22, s14
	;; [unrolled: 1-line block ×3, first 2 shown]
	v_sub_u32_e32 v10, v10, v38
	v_add3_u32 v12, v25, v31, v12
	v_mul_lo_u32 v25, v27, s28
	v_mul_lo_u32 v31, v29, s28
	;; [unrolled: 1-line block ×5, first 2 shown]
	v_add_u32_e32 v20, s14, v20
	v_mul_lo_u32 v28, v28, s13
	v_mul_lo_u32 v26, v26, s13
	;; [unrolled: 1-line block ×5, first 2 shown]
	v_sub_u32_e32 v23, v23, v25
	v_sub_u32_e32 v21, v21, v31
	v_add3_u32 v22, v29, v22, v6
	v_sub_u32_e32 v6, v8, v32
	v_add3_u32 v20, v27, v20, v28
	v_add3_u32 v24, v30, v24, v26
	v_mul_lo_u32 v8, v23, s12
	v_mul_lo_u32 v21, v21, s12
	;; [unrolled: 1-line block ×3, first 2 shown]
	v_add3_u32 v6, v12, v10, s23
	v_mov_b32_e32 v13, v5
	v_add_u32_e32 v17, s25, v17
	v_add_u32_e32 v18, s25, v18
	;; [unrolled: 1-line block ×3, first 2 shown]
	v_lshl_add_u64 v[6:7], v[6:7], 2, s[6:7]
	v_add3_u32 v8, v20, v8, s23
	v_add3_u32 v10, v22, v21, s23
	;; [unrolled: 1-line block ×3, first 2 shown]
	v_lshl_add_u64 v[8:9], v[8:9], 2, s[6:7]
	v_lshl_add_u64 v[10:11], v[10:11], 2, s[6:7]
	;; [unrolled: 1-line block ×3, first 2 shown]
	s_waitcnt vmcnt(0)
	global_store_dword v[6:7], v0, off
	global_store_dword v[8:9], v1, off
	;; [unrolled: 1-line block ×4, first 2 shown]
	s_andn2_b64 exec, exec, s[18:19]
	s_cbranch_execnz .LBB56_3
; %bb.4:
	s_or_b64 exec, exec, s[18:19]
.LBB56_5:
	s_or_b64 exec, exec, s[20:21]
	v_cmp_gt_u32_e32 vcc, s22, v4
	s_and_b64 exec, exec, vcc
	s_cbranch_execz .LBB56_8
; %bb.6:
	s_cmp_eq_u32 s15, 3
	s_cselect_b32 s2, s24, s10
	v_cvt_f32_u32_e32 v0, s2
	s_cmp_eq_u32 s15, 2
	s_cselect_b32 s3, s24, s9
	v_cvt_f32_u32_e32 v2, s3
	v_rcp_iflag_f32_e32 v0, v0
	s_cmp_eq_u32 s15, 1
	s_cselect_b32 s4, s24, s8
	v_cvt_f32_u32_e32 v3, s4
	v_mul_f32_e32 v0, 0x4f7ffffe, v0
	v_cvt_u32_f32_e32 v0, v0
	v_rcp_iflag_f32_e32 v5, v2
	s_sub_i32 s5, 0, s2
	s_sub_i32 s0, 0, s3
	v_mul_lo_u32 v2, s5, v0
	v_mul_hi_u32 v2, v0, v2
	v_add_u32_e32 v2, v0, v2
	v_mul_f32_e32 v0, 0x4f7ffffe, v5
	v_rcp_iflag_f32_e32 v5, v3
	v_cvt_u32_f32_e32 v0, v0
	v_mov_b32_e32 v1, 0
	v_mov_b32_e32 v3, v1
	v_mul_f32_e32 v5, 0x4f7ffffe, v5
	v_cvt_u32_f32_e32 v5, v5
	v_mul_lo_u32 v6, s0, v0
	v_mul_hi_u32 v6, v0, v6
	s_sub_i32 s0, 0, s4
	v_add_u32_e32 v10, v0, v6
	v_mul_lo_u32 v0, s0, v5
	v_mul_hi_u32 v0, v5, v0
	v_add_u32_e32 v11, v5, v0
	v_mov_b32_e32 v5, v1
	v_mad_u64_u32 v[6:7], s[0:1], v4, v2, 0
	v_lshl_add_u64 v[8:9], v[4:5], 2, s[16:17]
	s_mov_b64 s[0:1], 0
.LBB56_7:                               ; =>This Inner Loop Header: Depth=1
	global_load_dword v5, v[8:9], off
	v_mul_lo_u32 v0, s2, v7
	v_not_b32_e32 v12, v7
	v_sub_u32_e32 v0, v4, v0
	v_add_u32_e32 v14, 1, v7
	v_cmp_le_u32_e32 vcc, s2, v0
	v_lshl_add_u64 v[8:9], v[8:9], 0, 4
	s_waitcnt vmcnt(0)
	v_mad_u64_u32 v[12:13], s[8:9], s2, v12, v[4:5]
	v_cndmask_b32_e32 v13, v7, v14, vcc
	v_cndmask_b32_e32 v0, v0, v12, vcc
	v_add_u32_e32 v12, 1, v13
	v_cmp_le_u32_e32 vcc, s2, v0
	v_lshl_add_u64 v[6:7], v[6:7], 0, v[2:3]
	s_nop 0
	v_cndmask_b32_e32 v0, v13, v12, vcc
	v_mul_hi_u32 v14, v0, v10
	v_mad_u64_u32 v[12:13], s[8:9], s5, v0, v[4:5]
	v_add_u32_e32 v4, 1, v4
	v_mul_lo_u32 v13, v14, s3
	v_cmp_le_u32_e32 vcc, s22, v4
	v_sub_u32_e32 v13, v0, v13
	v_add_u32_e32 v15, 1, v14
	s_or_b64 s[0:1], vcc, s[0:1]
	v_cmp_le_u32_e32 vcc, s3, v13
	v_mul_lo_u32 v12, v12, s14
	s_nop 0
	v_cndmask_b32_e32 v14, v14, v15, vcc
	v_subrev_u32_e32 v15, s3, v13
	v_cndmask_b32_e32 v13, v13, v15, vcc
	v_add_u32_e32 v15, 1, v14
	v_cmp_le_u32_e32 vcc, s3, v13
	s_nop 1
	v_cndmask_b32_e32 v13, v14, v15, vcc
	v_mul_hi_u32 v14, v13, v11
	v_mul_lo_u32 v15, v13, s3
	v_mul_lo_u32 v16, v14, s4
	v_sub_u32_e32 v0, v0, v15
	v_sub_u32_e32 v15, v13, v16
	v_add_u32_e32 v17, 1, v14
	v_cmp_le_u32_e32 vcc, s4, v15
	v_subrev_u32_e32 v16, s4, v15
	v_mul_lo_u32 v0, v0, s13
	v_cndmask_b32_e32 v14, v14, v17, vcc
	v_cndmask_b32_e32 v15, v15, v16, vcc
	v_add_u32_e32 v16, 1, v14
	v_cmp_le_u32_e32 vcc, s4, v15
	s_nop 1
	v_cndmask_b32_e32 v14, v14, v16, vcc
	v_mul_lo_u32 v15, v14, s4
	v_mul_lo_u32 v14, v14, s11
	v_sub_u32_e32 v13, v13, v15
	v_add3_u32 v0, v14, v12, v0
	v_mul_lo_u32 v12, v13, s12
	v_add3_u32 v0, v0, v12, s23
	v_lshl_add_u64 v[12:13], v[0:1], 2, s[6:7]
	global_store_dword v[12:13], v5, off
	s_andn2_b64 exec, exec, s[0:1]
	s_cbranch_execnz .LBB56_7
.LBB56_8:
	s_endpgm
	.section	.rodata,"a",@progbits
	.p2align	6, 0x0
	.amdhsa_kernel _ZN2at6native12_GLOBAL__N_135CatArrayBatchedCopy_alignedK_contigINS1_10OpaqueTypeILj4EEEjLi4ELi128ELi1ELi16EEEvPT_NS1_25CatArrInputTensorMetadataIS5_T0_XT2_EXT3_EEENS1_16TensorSizeStrideIS8_Lj4EEEiS8_
		.amdhsa_group_segment_fixed_size 0
		.amdhsa_private_segment_fixed_size 0
		.amdhsa_kernarg_size 3024
		.amdhsa_user_sgpr_count 2
		.amdhsa_user_sgpr_dispatch_ptr 0
		.amdhsa_user_sgpr_queue_ptr 0
		.amdhsa_user_sgpr_kernarg_segment_ptr 1
		.amdhsa_user_sgpr_dispatch_id 0
		.amdhsa_user_sgpr_kernarg_preload_length 0
		.amdhsa_user_sgpr_kernarg_preload_offset 0
		.amdhsa_user_sgpr_private_segment_size 0
		.amdhsa_uses_dynamic_stack 0
		.amdhsa_enable_private_segment 0
		.amdhsa_system_sgpr_workgroup_id_x 1
		.amdhsa_system_sgpr_workgroup_id_y 1
		.amdhsa_system_sgpr_workgroup_id_z 0
		.amdhsa_system_sgpr_workgroup_info 0
		.amdhsa_system_vgpr_workitem_id 0
		.amdhsa_next_free_vgpr 40
		.amdhsa_next_free_sgpr 32
		.amdhsa_accum_offset 40
		.amdhsa_reserve_vcc 1
		.amdhsa_float_round_mode_32 0
		.amdhsa_float_round_mode_16_64 0
		.amdhsa_float_denorm_mode_32 3
		.amdhsa_float_denorm_mode_16_64 3
		.amdhsa_dx10_clamp 1
		.amdhsa_ieee_mode 1
		.amdhsa_fp16_overflow 0
		.amdhsa_tg_split 0
		.amdhsa_exception_fp_ieee_invalid_op 0
		.amdhsa_exception_fp_denorm_src 0
		.amdhsa_exception_fp_ieee_div_zero 0
		.amdhsa_exception_fp_ieee_overflow 0
		.amdhsa_exception_fp_ieee_underflow 0
		.amdhsa_exception_fp_ieee_inexact 0
		.amdhsa_exception_int_div_zero 0
	.end_amdhsa_kernel
	.section	.text._ZN2at6native12_GLOBAL__N_135CatArrayBatchedCopy_alignedK_contigINS1_10OpaqueTypeILj4EEEjLi4ELi128ELi1ELi16EEEvPT_NS1_25CatArrInputTensorMetadataIS5_T0_XT2_EXT3_EEENS1_16TensorSizeStrideIS8_Lj4EEEiS8_,"axG",@progbits,_ZN2at6native12_GLOBAL__N_135CatArrayBatchedCopy_alignedK_contigINS1_10OpaqueTypeILj4EEEjLi4ELi128ELi1ELi16EEEvPT_NS1_25CatArrInputTensorMetadataIS5_T0_XT2_EXT3_EEENS1_16TensorSizeStrideIS8_Lj4EEEiS8_,comdat
.Lfunc_end56:
	.size	_ZN2at6native12_GLOBAL__N_135CatArrayBatchedCopy_alignedK_contigINS1_10OpaqueTypeILj4EEEjLi4ELi128ELi1ELi16EEEvPT_NS1_25CatArrInputTensorMetadataIS5_T0_XT2_EXT3_EEENS1_16TensorSizeStrideIS8_Lj4EEEiS8_, .Lfunc_end56-_ZN2at6native12_GLOBAL__N_135CatArrayBatchedCopy_alignedK_contigINS1_10OpaqueTypeILj4EEEjLi4ELi128ELi1ELi16EEEvPT_NS1_25CatArrInputTensorMetadataIS5_T0_XT2_EXT3_EEENS1_16TensorSizeStrideIS8_Lj4EEEiS8_
                                        ; -- End function
	.set _ZN2at6native12_GLOBAL__N_135CatArrayBatchedCopy_alignedK_contigINS1_10OpaqueTypeILj4EEEjLi4ELi128ELi1ELi16EEEvPT_NS1_25CatArrInputTensorMetadataIS5_T0_XT2_EXT3_EEENS1_16TensorSizeStrideIS8_Lj4EEEiS8_.num_vgpr, 40
	.set _ZN2at6native12_GLOBAL__N_135CatArrayBatchedCopy_alignedK_contigINS1_10OpaqueTypeILj4EEEjLi4ELi128ELi1ELi16EEEvPT_NS1_25CatArrInputTensorMetadataIS5_T0_XT2_EXT3_EEENS1_16TensorSizeStrideIS8_Lj4EEEiS8_.num_agpr, 0
	.set _ZN2at6native12_GLOBAL__N_135CatArrayBatchedCopy_alignedK_contigINS1_10OpaqueTypeILj4EEEjLi4ELi128ELi1ELi16EEEvPT_NS1_25CatArrInputTensorMetadataIS5_T0_XT2_EXT3_EEENS1_16TensorSizeStrideIS8_Lj4EEEiS8_.numbered_sgpr, 32
	.set _ZN2at6native12_GLOBAL__N_135CatArrayBatchedCopy_alignedK_contigINS1_10OpaqueTypeILj4EEEjLi4ELi128ELi1ELi16EEEvPT_NS1_25CatArrInputTensorMetadataIS5_T0_XT2_EXT3_EEENS1_16TensorSizeStrideIS8_Lj4EEEiS8_.num_named_barrier, 0
	.set _ZN2at6native12_GLOBAL__N_135CatArrayBatchedCopy_alignedK_contigINS1_10OpaqueTypeILj4EEEjLi4ELi128ELi1ELi16EEEvPT_NS1_25CatArrInputTensorMetadataIS5_T0_XT2_EXT3_EEENS1_16TensorSizeStrideIS8_Lj4EEEiS8_.private_seg_size, 0
	.set _ZN2at6native12_GLOBAL__N_135CatArrayBatchedCopy_alignedK_contigINS1_10OpaqueTypeILj4EEEjLi4ELi128ELi1ELi16EEEvPT_NS1_25CatArrInputTensorMetadataIS5_T0_XT2_EXT3_EEENS1_16TensorSizeStrideIS8_Lj4EEEiS8_.uses_vcc, 1
	.set _ZN2at6native12_GLOBAL__N_135CatArrayBatchedCopy_alignedK_contigINS1_10OpaqueTypeILj4EEEjLi4ELi128ELi1ELi16EEEvPT_NS1_25CatArrInputTensorMetadataIS5_T0_XT2_EXT3_EEENS1_16TensorSizeStrideIS8_Lj4EEEiS8_.uses_flat_scratch, 0
	.set _ZN2at6native12_GLOBAL__N_135CatArrayBatchedCopy_alignedK_contigINS1_10OpaqueTypeILj4EEEjLi4ELi128ELi1ELi16EEEvPT_NS1_25CatArrInputTensorMetadataIS5_T0_XT2_EXT3_EEENS1_16TensorSizeStrideIS8_Lj4EEEiS8_.has_dyn_sized_stack, 0
	.set _ZN2at6native12_GLOBAL__N_135CatArrayBatchedCopy_alignedK_contigINS1_10OpaqueTypeILj4EEEjLi4ELi128ELi1ELi16EEEvPT_NS1_25CatArrInputTensorMetadataIS5_T0_XT2_EXT3_EEENS1_16TensorSizeStrideIS8_Lj4EEEiS8_.has_recursion, 0
	.set _ZN2at6native12_GLOBAL__N_135CatArrayBatchedCopy_alignedK_contigINS1_10OpaqueTypeILj4EEEjLi4ELi128ELi1ELi16EEEvPT_NS1_25CatArrInputTensorMetadataIS5_T0_XT2_EXT3_EEENS1_16TensorSizeStrideIS8_Lj4EEEiS8_.has_indirect_call, 0
	.section	.AMDGPU.csdata,"",@progbits
; Kernel info:
; codeLenInByte = 2172
; TotalNumSgprs: 38
; NumVgprs: 40
; NumAgprs: 0
; TotalNumVgprs: 40
; ScratchSize: 0
; MemoryBound: 0
; FloatMode: 240
; IeeeMode: 1
; LDSByteSize: 0 bytes/workgroup (compile time only)
; SGPRBlocks: 4
; VGPRBlocks: 4
; NumSGPRsForWavesPerEU: 38
; NumVGPRsForWavesPerEU: 40
; AccumOffset: 40
; Occupancy: 8
; WaveLimiterHint : 1
; COMPUTE_PGM_RSRC2:SCRATCH_EN: 0
; COMPUTE_PGM_RSRC2:USER_SGPR: 2
; COMPUTE_PGM_RSRC2:TRAP_HANDLER: 0
; COMPUTE_PGM_RSRC2:TGID_X_EN: 1
; COMPUTE_PGM_RSRC2:TGID_Y_EN: 1
; COMPUTE_PGM_RSRC2:TGID_Z_EN: 0
; COMPUTE_PGM_RSRC2:TIDIG_COMP_CNT: 0
; COMPUTE_PGM_RSRC3_GFX90A:ACCUM_OFFSET: 9
; COMPUTE_PGM_RSRC3_GFX90A:TG_SPLIT: 0
	.section	.text._ZN2at6native12_GLOBAL__N_135CatArrayBatchedCopy_alignedK_contigINS1_10OpaqueTypeILj4EEEjLi4ELi128ELi1ELi8EEEvPT_NS1_25CatArrInputTensorMetadataIS5_T0_XT2_EXT3_EEENS1_16TensorSizeStrideIS8_Lj4EEEiS8_,"axG",@progbits,_ZN2at6native12_GLOBAL__N_135CatArrayBatchedCopy_alignedK_contigINS1_10OpaqueTypeILj4EEEjLi4ELi128ELi1ELi8EEEvPT_NS1_25CatArrInputTensorMetadataIS5_T0_XT2_EXT3_EEENS1_16TensorSizeStrideIS8_Lj4EEEiS8_,comdat
	.globl	_ZN2at6native12_GLOBAL__N_135CatArrayBatchedCopy_alignedK_contigINS1_10OpaqueTypeILj4EEEjLi4ELi128ELi1ELi8EEEvPT_NS1_25CatArrInputTensorMetadataIS5_T0_XT2_EXT3_EEENS1_16TensorSizeStrideIS8_Lj4EEEiS8_ ; -- Begin function _ZN2at6native12_GLOBAL__N_135CatArrayBatchedCopy_alignedK_contigINS1_10OpaqueTypeILj4EEEjLi4ELi128ELi1ELi8EEEvPT_NS1_25CatArrInputTensorMetadataIS5_T0_XT2_EXT3_EEENS1_16TensorSizeStrideIS8_Lj4EEEiS8_
	.p2align	8
	.type	_ZN2at6native12_GLOBAL__N_135CatArrayBatchedCopy_alignedK_contigINS1_10OpaqueTypeILj4EEEjLi4ELi128ELi1ELi8EEEvPT_NS1_25CatArrInputTensorMetadataIS5_T0_XT2_EXT3_EEENS1_16TensorSizeStrideIS8_Lj4EEEiS8_,@function
_ZN2at6native12_GLOBAL__N_135CatArrayBatchedCopy_alignedK_contigINS1_10OpaqueTypeILj4EEEjLi4ELi128ELi1ELi8EEEvPT_NS1_25CatArrInputTensorMetadataIS5_T0_XT2_EXT3_EEENS1_16TensorSizeStrideIS8_Lj4EEEiS8_: ; @_ZN2at6native12_GLOBAL__N_135CatArrayBatchedCopy_alignedK_contigINS1_10OpaqueTypeILj4EEEjLi4ELi128ELi1ELi8EEEvPT_NS1_25CatArrInputTensorMetadataIS5_T0_XT2_EXT3_EEENS1_16TensorSizeStrideIS8_Lj4EEEiS8_
; %bb.0:
	s_mov_b32 s4, s3
	s_load_dword s3, s[0:1], 0xadc
	s_add_u32 s18, s0, 0xad0
	s_mov_b32 s5, 0
	s_addc_u32 s19, s1, 0
	s_lshl_b64 s[4:5], s[4:5], 2
	s_waitcnt lgkmcnt(0)
	s_and_b32 s23, s3, 0xffff
	s_add_u32 s6, s0, s4
	s_addc_u32 s7, s1, s5
	s_load_dword s20, s[6:7], 0x808
	s_mul_i32 s2, s2, s23
	v_add_lshl_u32 v0, s2, v0, 1
	s_add_u32 s6, s6, 8
	s_addc_u32 s7, s7, 0
	s_waitcnt lgkmcnt(0)
	v_cmp_gt_u32_e32 vcc, s20, v0
	s_and_saveexec_b64 s[2:3], vcc
	s_cbranch_execz .LBB57_8
; %bb.1:
	s_add_u32 s14, s6, s4
	s_addc_u32 s15, s7, s5
	s_sub_u32 s4, 0, s4
	s_load_dwordx2 s[2:3], s[0:1], 0x0
	s_subb_u32 s5, 0, s5
	s_add_u32 s16, s14, s4
	s_addc_u32 s17, s15, s5
	s_load_dword s21, s[0:1], 0xacc
	s_load_dword s24, s[16:17], 0x400
	s_load_dwordx8 s[4:11], s[0:1], 0xaac
	s_load_dwordx2 s[12:13], s[14:15], 0x0
	s_load_dword s22, s[16:17], 0x600
	v_add_u32_e32 v1, 2, v0
	s_mov_b64 s[14:15], 0
	s_waitcnt lgkmcnt(0)
	s_mul_i32 s21, s24, s21
	v_cmp_ge_u32_e32 vcc, s20, v1
	s_and_saveexec_b64 s[16:17], vcc
	s_cbranch_execz .LBB57_5
; %bb.2:
	s_load_dword s0, s[18:19], 0x0
	v_mov_b32_e32 v1, 0
	s_waitcnt lgkmcnt(0)
	s_mul_i32 s0, s0, s23
	s_lshl_b32 s18, s0, 1
	s_cmp_eq_u32 s11, 3
	s_cselect_b32 s19, s22, s6
	s_cmp_eq_u32 s11, 2
	v_cvt_f32_u32_e32 v2, s19
	s_cselect_b32 s23, s22, s5
	s_cmp_eq_u32 s11, 1
	v_cvt_f32_u32_e32 v3, s23
	s_cselect_b32 s24, s22, s4
	v_rcp_iflag_f32_e32 v2, v2
	v_cvt_f32_u32_e32 v4, s24
	v_rcp_iflag_f32_e32 v3, v3
	s_sub_i32 s25, 0, s19
	v_mul_f32_e32 v2, 0x4f7ffffe, v2
	v_rcp_iflag_f32_e32 v4, v4
	v_cvt_u32_f32_e32 v2, v2
	v_mul_f32_e32 v3, 0x4f7ffffe, v3
	v_cvt_u32_f32_e32 v3, v3
	v_mul_f32_e32 v4, 0x4f7ffffe, v4
	v_mul_lo_u32 v5, s25, v2
	v_cvt_u32_f32_e32 v4, v4
	s_sub_i32 s0, 0, s23
	v_mul_hi_u32 v5, v2, v5
	v_add_u32_e32 v2, v2, v5
	v_mul_lo_u32 v5, s0, v3
	v_mul_hi_u32 v5, v3, v5
	s_sub_i32 s0, 0, s24
	v_add_u32_e32 v3, v3, v5
	v_mul_lo_u32 v5, s0, v4
	v_mul_hi_u32 v5, v4, v5
	v_add_u32_e32 v4, v4, v5
	v_add_u32_e32 v5, 1, v0
.LBB57_3:                               ; =>This Inner Loop Header: Depth=1
	v_lshl_add_u64 v[8:9], v[0:1], 2, s[12:13]
	global_load_dwordx2 v[8:9], v[8:9], off
	v_mul_hi_u32 v10, v2, v0
	v_mul_hi_u32 v14, v2, v5
	v_add_u32_e32 v6, 1, v0
	v_mov_b32_e32 v7, v1
	v_not_b32_e32 v16, v10
	v_mad_u64_u32 v[12:13], s[0:1], s25, v10, v[0:1]
	v_not_b32_e32 v18, v14
	v_add_u32_e32 v13, 1, v10
	v_mul_hi_u32 v20, v6, v2
	v_mad_u64_u32 v[14:15], s[0:1], s25, v14, v[6:7]
	v_cmp_le_u32_e32 vcc, s19, v12
	v_mad_u64_u32 v[16:17], s[0:1], s19, v16, v[0:1]
	s_nop 0
	v_cndmask_b32_e32 v10, v10, v13, vcc
	v_add_u32_e32 v13, 1, v20
	v_cmp_le_u32_e64 s[0:1], s19, v14
	v_mad_u64_u32 v[18:19], s[26:27], s19, v18, v[6:7]
	v_cndmask_b32_e32 v6, v12, v16, vcc
	v_add_u32_e32 v12, 1, v10
	v_cndmask_b32_e64 v15, v20, v13, s[0:1]
	v_cndmask_b32_e64 v13, v14, v18, s[0:1]
	v_cmp_le_u32_e32 vcc, s19, v6
	v_mov_b32_e32 v11, v1
	v_add_u32_e32 v5, s18, v5
	v_cndmask_b32_e32 v6, v10, v12, vcc
	v_add_u32_e32 v10, 1, v15
	v_cmp_le_u32_e32 vcc, s19, v13
	v_mul_hi_u32 v14, v6, v3
	v_mad_u64_u32 v[12:13], s[0:1], s25, v6, v[0:1]
	v_cndmask_b32_e32 v10, v15, v10, vcc
	v_mul_lo_u32 v15, v14, s23
	v_mul_lo_u32 v17, v12, s10
	v_mad_u64_u32 v[12:13], s[0:1], s25, v10, v[0:1]
	v_mul_hi_u32 v18, v10, v3
	v_sub_u32_e32 v13, v6, v15
	v_add_u32_e32 v16, 1, v14
	v_add_u32_e32 v0, s18, v0
	v_mul_lo_u32 v15, v18, s23
	v_cmp_le_u32_e32 vcc, s23, v13
	v_add_u32_e32 v20, 2, v0
	v_sub_u32_e32 v15, v10, v15
	v_cndmask_b32_e32 v14, v14, v16, vcc
	v_subrev_u32_e32 v16, s23, v13
	v_add_u32_e32 v19, 1, v18
	v_cmp_lt_u32_e64 s[0:1], s20, v20
	v_cndmask_b32_e32 v13, v13, v16, vcc
	v_cmp_le_u32_e32 vcc, s23, v15
	v_add_u32_e32 v16, 1, v14
	s_or_b64 s[14:15], s[0:1], s[14:15]
	v_cndmask_b32_e32 v18, v18, v19, vcc
	v_subrev_u32_e32 v19, s23, v15
	v_cmp_le_u32_e64 s[0:1], s23, v13
	v_mul_lo_u32 v12, s10, v12
	v_add_u32_e32 v12, s10, v12
	v_cndmask_b32_e64 v13, v14, v16, s[0:1]
	v_cndmask_b32_e32 v14, v15, v19, vcc
	v_add_u32_e32 v15, 1, v18
	v_mul_hi_u32 v19, v13, v4
	v_cmp_le_u32_e32 vcc, s23, v14
	v_mul_lo_u32 v16, v13, s23
	v_sub_u32_e32 v6, v6, v16
	v_cndmask_b32_e32 v14, v18, v15, vcc
	v_mul_lo_u32 v15, v19, s24
	v_mul_lo_u32 v18, v14, s23
	v_mul_hi_u32 v20, v14, v4
	v_sub_u32_e32 v15, v13, v15
	v_add_u32_e32 v16, 1, v19
	v_sub_u32_e32 v10, v10, v18
	v_mul_lo_u32 v18, v20, s24
	v_cmp_le_u32_e32 vcc, s24, v15
	v_sub_u32_e32 v18, v14, v18
	v_add_u32_e32 v21, 1, v20
	v_cndmask_b32_e32 v16, v19, v16, vcc
	v_subrev_u32_e32 v19, s24, v15
	v_cndmask_b32_e32 v15, v15, v19, vcc
	v_cmp_le_u32_e32 vcc, s24, v18
	v_add_u32_e32 v19, 1, v16
	v_cmp_le_u32_e64 s[0:1], s24, v15
	v_cndmask_b32_e32 v20, v20, v21, vcc
	v_subrev_u32_e32 v21, s24, v18
	v_cndmask_b32_e64 v15, v16, v19, s[0:1]
	v_cndmask_b32_e32 v16, v18, v21, vcc
	v_add_u32_e32 v18, 1, v20
	v_cmp_le_u32_e32 vcc, s24, v16
	v_mul_lo_u32 v6, v6, s9
	v_mul_lo_u32 v19, v15, s24
	;; [unrolled: 1-line block ×3, first 2 shown]
	v_cndmask_b32_e32 v16, v20, v18, vcc
	v_sub_u32_e32 v13, v13, v19
	v_add3_u32 v6, v15, v17, v6
	v_mul_lo_u32 v15, v16, s24
	v_mul_lo_u32 v10, v10, s9
	;; [unrolled: 1-line block ×4, first 2 shown]
	v_sub_u32_e32 v14, v14, v15
	v_add3_u32 v10, v16, v12, v10
	v_mul_lo_u32 v12, v14, s8
	v_add3_u32 v6, v6, v13, s21
	v_lshl_add_u64 v[6:7], v[6:7], 2, s[2:3]
	v_add3_u32 v10, v10, v12, s21
	v_lshl_add_u64 v[10:11], v[10:11], 2, s[2:3]
	s_waitcnt vmcnt(0)
	global_store_dword v[6:7], v8, off
	global_store_dword v[10:11], v9, off
	s_andn2_b64 exec, exec, s[14:15]
	s_cbranch_execnz .LBB57_3
; %bb.4:
	s_or_b64 exec, exec, s[14:15]
.LBB57_5:
	s_or_b64 exec, exec, s[16:17]
	v_cmp_gt_u32_e32 vcc, s20, v0
	s_and_b64 exec, exec, vcc
	s_cbranch_execz .LBB57_8
; %bb.6:
	s_cmp_eq_u32 s11, 3
	s_cselect_b32 s6, s22, s6
	v_cvt_f32_u32_e32 v1, s6
	s_cmp_eq_u32 s11, 2
	s_cselect_b32 s5, s22, s5
	v_cvt_f32_u32_e32 v2, s5
	v_rcp_iflag_f32_e32 v1, v1
	s_cmp_eq_u32 s11, 1
	s_cselect_b32 s4, s22, s4
	v_cvt_f32_u32_e32 v5, s4
	v_mul_f32_e32 v1, 0x4f7ffffe, v1
	v_cvt_u32_f32_e32 v1, v1
	v_rcp_iflag_f32_e32 v2, v2
	s_sub_i32 s11, 0, s6
	s_sub_i32 s0, 0, s5
	v_mul_lo_u32 v4, s11, v1
	v_mul_hi_u32 v4, v1, v4
	v_add_u32_e32 v4, v1, v4
	v_mul_f32_e32 v1, 0x4f7ffffe, v2
	v_rcp_iflag_f32_e32 v2, v5
	v_cvt_u32_f32_e32 v1, v1
	v_mov_b32_e32 v3, 0
	v_mov_b32_e32 v5, v3
	v_mul_f32_e32 v2, 0x4f7ffffe, v2
	v_cvt_u32_f32_e32 v2, v2
	v_mul_lo_u32 v6, s0, v1
	v_mul_hi_u32 v6, v1, v6
	s_sub_i32 s0, 0, s4
	v_add_u32_e32 v10, v1, v6
	v_mul_lo_u32 v1, s0, v2
	v_mul_hi_u32 v1, v2, v1
	v_add_u32_e32 v11, v2, v1
	v_mov_b32_e32 v1, v3
	v_mad_u64_u32 v[6:7], s[0:1], v0, v4, 0
	v_lshl_add_u64 v[8:9], v[0:1], 2, s[12:13]
	s_mov_b64 s[0:1], 0
.LBB57_7:                               ; =>This Inner Loop Header: Depth=1
	global_load_dword v1, v[8:9], off
	v_mul_lo_u32 v2, s6, v7
	v_not_b32_e32 v12, v7
	v_sub_u32_e32 v2, v0, v2
	v_add_u32_e32 v14, 1, v7
	v_cmp_le_u32_e32 vcc, s6, v2
	v_lshl_add_u64 v[8:9], v[8:9], 0, 4
	s_waitcnt vmcnt(0)
	v_mad_u64_u32 v[12:13], s[12:13], s6, v12, v[0:1]
	v_cndmask_b32_e32 v13, v7, v14, vcc
	v_cndmask_b32_e32 v2, v2, v12, vcc
	v_add_u32_e32 v12, 1, v13
	v_cmp_le_u32_e32 vcc, s6, v2
	v_lshl_add_u64 v[6:7], v[6:7], 0, v[4:5]
	s_nop 0
	v_cndmask_b32_e32 v2, v13, v12, vcc
	v_mul_hi_u32 v14, v2, v10
	v_mad_u64_u32 v[12:13], s[12:13], s11, v2, v[0:1]
	v_add_u32_e32 v0, 1, v0
	v_mul_lo_u32 v13, v14, s5
	v_cmp_le_u32_e32 vcc, s20, v0
	v_sub_u32_e32 v13, v2, v13
	v_add_u32_e32 v15, 1, v14
	s_or_b64 s[0:1], vcc, s[0:1]
	v_cmp_le_u32_e32 vcc, s5, v13
	v_mul_lo_u32 v12, v12, s10
	s_nop 0
	v_cndmask_b32_e32 v14, v14, v15, vcc
	v_subrev_u32_e32 v15, s5, v13
	v_cndmask_b32_e32 v13, v13, v15, vcc
	v_add_u32_e32 v15, 1, v14
	v_cmp_le_u32_e32 vcc, s5, v13
	s_nop 1
	v_cndmask_b32_e32 v13, v14, v15, vcc
	v_mul_hi_u32 v14, v13, v11
	v_mul_lo_u32 v15, v13, s5
	v_mul_lo_u32 v16, v14, s4
	v_sub_u32_e32 v2, v2, v15
	v_sub_u32_e32 v15, v13, v16
	v_add_u32_e32 v17, 1, v14
	v_cmp_le_u32_e32 vcc, s4, v15
	v_subrev_u32_e32 v16, s4, v15
	v_mul_lo_u32 v2, v2, s9
	v_cndmask_b32_e32 v14, v14, v17, vcc
	v_cndmask_b32_e32 v15, v15, v16, vcc
	v_add_u32_e32 v16, 1, v14
	v_cmp_le_u32_e32 vcc, s4, v15
	s_nop 1
	v_cndmask_b32_e32 v14, v14, v16, vcc
	v_mul_lo_u32 v15, v14, s4
	v_mul_lo_u32 v14, v14, s7
	v_sub_u32_e32 v13, v13, v15
	v_add3_u32 v2, v14, v12, v2
	v_mul_lo_u32 v12, v13, s8
	v_add3_u32 v2, v2, v12, s21
	v_lshl_add_u64 v[12:13], v[2:3], 2, s[2:3]
	global_store_dword v[12:13], v1, off
	s_andn2_b64 exec, exec, s[0:1]
	s_cbranch_execnz .LBB57_7
.LBB57_8:
	s_endpgm
	.section	.rodata,"a",@progbits
	.p2align	6, 0x0
	.amdhsa_kernel _ZN2at6native12_GLOBAL__N_135CatArrayBatchedCopy_alignedK_contigINS1_10OpaqueTypeILj4EEEjLi4ELi128ELi1ELi8EEEvPT_NS1_25CatArrInputTensorMetadataIS5_T0_XT2_EXT3_EEENS1_16TensorSizeStrideIS8_Lj4EEEiS8_
		.amdhsa_group_segment_fixed_size 0
		.amdhsa_private_segment_fixed_size 0
		.amdhsa_kernarg_size 3024
		.amdhsa_user_sgpr_count 2
		.amdhsa_user_sgpr_dispatch_ptr 0
		.amdhsa_user_sgpr_queue_ptr 0
		.amdhsa_user_sgpr_kernarg_segment_ptr 1
		.amdhsa_user_sgpr_dispatch_id 0
		.amdhsa_user_sgpr_kernarg_preload_length 0
		.amdhsa_user_sgpr_kernarg_preload_offset 0
		.amdhsa_user_sgpr_private_segment_size 0
		.amdhsa_uses_dynamic_stack 0
		.amdhsa_enable_private_segment 0
		.amdhsa_system_sgpr_workgroup_id_x 1
		.amdhsa_system_sgpr_workgroup_id_y 1
		.amdhsa_system_sgpr_workgroup_id_z 0
		.amdhsa_system_sgpr_workgroup_info 0
		.amdhsa_system_vgpr_workitem_id 0
		.amdhsa_next_free_vgpr 22
		.amdhsa_next_free_sgpr 28
		.amdhsa_accum_offset 24
		.amdhsa_reserve_vcc 1
		.amdhsa_float_round_mode_32 0
		.amdhsa_float_round_mode_16_64 0
		.amdhsa_float_denorm_mode_32 3
		.amdhsa_float_denorm_mode_16_64 3
		.amdhsa_dx10_clamp 1
		.amdhsa_ieee_mode 1
		.amdhsa_fp16_overflow 0
		.amdhsa_tg_split 0
		.amdhsa_exception_fp_ieee_invalid_op 0
		.amdhsa_exception_fp_denorm_src 0
		.amdhsa_exception_fp_ieee_div_zero 0
		.amdhsa_exception_fp_ieee_overflow 0
		.amdhsa_exception_fp_ieee_underflow 0
		.amdhsa_exception_fp_ieee_inexact 0
		.amdhsa_exception_int_div_zero 0
	.end_amdhsa_kernel
	.section	.text._ZN2at6native12_GLOBAL__N_135CatArrayBatchedCopy_alignedK_contigINS1_10OpaqueTypeILj4EEEjLi4ELi128ELi1ELi8EEEvPT_NS1_25CatArrInputTensorMetadataIS5_T0_XT2_EXT3_EEENS1_16TensorSizeStrideIS8_Lj4EEEiS8_,"axG",@progbits,_ZN2at6native12_GLOBAL__N_135CatArrayBatchedCopy_alignedK_contigINS1_10OpaqueTypeILj4EEEjLi4ELi128ELi1ELi8EEEvPT_NS1_25CatArrInputTensorMetadataIS5_T0_XT2_EXT3_EEENS1_16TensorSizeStrideIS8_Lj4EEEiS8_,comdat
.Lfunc_end57:
	.size	_ZN2at6native12_GLOBAL__N_135CatArrayBatchedCopy_alignedK_contigINS1_10OpaqueTypeILj4EEEjLi4ELi128ELi1ELi8EEEvPT_NS1_25CatArrInputTensorMetadataIS5_T0_XT2_EXT3_EEENS1_16TensorSizeStrideIS8_Lj4EEEiS8_, .Lfunc_end57-_ZN2at6native12_GLOBAL__N_135CatArrayBatchedCopy_alignedK_contigINS1_10OpaqueTypeILj4EEEjLi4ELi128ELi1ELi8EEEvPT_NS1_25CatArrInputTensorMetadataIS5_T0_XT2_EXT3_EEENS1_16TensorSizeStrideIS8_Lj4EEEiS8_
                                        ; -- End function
	.set _ZN2at6native12_GLOBAL__N_135CatArrayBatchedCopy_alignedK_contigINS1_10OpaqueTypeILj4EEEjLi4ELi128ELi1ELi8EEEvPT_NS1_25CatArrInputTensorMetadataIS5_T0_XT2_EXT3_EEENS1_16TensorSizeStrideIS8_Lj4EEEiS8_.num_vgpr, 22
	.set _ZN2at6native12_GLOBAL__N_135CatArrayBatchedCopy_alignedK_contigINS1_10OpaqueTypeILj4EEEjLi4ELi128ELi1ELi8EEEvPT_NS1_25CatArrInputTensorMetadataIS5_T0_XT2_EXT3_EEENS1_16TensorSizeStrideIS8_Lj4EEEiS8_.num_agpr, 0
	.set _ZN2at6native12_GLOBAL__N_135CatArrayBatchedCopy_alignedK_contigINS1_10OpaqueTypeILj4EEEjLi4ELi128ELi1ELi8EEEvPT_NS1_25CatArrInputTensorMetadataIS5_T0_XT2_EXT3_EEENS1_16TensorSizeStrideIS8_Lj4EEEiS8_.numbered_sgpr, 28
	.set _ZN2at6native12_GLOBAL__N_135CatArrayBatchedCopy_alignedK_contigINS1_10OpaqueTypeILj4EEEjLi4ELi128ELi1ELi8EEEvPT_NS1_25CatArrInputTensorMetadataIS5_T0_XT2_EXT3_EEENS1_16TensorSizeStrideIS8_Lj4EEEiS8_.num_named_barrier, 0
	.set _ZN2at6native12_GLOBAL__N_135CatArrayBatchedCopy_alignedK_contigINS1_10OpaqueTypeILj4EEEjLi4ELi128ELi1ELi8EEEvPT_NS1_25CatArrInputTensorMetadataIS5_T0_XT2_EXT3_EEENS1_16TensorSizeStrideIS8_Lj4EEEiS8_.private_seg_size, 0
	.set _ZN2at6native12_GLOBAL__N_135CatArrayBatchedCopy_alignedK_contigINS1_10OpaqueTypeILj4EEEjLi4ELi128ELi1ELi8EEEvPT_NS1_25CatArrInputTensorMetadataIS5_T0_XT2_EXT3_EEENS1_16TensorSizeStrideIS8_Lj4EEEiS8_.uses_vcc, 1
	.set _ZN2at6native12_GLOBAL__N_135CatArrayBatchedCopy_alignedK_contigINS1_10OpaqueTypeILj4EEEjLi4ELi128ELi1ELi8EEEvPT_NS1_25CatArrInputTensorMetadataIS5_T0_XT2_EXT3_EEENS1_16TensorSizeStrideIS8_Lj4EEEiS8_.uses_flat_scratch, 0
	.set _ZN2at6native12_GLOBAL__N_135CatArrayBatchedCopy_alignedK_contigINS1_10OpaqueTypeILj4EEEjLi4ELi128ELi1ELi8EEEvPT_NS1_25CatArrInputTensorMetadataIS5_T0_XT2_EXT3_EEENS1_16TensorSizeStrideIS8_Lj4EEEiS8_.has_dyn_sized_stack, 0
	.set _ZN2at6native12_GLOBAL__N_135CatArrayBatchedCopy_alignedK_contigINS1_10OpaqueTypeILj4EEEjLi4ELi128ELi1ELi8EEEvPT_NS1_25CatArrInputTensorMetadataIS5_T0_XT2_EXT3_EEENS1_16TensorSizeStrideIS8_Lj4EEEiS8_.has_recursion, 0
	.set _ZN2at6native12_GLOBAL__N_135CatArrayBatchedCopy_alignedK_contigINS1_10OpaqueTypeILj4EEEjLi4ELi128ELi1ELi8EEEvPT_NS1_25CatArrInputTensorMetadataIS5_T0_XT2_EXT3_EEENS1_16TensorSizeStrideIS8_Lj4EEEiS8_.has_indirect_call, 0
	.section	.AMDGPU.csdata,"",@progbits
; Kernel info:
; codeLenInByte = 1528
; TotalNumSgprs: 34
; NumVgprs: 22
; NumAgprs: 0
; TotalNumVgprs: 22
; ScratchSize: 0
; MemoryBound: 0
; FloatMode: 240
; IeeeMode: 1
; LDSByteSize: 0 bytes/workgroup (compile time only)
; SGPRBlocks: 4
; VGPRBlocks: 2
; NumSGPRsForWavesPerEU: 34
; NumVGPRsForWavesPerEU: 22
; AccumOffset: 24
; Occupancy: 8
; WaveLimiterHint : 1
; COMPUTE_PGM_RSRC2:SCRATCH_EN: 0
; COMPUTE_PGM_RSRC2:USER_SGPR: 2
; COMPUTE_PGM_RSRC2:TRAP_HANDLER: 0
; COMPUTE_PGM_RSRC2:TGID_X_EN: 1
; COMPUTE_PGM_RSRC2:TGID_Y_EN: 1
; COMPUTE_PGM_RSRC2:TGID_Z_EN: 0
; COMPUTE_PGM_RSRC2:TIDIG_COMP_CNT: 0
; COMPUTE_PGM_RSRC3_GFX90A:ACCUM_OFFSET: 5
; COMPUTE_PGM_RSRC3_GFX90A:TG_SPLIT: 0
	.section	.text._ZN2at6native12_GLOBAL__N_126CatArrayBatchedCopy_contigINS1_10OpaqueTypeILj4EEEjLi4ELi128ELi1EEEvPT_NS1_25CatArrInputTensorMetadataIS5_T0_XT2_EXT3_EEENS1_16TensorSizeStrideIS8_Lj4EEEiS8_,"axG",@progbits,_ZN2at6native12_GLOBAL__N_126CatArrayBatchedCopy_contigINS1_10OpaqueTypeILj4EEEjLi4ELi128ELi1EEEvPT_NS1_25CatArrInputTensorMetadataIS5_T0_XT2_EXT3_EEENS1_16TensorSizeStrideIS8_Lj4EEEiS8_,comdat
	.globl	_ZN2at6native12_GLOBAL__N_126CatArrayBatchedCopy_contigINS1_10OpaqueTypeILj4EEEjLi4ELi128ELi1EEEvPT_NS1_25CatArrInputTensorMetadataIS5_T0_XT2_EXT3_EEENS1_16TensorSizeStrideIS8_Lj4EEEiS8_ ; -- Begin function _ZN2at6native12_GLOBAL__N_126CatArrayBatchedCopy_contigINS1_10OpaqueTypeILj4EEEjLi4ELi128ELi1EEEvPT_NS1_25CatArrInputTensorMetadataIS5_T0_XT2_EXT3_EEENS1_16TensorSizeStrideIS8_Lj4EEEiS8_
	.p2align	8
	.type	_ZN2at6native12_GLOBAL__N_126CatArrayBatchedCopy_contigINS1_10OpaqueTypeILj4EEEjLi4ELi128ELi1EEEvPT_NS1_25CatArrInputTensorMetadataIS5_T0_XT2_EXT3_EEENS1_16TensorSizeStrideIS8_Lj4EEEiS8_,@function
_ZN2at6native12_GLOBAL__N_126CatArrayBatchedCopy_contigINS1_10OpaqueTypeILj4EEEjLi4ELi128ELi1EEEvPT_NS1_25CatArrInputTensorMetadataIS5_T0_XT2_EXT3_EEENS1_16TensorSizeStrideIS8_Lj4EEEiS8_: ; @_ZN2at6native12_GLOBAL__N_126CatArrayBatchedCopy_contigINS1_10OpaqueTypeILj4EEEjLi4ELi128ELi1EEEvPT_NS1_25CatArrInputTensorMetadataIS5_T0_XT2_EXT3_EEENS1_16TensorSizeStrideIS8_Lj4EEEiS8_
; %bb.0:
	s_mov_b32 s4, s3
	s_load_dword s3, s[0:1], 0xadc
	s_add_u32 s16, s0, 0xad0
	s_mov_b32 s5, 0
	s_addc_u32 s17, s1, 0
	s_lshl_b64 s[14:15], s[4:5], 2
	s_waitcnt lgkmcnt(0)
	s_and_b32 s19, s3, 0xffff
	s_add_u32 s4, s0, s14
	s_addc_u32 s5, s1, s15
	s_load_dword s18, s[4:5], 0x808
	s_mul_i32 s2, s2, s19
	v_add_u32_e32 v0, s2, v0
	s_add_u32 s20, s4, 8
	s_addc_u32 s21, s5, 0
	s_waitcnt lgkmcnt(0)
	v_cmp_gt_u32_e32 vcc, s18, v0
	s_and_saveexec_b64 s[2:3], vcc
	s_cbranch_execz .LBB58_3
; %bb.1:
	s_add_u32 s20, s20, s14
	s_load_dwordx2 s[2:3], s[0:1], 0xabc
	s_load_dwordx4 s[4:7], s[0:1], 0xab8
	s_load_dwordx2 s[12:13], s[0:1], 0x0
	s_load_dwordx4 s[8:11], s[0:1], 0xaac
	s_addc_u32 s21, s21, s15
	s_waitcnt lgkmcnt(0)
	s_sub_u32 s5, 0, s14
	s_subb_u32 s6, 0, s15
	s_add_u32 s22, s20, s5
	s_addc_u32 s23, s21, s6
	s_load_dwordx2 s[24:25], s[0:1], 0xac8
	s_load_dwordx2 s[14:15], s[20:21], 0x0
	s_load_dword s11, s[22:23], 0x600
	s_load_dword s26, s[22:23], 0x400
	s_mov_b32 s5, s7
	s_waitcnt lgkmcnt(0)
	s_cmp_eq_u32 s24, 3
	s_load_dword s16, s[16:17], 0x0
	s_cselect_b32 s6, s11, s10
	v_cvt_f32_u32_e32 v1, s6
	s_cmp_eq_u32 s24, 2
	s_cselect_b32 s9, s11, s9
	v_cvt_f32_u32_e32 v2, s9
	v_rcp_iflag_f32_e32 v1, v1
	s_cmp_eq_u32 s24, 1
	s_cselect_b32 s8, s11, s8
	s_sub_i32 s11, 0, s6
	v_mul_f32_e32 v1, 0x4f7ffffe, v1
	v_cvt_u32_f32_e32 v1, v1
	v_rcp_iflag_f32_e32 v4, v2
	s_waitcnt lgkmcnt(0)
	s_mul_i32 s10, s16, s19
	s_sub_i32 s16, 0, s9
	v_mul_lo_u32 v3, s11, v1
	v_mul_hi_u32 v2, v1, v3
	v_cvt_f32_u32_e32 v3, s8
	v_add_u32_e32 v2, v1, v2
	v_mul_f32_e32 v1, 0x4f7ffffe, v4
	v_cvt_u32_f32_e32 v4, v1
	v_rcp_iflag_f32_e32 v3, v3
	s_mov_b64 s[0:1], 0
	s_mul_i32 s7, s26, s25
	v_mul_lo_u32 v5, s16, v4
	v_mul_f32_e32 v3, 0x4f7ffffe, v3
	v_cvt_u32_f32_e32 v6, v3
	v_mul_hi_u32 v3, v4, v5
	s_sub_i32 s16, 0, s8
	v_add_u32_e32 v3, v4, v3
	v_mul_lo_u32 v4, s16, v6
	v_mul_hi_u32 v4, v6, v4
	v_mov_b32_e32 v1, 0
	v_add_u32_e32 v4, v6, v4
.LBB58_2:                               ; =>This Inner Loop Header: Depth=1
	v_lshl_add_u64 v[6:7], v[0:1], 2, s[14:15]
	global_load_dword v5, v[6:7], off
	v_mul_hi_u32 v6, v2, v0
	v_mul_lo_u32 v8, s6, v6
	v_not_b32_e32 v9, v6
	v_sub_u32_e32 v11, v0, v8
	v_add_u32_e32 v10, 1, v6
	v_mad_u64_u32 v[8:9], s[16:17], s6, v9, v[0:1]
	v_cmp_le_u32_e32 vcc, s6, v11
	v_mov_b32_e32 v7, v1
	s_nop 0
	v_cndmask_b32_e32 v6, v6, v10, vcc
	v_cndmask_b32_e32 v8, v11, v8, vcc
	v_add_u32_e32 v9, 1, v6
	v_cmp_le_u32_e32 vcc, s6, v8
	s_nop 1
	v_cndmask_b32_e32 v6, v6, v9, vcc
	v_mul_hi_u32 v10, v6, v3
	v_mad_u64_u32 v[8:9], s[16:17], s11, v6, v[0:1]
	v_add_u32_e32 v0, s10, v0
	v_mul_lo_u32 v9, v10, s9
	v_cmp_le_u32_e32 vcc, s18, v0
	v_sub_u32_e32 v9, v6, v9
	v_add_u32_e32 v11, 1, v10
	s_or_b64 s[0:1], vcc, s[0:1]
	v_cmp_le_u32_e32 vcc, s9, v9
	v_mul_lo_u32 v8, v8, s5
	s_nop 0
	v_cndmask_b32_e32 v10, v10, v11, vcc
	v_subrev_u32_e32 v11, s9, v9
	v_cndmask_b32_e32 v9, v9, v11, vcc
	v_add_u32_e32 v11, 1, v10
	v_cmp_le_u32_e32 vcc, s9, v9
	s_nop 1
	v_cndmask_b32_e32 v9, v10, v11, vcc
	v_mul_hi_u32 v10, v9, v4
	v_mul_lo_u32 v11, v9, s9
	v_mul_lo_u32 v12, v10, s8
	v_sub_u32_e32 v6, v6, v11
	v_sub_u32_e32 v11, v9, v12
	v_add_u32_e32 v13, 1, v10
	v_cmp_le_u32_e32 vcc, s8, v11
	v_subrev_u32_e32 v12, s8, v11
	v_mul_lo_u32 v6, v6, s3
	v_cndmask_b32_e32 v10, v10, v13, vcc
	v_cndmask_b32_e32 v11, v11, v12, vcc
	v_add_u32_e32 v12, 1, v10
	v_cmp_le_u32_e32 vcc, s8, v11
	s_nop 1
	v_cndmask_b32_e32 v10, v10, v12, vcc
	v_mul_lo_u32 v11, v10, s8
	v_mul_lo_u32 v10, v10, s4
	v_sub_u32_e32 v9, v9, v11
	v_add3_u32 v8, v8, s7, v10
	v_mul_lo_u32 v9, v9, s2
	v_add3_u32 v6, v8, v6, v9
	v_lshl_add_u64 v[6:7], v[6:7], 2, s[12:13]
	s_waitcnt vmcnt(0)
	global_store_dword v[6:7], v5, off
	s_andn2_b64 exec, exec, s[0:1]
	s_cbranch_execnz .LBB58_2
.LBB58_3:
	s_endpgm
	.section	.rodata,"a",@progbits
	.p2align	6, 0x0
	.amdhsa_kernel _ZN2at6native12_GLOBAL__N_126CatArrayBatchedCopy_contigINS1_10OpaqueTypeILj4EEEjLi4ELi128ELi1EEEvPT_NS1_25CatArrInputTensorMetadataIS5_T0_XT2_EXT3_EEENS1_16TensorSizeStrideIS8_Lj4EEEiS8_
		.amdhsa_group_segment_fixed_size 0
		.amdhsa_private_segment_fixed_size 0
		.amdhsa_kernarg_size 3024
		.amdhsa_user_sgpr_count 2
		.amdhsa_user_sgpr_dispatch_ptr 0
		.amdhsa_user_sgpr_queue_ptr 0
		.amdhsa_user_sgpr_kernarg_segment_ptr 1
		.amdhsa_user_sgpr_dispatch_id 0
		.amdhsa_user_sgpr_kernarg_preload_length 0
		.amdhsa_user_sgpr_kernarg_preload_offset 0
		.amdhsa_user_sgpr_private_segment_size 0
		.amdhsa_uses_dynamic_stack 0
		.amdhsa_enable_private_segment 0
		.amdhsa_system_sgpr_workgroup_id_x 1
		.amdhsa_system_sgpr_workgroup_id_y 1
		.amdhsa_system_sgpr_workgroup_id_z 0
		.amdhsa_system_sgpr_workgroup_info 0
		.amdhsa_system_vgpr_workitem_id 0
		.amdhsa_next_free_vgpr 14
		.amdhsa_next_free_sgpr 27
		.amdhsa_accum_offset 16
		.amdhsa_reserve_vcc 1
		.amdhsa_float_round_mode_32 0
		.amdhsa_float_round_mode_16_64 0
		.amdhsa_float_denorm_mode_32 3
		.amdhsa_float_denorm_mode_16_64 3
		.amdhsa_dx10_clamp 1
		.amdhsa_ieee_mode 1
		.amdhsa_fp16_overflow 0
		.amdhsa_tg_split 0
		.amdhsa_exception_fp_ieee_invalid_op 0
		.amdhsa_exception_fp_denorm_src 0
		.amdhsa_exception_fp_ieee_div_zero 0
		.amdhsa_exception_fp_ieee_overflow 0
		.amdhsa_exception_fp_ieee_underflow 0
		.amdhsa_exception_fp_ieee_inexact 0
		.amdhsa_exception_int_div_zero 0
	.end_amdhsa_kernel
	.section	.text._ZN2at6native12_GLOBAL__N_126CatArrayBatchedCopy_contigINS1_10OpaqueTypeILj4EEEjLi4ELi128ELi1EEEvPT_NS1_25CatArrInputTensorMetadataIS5_T0_XT2_EXT3_EEENS1_16TensorSizeStrideIS8_Lj4EEEiS8_,"axG",@progbits,_ZN2at6native12_GLOBAL__N_126CatArrayBatchedCopy_contigINS1_10OpaqueTypeILj4EEEjLi4ELi128ELi1EEEvPT_NS1_25CatArrInputTensorMetadataIS5_T0_XT2_EXT3_EEENS1_16TensorSizeStrideIS8_Lj4EEEiS8_,comdat
.Lfunc_end58:
	.size	_ZN2at6native12_GLOBAL__N_126CatArrayBatchedCopy_contigINS1_10OpaqueTypeILj4EEEjLi4ELi128ELi1EEEvPT_NS1_25CatArrInputTensorMetadataIS5_T0_XT2_EXT3_EEENS1_16TensorSizeStrideIS8_Lj4EEEiS8_, .Lfunc_end58-_ZN2at6native12_GLOBAL__N_126CatArrayBatchedCopy_contigINS1_10OpaqueTypeILj4EEEjLi4ELi128ELi1EEEvPT_NS1_25CatArrInputTensorMetadataIS5_T0_XT2_EXT3_EEENS1_16TensorSizeStrideIS8_Lj4EEEiS8_
                                        ; -- End function
	.set _ZN2at6native12_GLOBAL__N_126CatArrayBatchedCopy_contigINS1_10OpaqueTypeILj4EEEjLi4ELi128ELi1EEEvPT_NS1_25CatArrInputTensorMetadataIS5_T0_XT2_EXT3_EEENS1_16TensorSizeStrideIS8_Lj4EEEiS8_.num_vgpr, 14
	.set _ZN2at6native12_GLOBAL__N_126CatArrayBatchedCopy_contigINS1_10OpaqueTypeILj4EEEjLi4ELi128ELi1EEEvPT_NS1_25CatArrInputTensorMetadataIS5_T0_XT2_EXT3_EEENS1_16TensorSizeStrideIS8_Lj4EEEiS8_.num_agpr, 0
	.set _ZN2at6native12_GLOBAL__N_126CatArrayBatchedCopy_contigINS1_10OpaqueTypeILj4EEEjLi4ELi128ELi1EEEvPT_NS1_25CatArrInputTensorMetadataIS5_T0_XT2_EXT3_EEENS1_16TensorSizeStrideIS8_Lj4EEEiS8_.numbered_sgpr, 27
	.set _ZN2at6native12_GLOBAL__N_126CatArrayBatchedCopy_contigINS1_10OpaqueTypeILj4EEEjLi4ELi128ELi1EEEvPT_NS1_25CatArrInputTensorMetadataIS5_T0_XT2_EXT3_EEENS1_16TensorSizeStrideIS8_Lj4EEEiS8_.num_named_barrier, 0
	.set _ZN2at6native12_GLOBAL__N_126CatArrayBatchedCopy_contigINS1_10OpaqueTypeILj4EEEjLi4ELi128ELi1EEEvPT_NS1_25CatArrInputTensorMetadataIS5_T0_XT2_EXT3_EEENS1_16TensorSizeStrideIS8_Lj4EEEiS8_.private_seg_size, 0
	.set _ZN2at6native12_GLOBAL__N_126CatArrayBatchedCopy_contigINS1_10OpaqueTypeILj4EEEjLi4ELi128ELi1EEEvPT_NS1_25CatArrInputTensorMetadataIS5_T0_XT2_EXT3_EEENS1_16TensorSizeStrideIS8_Lj4EEEiS8_.uses_vcc, 1
	.set _ZN2at6native12_GLOBAL__N_126CatArrayBatchedCopy_contigINS1_10OpaqueTypeILj4EEEjLi4ELi128ELi1EEEvPT_NS1_25CatArrInputTensorMetadataIS5_T0_XT2_EXT3_EEENS1_16TensorSizeStrideIS8_Lj4EEEiS8_.uses_flat_scratch, 0
	.set _ZN2at6native12_GLOBAL__N_126CatArrayBatchedCopy_contigINS1_10OpaqueTypeILj4EEEjLi4ELi128ELi1EEEvPT_NS1_25CatArrInputTensorMetadataIS5_T0_XT2_EXT3_EEENS1_16TensorSizeStrideIS8_Lj4EEEiS8_.has_dyn_sized_stack, 0
	.set _ZN2at6native12_GLOBAL__N_126CatArrayBatchedCopy_contigINS1_10OpaqueTypeILj4EEEjLi4ELi128ELi1EEEvPT_NS1_25CatArrInputTensorMetadataIS5_T0_XT2_EXT3_EEENS1_16TensorSizeStrideIS8_Lj4EEEiS8_.has_recursion, 0
	.set _ZN2at6native12_GLOBAL__N_126CatArrayBatchedCopy_contigINS1_10OpaqueTypeILj4EEEjLi4ELi128ELi1EEEvPT_NS1_25CatArrInputTensorMetadataIS5_T0_XT2_EXT3_EEENS1_16TensorSizeStrideIS8_Lj4EEEiS8_.has_indirect_call, 0
	.section	.AMDGPU.csdata,"",@progbits
; Kernel info:
; codeLenInByte = 704
; TotalNumSgprs: 33
; NumVgprs: 14
; NumAgprs: 0
; TotalNumVgprs: 14
; ScratchSize: 0
; MemoryBound: 0
; FloatMode: 240
; IeeeMode: 1
; LDSByteSize: 0 bytes/workgroup (compile time only)
; SGPRBlocks: 4
; VGPRBlocks: 1
; NumSGPRsForWavesPerEU: 33
; NumVGPRsForWavesPerEU: 14
; AccumOffset: 16
; Occupancy: 8
; WaveLimiterHint : 1
; COMPUTE_PGM_RSRC2:SCRATCH_EN: 0
; COMPUTE_PGM_RSRC2:USER_SGPR: 2
; COMPUTE_PGM_RSRC2:TRAP_HANDLER: 0
; COMPUTE_PGM_RSRC2:TGID_X_EN: 1
; COMPUTE_PGM_RSRC2:TGID_Y_EN: 1
; COMPUTE_PGM_RSRC2:TGID_Z_EN: 0
; COMPUTE_PGM_RSRC2:TIDIG_COMP_CNT: 0
; COMPUTE_PGM_RSRC3_GFX90A:ACCUM_OFFSET: 3
; COMPUTE_PGM_RSRC3_GFX90A:TG_SPLIT: 0
	.section	.text._ZN2at6native12_GLOBAL__N_119CatArrayBatchedCopyINS1_10OpaqueTypeILj4EEEjLi4ELi128ELi1EEEvPT_NS1_25CatArrInputTensorMetadataIS5_T0_XT2_EXT3_EEENS1_16TensorSizeStrideIS8_Lj4EEEiS8_,"axG",@progbits,_ZN2at6native12_GLOBAL__N_119CatArrayBatchedCopyINS1_10OpaqueTypeILj4EEEjLi4ELi128ELi1EEEvPT_NS1_25CatArrInputTensorMetadataIS5_T0_XT2_EXT3_EEENS1_16TensorSizeStrideIS8_Lj4EEEiS8_,comdat
	.globl	_ZN2at6native12_GLOBAL__N_119CatArrayBatchedCopyINS1_10OpaqueTypeILj4EEEjLi4ELi128ELi1EEEvPT_NS1_25CatArrInputTensorMetadataIS5_T0_XT2_EXT3_EEENS1_16TensorSizeStrideIS8_Lj4EEEiS8_ ; -- Begin function _ZN2at6native12_GLOBAL__N_119CatArrayBatchedCopyINS1_10OpaqueTypeILj4EEEjLi4ELi128ELi1EEEvPT_NS1_25CatArrInputTensorMetadataIS5_T0_XT2_EXT3_EEENS1_16TensorSizeStrideIS8_Lj4EEEiS8_
	.p2align	8
	.type	_ZN2at6native12_GLOBAL__N_119CatArrayBatchedCopyINS1_10OpaqueTypeILj4EEEjLi4ELi128ELi1EEEvPT_NS1_25CatArrInputTensorMetadataIS5_T0_XT2_EXT3_EEENS1_16TensorSizeStrideIS8_Lj4EEEiS8_,@function
_ZN2at6native12_GLOBAL__N_119CatArrayBatchedCopyINS1_10OpaqueTypeILj4EEEjLi4ELi128ELi1EEEvPT_NS1_25CatArrInputTensorMetadataIS5_T0_XT2_EXT3_EEENS1_16TensorSizeStrideIS8_Lj4EEEiS8_: ; @_ZN2at6native12_GLOBAL__N_119CatArrayBatchedCopyINS1_10OpaqueTypeILj4EEEjLi4ELi128ELi1EEEvPT_NS1_25CatArrInputTensorMetadataIS5_T0_XT2_EXT3_EEENS1_16TensorSizeStrideIS8_Lj4EEEiS8_
; %bb.0:
	s_mov_b32 s20, s3
	s_load_dword s3, s[0:1], 0xadc
	s_or_b32 s26, s0, 8
	s_add_u32 s28, s0, 0xad0
	s_mov_b32 s21, 0
	s_addc_u32 s29, s1, 0
	s_waitcnt lgkmcnt(0)
	s_and_b32 s31, s3, 0xffff
	s_lshl_b64 s[22:23], s[20:21], 2
	s_add_u32 s4, s26, s22
	s_addc_u32 s5, s1, s23
	s_load_dword s30, s[4:5], 0x800
	s_mul_i32 s2, s2, s31
	v_add_u32_e32 v0, s2, v0
	s_waitcnt lgkmcnt(0)
	v_cmp_gt_u32_e32 vcc, s30, v0
	s_and_saveexec_b64 s[2:3], vcc
	s_cbranch_execz .LBB59_5
; %bb.1:
	s_add_u32 s34, s26, s20
	s_addc_u32 s35, s1, 0
	v_mov_b32_e32 v1, 0
	global_load_ubyte v2, v1, s[34:35] offset:2560
	s_mov_b32 s27, s1
	s_load_dwordx2 s[24:25], s[0:1], 0xac8
	s_load_dwordx4 s[4:7], s[26:27], 0xa90
	s_load_dwordx2 s[2:3], s[0:1], 0x0
	s_load_dwordx4 s[12:15], s[0:1], 0xa8c
	s_load_dwordx4 s[8:11], s[0:1], 0xab8
	;; [unrolled: 1-line block ×3, first 2 shown]
                                        ; kill: killed $sgpr0 killed $sgpr1
	s_waitcnt lgkmcnt(0)
	s_mul_i32 s19, s20, 7
	s_load_dword s15, s[28:29], 0x0
                                        ; kill: killed $sgpr28 killed $sgpr29
	s_mul_hi_u32 s6, s20, 7
	s_mov_b32 s5, s7
	s_mov_b64 s[20:21], 0
	s_waitcnt lgkmcnt(0)
	s_mul_i32 s15, s15, s31
	s_waitcnt vmcnt(0)
	v_and_b32_e32 v2, 1, v2
	v_cmp_eq_u32_e32 vcc, 1, v2
	s_xor_b64 s[0:1], vcc, -1
	s_add_u32 s28, s34, s19
	s_addc_u32 s29, s35, s6
	s_sub_u32 s6, 0, s22
	s_subb_u32 s7, 0, s23
	s_add_u32 s34, s28, s6
	s_addc_u32 s35, s29, s7
	s_load_dwordx2 s[6:7], s[26:27], 0xa94
	s_load_dwordx2 s[22:23], s[28:29], 0x0
	s_load_dword s19, s[34:35], 0x400
	s_load_dword s33, s[34:35], 0x600
	s_cmp_eq_u32 s24, 3
	v_cndmask_b32_e64 v2, 0, 1, s[0:1]
	s_waitcnt lgkmcnt(0)
	s_mul_i32 s19, s19, s25
	s_cselect_b32 s18, s33, s18
	s_cselect_b32 s14, s33, s14
	s_cmp_eq_u32 s24, 2
	s_cselect_b32 s17, s33, s17
	s_cselect_b32 s13, s33, s13
	s_cmp_eq_u32 s24, 1
	v_cvt_f32_u32_e32 v3, s18
	v_cvt_f32_u32_e32 v4, s14
	s_cselect_b32 s16, s33, s16
	s_cselect_b32 s12, s33, s12
	v_cvt_f32_u32_e32 v5, s17
	v_cvt_f32_u32_e32 v6, s13
	;; [unrolled: 1-line block ×4, first 2 shown]
	v_rcp_iflag_f32_e32 v3, v3
	v_rcp_iflag_f32_e32 v4, v4
	;; [unrolled: 1-line block ×6, first 2 shown]
	v_mul_f32_e32 v3, 0x4f7ffffe, v3
	v_mul_f32_e32 v4, 0x4f7ffffe, v4
	v_cvt_u32_f32_e32 v3, v3
	v_mul_f32_e32 v5, 0x4f7ffffe, v5
	v_cvt_u32_f32_e32 v9, v4
	;; [unrolled: 2-line block ×5, first 2 shown]
	v_cvt_u32_f32_e32 v10, v4
	s_sub_i32 s24, 0, s18
	s_sub_i32 s25, 0, s14
	;; [unrolled: 1-line block ×4, first 2 shown]
	v_mul_lo_u32 v4, s24, v3
	v_mul_lo_u32 v5, s25, v9
	s_sub_i32 s26, 0, s16
	s_sub_i32 s27, 0, s12
	v_mul_hi_u32 v4, v3, v4
	v_mul_lo_u32 v11, s0, v6
	v_mul_hi_u32 v5, v9, v5
	v_mul_lo_u32 v12, s1, v7
	v_add_u32_e32 v4, v3, v4
	v_mul_hi_u32 v3, v6, v11
	v_mul_lo_u32 v11, s26, v8
	v_add_u32_e32 v5, v9, v5
	;; [unrolled: 3-line block ×3, first 2 shown]
	v_mul_hi_u32 v3, v8, v11
	v_add_u32_e32 v7, v7, v9
	v_mul_hi_u32 v9, v10, v12
	v_add_u32_e32 v8, v8, v3
	v_add_u32_e32 v9, v10, v9
	v_cmp_ne_u32_e64 s[0:1], 1, v2
	s_branch .LBB59_3
.LBB59_2:                               ;   in Loop: Header=BB59_3 Depth=1
	v_lshl_add_u64 v[2:3], v[2:3], 2, s[22:23]
	global_load_dword v12, v[2:3], off
	v_mul_hi_u32 v10, v4, v0
	v_mad_u64_u32 v[2:3], s[26:27], s24, v10, v[0:1]
	v_not_b32_e32 v11, v10
	v_add_u32_e32 v3, 1, v10
	v_cmp_le_u32_e32 vcc, s18, v2
	s_nop 1
	v_cndmask_b32_e32 v3, v10, v3, vcc
	v_mad_u64_u32 v[10:11], s[26:27], s18, v11, v[0:1]
	v_cndmask_b32_e32 v2, v2, v10, vcc
	v_add_u32_e32 v10, 1, v3
	v_cmp_le_u32_e32 vcc, s18, v2
	s_nop 1
	v_cndmask_b32_e32 v2, v3, v10, vcc
	v_mul_hi_u32 v3, v2, v6
	v_mul_lo_u32 v10, v3, s17
	v_sub_u32_e32 v10, v2, v10
	v_add_u32_e32 v11, 1, v3
	v_cmp_le_u32_e32 vcc, s17, v10
	s_nop 1
	v_cndmask_b32_e32 v3, v3, v11, vcc
	v_subrev_u32_e32 v11, s17, v10
	v_cndmask_b32_e32 v10, v10, v11, vcc
	v_add_u32_e32 v11, 1, v3
	v_cmp_le_u32_e32 vcc, s17, v10
	s_nop 1
	v_cndmask_b32_e32 v10, v3, v11, vcc
	v_mul_lo_u32 v3, v10, s17
	v_sub_u32_e32 v3, v2, v3
	v_mul_lo_u32 v11, v3, s10
	v_mad_u64_u32 v[2:3], s[26:27], s24, v2, v[0:1]
	v_mul_hi_u32 v3, v10, v8
	v_mul_lo_u32 v13, v3, s16
	v_sub_u32_e32 v13, v10, v13
	v_add_u32_e32 v14, 1, v3
	v_cmp_le_u32_e32 vcc, s16, v13
	v_mul_lo_u32 v2, v2, s11
	v_add_u32_e32 v0, s15, v0
	v_cndmask_b32_e32 v3, v3, v14, vcc
	v_subrev_u32_e32 v14, s16, v13
	v_cndmask_b32_e32 v13, v13, v14, vcc
	v_add_u32_e32 v14, 1, v3
	v_cmp_le_u32_e32 vcc, s16, v13
	s_nop 1
	v_cndmask_b32_e32 v3, v3, v14, vcc
	v_mul_lo_u32 v13, v3, s16
	v_sub_u32_e32 v10, v10, v13
	v_mul_lo_u32 v3, v3, s8
	v_mul_lo_u32 v10, v10, s9
	v_add3_u32 v2, v3, v2, v11
	v_add3_u32 v2, v2, v10, s19
	v_mov_b32_e32 v3, v1
	v_cmp_le_u32_e32 vcc, s30, v0
	v_lshl_add_u64 v[2:3], v[2:3], 2, s[2:3]
	s_or_b64 s[20:21], vcc, s[20:21]
	s_waitcnt vmcnt(0)
	global_store_dword v[2:3], v12, off
	s_andn2_b64 exec, exec, s[20:21]
	s_cbranch_execz .LBB59_5
.LBB59_3:                               ; =>This Inner Loop Header: Depth=1
	s_and_b64 vcc, exec, s[0:1]
	v_mov_b64_e32 v[2:3], v[0:1]
	s_cbranch_vccnz .LBB59_2
; %bb.4:                                ;   in Loop: Header=BB59_3 Depth=1
	v_mul_hi_u32 v10, v5, v0
	v_mad_u64_u32 v[2:3], s[26:27], s25, v10, v[0:1]
	v_not_b32_e32 v11, v10
	v_add_u32_e32 v3, 1, v10
	v_cmp_le_u32_e32 vcc, s14, v2
	s_nop 1
	v_cndmask_b32_e32 v3, v10, v3, vcc
	v_mad_u64_u32 v[10:11], s[26:27], s14, v11, v[0:1]
	v_cndmask_b32_e32 v2, v2, v10, vcc
	v_add_u32_e32 v10, 1, v3
	v_cmp_le_u32_e32 vcc, s14, v2
	s_nop 1
	v_cndmask_b32_e32 v2, v3, v10, vcc
	v_mul_hi_u32 v3, v2, v7
	v_mul_lo_u32 v10, v3, s13
	v_sub_u32_e32 v10, v2, v10
	v_add_u32_e32 v11, 1, v3
	v_cmp_le_u32_e32 vcc, s13, v10
	s_nop 1
	v_cndmask_b32_e32 v3, v3, v11, vcc
	v_subrev_u32_e32 v11, s13, v10
	v_cndmask_b32_e32 v10, v10, v11, vcc
	v_add_u32_e32 v11, 1, v3
	v_cmp_le_u32_e32 vcc, s13, v10
	s_nop 1
	v_cndmask_b32_e32 v10, v3, v11, vcc
	v_mul_lo_u32 v3, v10, s13
	v_sub_u32_e32 v3, v2, v3
	v_mul_lo_u32 v11, v3, s7
	v_mad_u64_u32 v[2:3], s[26:27], s25, v2, v[0:1]
	v_mul_hi_u32 v3, v10, v9
	v_mul_lo_u32 v12, v3, s12
	v_sub_u32_e32 v12, v10, v12
	v_add_u32_e32 v13, 1, v3
	v_cmp_le_u32_e32 vcc, s12, v12
	v_mul_lo_u32 v2, v2, s5
	s_nop 0
	v_cndmask_b32_e32 v3, v3, v13, vcc
	v_subrev_u32_e32 v13, s12, v12
	v_cndmask_b32_e32 v12, v12, v13, vcc
	v_add_u32_e32 v13, 1, v3
	v_cmp_le_u32_e32 vcc, s12, v12
	s_nop 1
	v_cndmask_b32_e32 v3, v3, v13, vcc
	v_mul_lo_u32 v12, v3, s12
	v_sub_u32_e32 v10, v10, v12
	v_mul_lo_u32 v10, v10, s6
	v_mad_u64_u32 v[2:3], s[26:27], v3, s4, v[2:3]
	v_add3_u32 v2, v2, v11, v10
	v_mov_b32_e32 v3, v1
	s_branch .LBB59_2
.LBB59_5:
	s_endpgm
	.section	.rodata,"a",@progbits
	.p2align	6, 0x0
	.amdhsa_kernel _ZN2at6native12_GLOBAL__N_119CatArrayBatchedCopyINS1_10OpaqueTypeILj4EEEjLi4ELi128ELi1EEEvPT_NS1_25CatArrInputTensorMetadataIS5_T0_XT2_EXT3_EEENS1_16TensorSizeStrideIS8_Lj4EEEiS8_
		.amdhsa_group_segment_fixed_size 0
		.amdhsa_private_segment_fixed_size 0
		.amdhsa_kernarg_size 3024
		.amdhsa_user_sgpr_count 2
		.amdhsa_user_sgpr_dispatch_ptr 0
		.amdhsa_user_sgpr_queue_ptr 0
		.amdhsa_user_sgpr_kernarg_segment_ptr 1
		.amdhsa_user_sgpr_dispatch_id 0
		.amdhsa_user_sgpr_kernarg_preload_length 0
		.amdhsa_user_sgpr_kernarg_preload_offset 0
		.amdhsa_user_sgpr_private_segment_size 0
		.amdhsa_uses_dynamic_stack 0
		.amdhsa_enable_private_segment 0
		.amdhsa_system_sgpr_workgroup_id_x 1
		.amdhsa_system_sgpr_workgroup_id_y 1
		.amdhsa_system_sgpr_workgroup_id_z 0
		.amdhsa_system_sgpr_workgroup_info 0
		.amdhsa_system_vgpr_workitem_id 0
		.amdhsa_next_free_vgpr 15
		.amdhsa_next_free_sgpr 36
		.amdhsa_accum_offset 16
		.amdhsa_reserve_vcc 1
		.amdhsa_float_round_mode_32 0
		.amdhsa_float_round_mode_16_64 0
		.amdhsa_float_denorm_mode_32 3
		.amdhsa_float_denorm_mode_16_64 3
		.amdhsa_dx10_clamp 1
		.amdhsa_ieee_mode 1
		.amdhsa_fp16_overflow 0
		.amdhsa_tg_split 0
		.amdhsa_exception_fp_ieee_invalid_op 0
		.amdhsa_exception_fp_denorm_src 0
		.amdhsa_exception_fp_ieee_div_zero 0
		.amdhsa_exception_fp_ieee_overflow 0
		.amdhsa_exception_fp_ieee_underflow 0
		.amdhsa_exception_fp_ieee_inexact 0
		.amdhsa_exception_int_div_zero 0
	.end_amdhsa_kernel
	.section	.text._ZN2at6native12_GLOBAL__N_119CatArrayBatchedCopyINS1_10OpaqueTypeILj4EEEjLi4ELi128ELi1EEEvPT_NS1_25CatArrInputTensorMetadataIS5_T0_XT2_EXT3_EEENS1_16TensorSizeStrideIS8_Lj4EEEiS8_,"axG",@progbits,_ZN2at6native12_GLOBAL__N_119CatArrayBatchedCopyINS1_10OpaqueTypeILj4EEEjLi4ELi128ELi1EEEvPT_NS1_25CatArrInputTensorMetadataIS5_T0_XT2_EXT3_EEENS1_16TensorSizeStrideIS8_Lj4EEEiS8_,comdat
.Lfunc_end59:
	.size	_ZN2at6native12_GLOBAL__N_119CatArrayBatchedCopyINS1_10OpaqueTypeILj4EEEjLi4ELi128ELi1EEEvPT_NS1_25CatArrInputTensorMetadataIS5_T0_XT2_EXT3_EEENS1_16TensorSizeStrideIS8_Lj4EEEiS8_, .Lfunc_end59-_ZN2at6native12_GLOBAL__N_119CatArrayBatchedCopyINS1_10OpaqueTypeILj4EEEjLi4ELi128ELi1EEEvPT_NS1_25CatArrInputTensorMetadataIS5_T0_XT2_EXT3_EEENS1_16TensorSizeStrideIS8_Lj4EEEiS8_
                                        ; -- End function
	.set _ZN2at6native12_GLOBAL__N_119CatArrayBatchedCopyINS1_10OpaqueTypeILj4EEEjLi4ELi128ELi1EEEvPT_NS1_25CatArrInputTensorMetadataIS5_T0_XT2_EXT3_EEENS1_16TensorSizeStrideIS8_Lj4EEEiS8_.num_vgpr, 15
	.set _ZN2at6native12_GLOBAL__N_119CatArrayBatchedCopyINS1_10OpaqueTypeILj4EEEjLi4ELi128ELi1EEEvPT_NS1_25CatArrInputTensorMetadataIS5_T0_XT2_EXT3_EEENS1_16TensorSizeStrideIS8_Lj4EEEiS8_.num_agpr, 0
	.set _ZN2at6native12_GLOBAL__N_119CatArrayBatchedCopyINS1_10OpaqueTypeILj4EEEjLi4ELi128ELi1EEEvPT_NS1_25CatArrInputTensorMetadataIS5_T0_XT2_EXT3_EEENS1_16TensorSizeStrideIS8_Lj4EEEiS8_.numbered_sgpr, 36
	.set _ZN2at6native12_GLOBAL__N_119CatArrayBatchedCopyINS1_10OpaqueTypeILj4EEEjLi4ELi128ELi1EEEvPT_NS1_25CatArrInputTensorMetadataIS5_T0_XT2_EXT3_EEENS1_16TensorSizeStrideIS8_Lj4EEEiS8_.num_named_barrier, 0
	.set _ZN2at6native12_GLOBAL__N_119CatArrayBatchedCopyINS1_10OpaqueTypeILj4EEEjLi4ELi128ELi1EEEvPT_NS1_25CatArrInputTensorMetadataIS5_T0_XT2_EXT3_EEENS1_16TensorSizeStrideIS8_Lj4EEEiS8_.private_seg_size, 0
	.set _ZN2at6native12_GLOBAL__N_119CatArrayBatchedCopyINS1_10OpaqueTypeILj4EEEjLi4ELi128ELi1EEEvPT_NS1_25CatArrInputTensorMetadataIS5_T0_XT2_EXT3_EEENS1_16TensorSizeStrideIS8_Lj4EEEiS8_.uses_vcc, 1
	.set _ZN2at6native12_GLOBAL__N_119CatArrayBatchedCopyINS1_10OpaqueTypeILj4EEEjLi4ELi128ELi1EEEvPT_NS1_25CatArrInputTensorMetadataIS5_T0_XT2_EXT3_EEENS1_16TensorSizeStrideIS8_Lj4EEEiS8_.uses_flat_scratch, 0
	.set _ZN2at6native12_GLOBAL__N_119CatArrayBatchedCopyINS1_10OpaqueTypeILj4EEEjLi4ELi128ELi1EEEvPT_NS1_25CatArrInputTensorMetadataIS5_T0_XT2_EXT3_EEENS1_16TensorSizeStrideIS8_Lj4EEEiS8_.has_dyn_sized_stack, 0
	.set _ZN2at6native12_GLOBAL__N_119CatArrayBatchedCopyINS1_10OpaqueTypeILj4EEEjLi4ELi128ELi1EEEvPT_NS1_25CatArrInputTensorMetadataIS5_T0_XT2_EXT3_EEENS1_16TensorSizeStrideIS8_Lj4EEEiS8_.has_recursion, 0
	.set _ZN2at6native12_GLOBAL__N_119CatArrayBatchedCopyINS1_10OpaqueTypeILj4EEEjLi4ELi128ELi1EEEvPT_NS1_25CatArrInputTensorMetadataIS5_T0_XT2_EXT3_EEENS1_16TensorSizeStrideIS8_Lj4EEEiS8_.has_indirect_call, 0
	.section	.AMDGPU.csdata,"",@progbits
; Kernel info:
; codeLenInByte = 1196
; TotalNumSgprs: 42
; NumVgprs: 15
; NumAgprs: 0
; TotalNumVgprs: 15
; ScratchSize: 0
; MemoryBound: 0
; FloatMode: 240
; IeeeMode: 1
; LDSByteSize: 0 bytes/workgroup (compile time only)
; SGPRBlocks: 5
; VGPRBlocks: 1
; NumSGPRsForWavesPerEU: 42
; NumVGPRsForWavesPerEU: 15
; AccumOffset: 16
; Occupancy: 8
; WaveLimiterHint : 1
; COMPUTE_PGM_RSRC2:SCRATCH_EN: 0
; COMPUTE_PGM_RSRC2:USER_SGPR: 2
; COMPUTE_PGM_RSRC2:TRAP_HANDLER: 0
; COMPUTE_PGM_RSRC2:TGID_X_EN: 1
; COMPUTE_PGM_RSRC2:TGID_Y_EN: 1
; COMPUTE_PGM_RSRC2:TGID_Z_EN: 0
; COMPUTE_PGM_RSRC2:TIDIG_COMP_CNT: 0
; COMPUTE_PGM_RSRC3_GFX90A:ACCUM_OFFSET: 3
; COMPUTE_PGM_RSRC3_GFX90A:TG_SPLIT: 0
	.section	.text._ZN2at6native12_GLOBAL__N_130CatArrayBatchedCopy_vectorizedINS1_10OpaqueTypeILj8EEEjLi1ELi128ELi1ELi16ELi2EEEvPcNS1_25CatArrInputTensorMetadataIT_T0_XT2_EXT3_EEENS1_16TensorSizeStrideIS8_Lj4EEEiS8_,"axG",@progbits,_ZN2at6native12_GLOBAL__N_130CatArrayBatchedCopy_vectorizedINS1_10OpaqueTypeILj8EEEjLi1ELi128ELi1ELi16ELi2EEEvPcNS1_25CatArrInputTensorMetadataIT_T0_XT2_EXT3_EEENS1_16TensorSizeStrideIS8_Lj4EEEiS8_,comdat
	.globl	_ZN2at6native12_GLOBAL__N_130CatArrayBatchedCopy_vectorizedINS1_10OpaqueTypeILj8EEEjLi1ELi128ELi1ELi16ELi2EEEvPcNS1_25CatArrInputTensorMetadataIT_T0_XT2_EXT3_EEENS1_16TensorSizeStrideIS8_Lj4EEEiS8_ ; -- Begin function _ZN2at6native12_GLOBAL__N_130CatArrayBatchedCopy_vectorizedINS1_10OpaqueTypeILj8EEEjLi1ELi128ELi1ELi16ELi2EEEvPcNS1_25CatArrInputTensorMetadataIT_T0_XT2_EXT3_EEENS1_16TensorSizeStrideIS8_Lj4EEEiS8_
	.p2align	8
	.type	_ZN2at6native12_GLOBAL__N_130CatArrayBatchedCopy_vectorizedINS1_10OpaqueTypeILj8EEEjLi1ELi128ELi1ELi16ELi2EEEvPcNS1_25CatArrInputTensorMetadataIT_T0_XT2_EXT3_EEENS1_16TensorSizeStrideIS8_Lj4EEEiS8_,@function
_ZN2at6native12_GLOBAL__N_130CatArrayBatchedCopy_vectorizedINS1_10OpaqueTypeILj8EEEjLi1ELi128ELi1ELi16ELi2EEEvPcNS1_25CatArrInputTensorMetadataIT_T0_XT2_EXT3_EEENS1_16TensorSizeStrideIS8_Lj4EEEiS8_: ; @_ZN2at6native12_GLOBAL__N_130CatArrayBatchedCopy_vectorizedINS1_10OpaqueTypeILj8EEEjLi1ELi128ELi1ELi16ELi2EEEvPcNS1_25CatArrInputTensorMetadataIT_T0_XT2_EXT3_EEENS1_16TensorSizeStrideIS8_Lj4EEEiS8_
; %bb.0:
	s_mov_b32 s4, s3
	s_load_dword s3, s[0:1], 0xadc
	s_add_u32 s6, s0, 0xad0
	s_mov_b32 s5, 0
	s_addc_u32 s7, s1, 0
	s_lshl_b64 s[8:9], s[4:5], 2
	s_waitcnt lgkmcnt(0)
	s_and_b32 s11, s3, 0xffff
	s_add_u32 s12, s0, s8
	s_addc_u32 s13, s1, s9
	s_load_dword s4, s[12:13], 0x808
	s_mul_i32 s2, s2, s11
	v_add_u32_e32 v0, s2, v0
	s_add_u32 s2, s12, 8
	s_addc_u32 s3, s13, 0
	s_waitcnt lgkmcnt(0)
	s_lshr_b32 s10, s4, 1
	v_cmp_gt_u32_e32 vcc, s10, v0
	s_and_saveexec_b64 s[12:13], vcc
	s_cbranch_execz .LBB60_3
; %bb.1:
	s_add_u32 s12, s2, s8
	s_addc_u32 s13, s3, s9
	s_sub_u32 s2, 0, s8
	s_subb_u32 s3, 0, s9
	s_add_u32 s8, s12, s2
	s_addc_u32 s9, s13, s3
	s_load_dword s4, s[8:9], 0x400
	s_load_dwordx2 s[14:15], s[0:1], 0x0
	s_load_dword s16, s[0:1], 0xacc
	s_load_dwordx2 s[2:3], s[12:13], 0x0
	s_load_dword s17, s[0:1], 0xab8
	s_load_dword s18, s[6:7], 0x0
	s_mov_b64 s[0:1], 0
	s_waitcnt lgkmcnt(0)
	s_mul_i32 s4, s4, s16
	s_lshr_b32 s4, s4, 1
	s_lshl_b64 s[4:5], s[4:5], 4
	s_mul_i32 s6, s18, s11
	s_add_u32 s4, s14, s4
	s_addc_u32 s5, s15, s5
	v_mul_lo_u32 v2, s17, v0
	s_mul_i32 s7, s6, s17
	v_mov_b32_e32 v3, 0
.LBB60_2:                               ; =>This Inner Loop Header: Depth=1
	v_mov_b32_e32 v1, v3
	v_lshl_add_u64 v[4:5], v[0:1], 4, s[2:3]
	global_load_dwordx4 v[4:7], v[4:5], off
	v_add_u32_e32 v0, s6, v0
	v_cmp_le_u32_e32 vcc, s10, v0
	v_lshl_add_u64 v[8:9], v[2:3], 4, s[4:5]
	v_add_u32_e32 v2, s7, v2
	s_or_b64 s[0:1], vcc, s[0:1]
	s_waitcnt vmcnt(0)
	global_store_dwordx4 v[8:9], v[4:7], off
	s_andn2_b64 exec, exec, s[0:1]
	s_cbranch_execnz .LBB60_2
.LBB60_3:
	s_endpgm
	.section	.rodata,"a",@progbits
	.p2align	6, 0x0
	.amdhsa_kernel _ZN2at6native12_GLOBAL__N_130CatArrayBatchedCopy_vectorizedINS1_10OpaqueTypeILj8EEEjLi1ELi128ELi1ELi16ELi2EEEvPcNS1_25CatArrInputTensorMetadataIT_T0_XT2_EXT3_EEENS1_16TensorSizeStrideIS8_Lj4EEEiS8_
		.amdhsa_group_segment_fixed_size 0
		.amdhsa_private_segment_fixed_size 0
		.amdhsa_kernarg_size 3024
		.amdhsa_user_sgpr_count 2
		.amdhsa_user_sgpr_dispatch_ptr 0
		.amdhsa_user_sgpr_queue_ptr 0
		.amdhsa_user_sgpr_kernarg_segment_ptr 1
		.amdhsa_user_sgpr_dispatch_id 0
		.amdhsa_user_sgpr_kernarg_preload_length 0
		.amdhsa_user_sgpr_kernarg_preload_offset 0
		.amdhsa_user_sgpr_private_segment_size 0
		.amdhsa_uses_dynamic_stack 0
		.amdhsa_enable_private_segment 0
		.amdhsa_system_sgpr_workgroup_id_x 1
		.amdhsa_system_sgpr_workgroup_id_y 1
		.amdhsa_system_sgpr_workgroup_id_z 0
		.amdhsa_system_sgpr_workgroup_info 0
		.amdhsa_system_vgpr_workitem_id 0
		.amdhsa_next_free_vgpr 10
		.amdhsa_next_free_sgpr 19
		.amdhsa_accum_offset 12
		.amdhsa_reserve_vcc 1
		.amdhsa_float_round_mode_32 0
		.amdhsa_float_round_mode_16_64 0
		.amdhsa_float_denorm_mode_32 3
		.amdhsa_float_denorm_mode_16_64 3
		.amdhsa_dx10_clamp 1
		.amdhsa_ieee_mode 1
		.amdhsa_fp16_overflow 0
		.amdhsa_tg_split 0
		.amdhsa_exception_fp_ieee_invalid_op 0
		.amdhsa_exception_fp_denorm_src 0
		.amdhsa_exception_fp_ieee_div_zero 0
		.amdhsa_exception_fp_ieee_overflow 0
		.amdhsa_exception_fp_ieee_underflow 0
		.amdhsa_exception_fp_ieee_inexact 0
		.amdhsa_exception_int_div_zero 0
	.end_amdhsa_kernel
	.section	.text._ZN2at6native12_GLOBAL__N_130CatArrayBatchedCopy_vectorizedINS1_10OpaqueTypeILj8EEEjLi1ELi128ELi1ELi16ELi2EEEvPcNS1_25CatArrInputTensorMetadataIT_T0_XT2_EXT3_EEENS1_16TensorSizeStrideIS8_Lj4EEEiS8_,"axG",@progbits,_ZN2at6native12_GLOBAL__N_130CatArrayBatchedCopy_vectorizedINS1_10OpaqueTypeILj8EEEjLi1ELi128ELi1ELi16ELi2EEEvPcNS1_25CatArrInputTensorMetadataIT_T0_XT2_EXT3_EEENS1_16TensorSizeStrideIS8_Lj4EEEiS8_,comdat
.Lfunc_end60:
	.size	_ZN2at6native12_GLOBAL__N_130CatArrayBatchedCopy_vectorizedINS1_10OpaqueTypeILj8EEEjLi1ELi128ELi1ELi16ELi2EEEvPcNS1_25CatArrInputTensorMetadataIT_T0_XT2_EXT3_EEENS1_16TensorSizeStrideIS8_Lj4EEEiS8_, .Lfunc_end60-_ZN2at6native12_GLOBAL__N_130CatArrayBatchedCopy_vectorizedINS1_10OpaqueTypeILj8EEEjLi1ELi128ELi1ELi16ELi2EEEvPcNS1_25CatArrInputTensorMetadataIT_T0_XT2_EXT3_EEENS1_16TensorSizeStrideIS8_Lj4EEEiS8_
                                        ; -- End function
	.set _ZN2at6native12_GLOBAL__N_130CatArrayBatchedCopy_vectorizedINS1_10OpaqueTypeILj8EEEjLi1ELi128ELi1ELi16ELi2EEEvPcNS1_25CatArrInputTensorMetadataIT_T0_XT2_EXT3_EEENS1_16TensorSizeStrideIS8_Lj4EEEiS8_.num_vgpr, 10
	.set _ZN2at6native12_GLOBAL__N_130CatArrayBatchedCopy_vectorizedINS1_10OpaqueTypeILj8EEEjLi1ELi128ELi1ELi16ELi2EEEvPcNS1_25CatArrInputTensorMetadataIT_T0_XT2_EXT3_EEENS1_16TensorSizeStrideIS8_Lj4EEEiS8_.num_agpr, 0
	.set _ZN2at6native12_GLOBAL__N_130CatArrayBatchedCopy_vectorizedINS1_10OpaqueTypeILj8EEEjLi1ELi128ELi1ELi16ELi2EEEvPcNS1_25CatArrInputTensorMetadataIT_T0_XT2_EXT3_EEENS1_16TensorSizeStrideIS8_Lj4EEEiS8_.numbered_sgpr, 19
	.set _ZN2at6native12_GLOBAL__N_130CatArrayBatchedCopy_vectorizedINS1_10OpaqueTypeILj8EEEjLi1ELi128ELi1ELi16ELi2EEEvPcNS1_25CatArrInputTensorMetadataIT_T0_XT2_EXT3_EEENS1_16TensorSizeStrideIS8_Lj4EEEiS8_.num_named_barrier, 0
	.set _ZN2at6native12_GLOBAL__N_130CatArrayBatchedCopy_vectorizedINS1_10OpaqueTypeILj8EEEjLi1ELi128ELi1ELi16ELi2EEEvPcNS1_25CatArrInputTensorMetadataIT_T0_XT2_EXT3_EEENS1_16TensorSizeStrideIS8_Lj4EEEiS8_.private_seg_size, 0
	.set _ZN2at6native12_GLOBAL__N_130CatArrayBatchedCopy_vectorizedINS1_10OpaqueTypeILj8EEEjLi1ELi128ELi1ELi16ELi2EEEvPcNS1_25CatArrInputTensorMetadataIT_T0_XT2_EXT3_EEENS1_16TensorSizeStrideIS8_Lj4EEEiS8_.uses_vcc, 1
	.set _ZN2at6native12_GLOBAL__N_130CatArrayBatchedCopy_vectorizedINS1_10OpaqueTypeILj8EEEjLi1ELi128ELi1ELi16ELi2EEEvPcNS1_25CatArrInputTensorMetadataIT_T0_XT2_EXT3_EEENS1_16TensorSizeStrideIS8_Lj4EEEiS8_.uses_flat_scratch, 0
	.set _ZN2at6native12_GLOBAL__N_130CatArrayBatchedCopy_vectorizedINS1_10OpaqueTypeILj8EEEjLi1ELi128ELi1ELi16ELi2EEEvPcNS1_25CatArrInputTensorMetadataIT_T0_XT2_EXT3_EEENS1_16TensorSizeStrideIS8_Lj4EEEiS8_.has_dyn_sized_stack, 0
	.set _ZN2at6native12_GLOBAL__N_130CatArrayBatchedCopy_vectorizedINS1_10OpaqueTypeILj8EEEjLi1ELi128ELi1ELi16ELi2EEEvPcNS1_25CatArrInputTensorMetadataIT_T0_XT2_EXT3_EEENS1_16TensorSizeStrideIS8_Lj4EEEiS8_.has_recursion, 0
	.set _ZN2at6native12_GLOBAL__N_130CatArrayBatchedCopy_vectorizedINS1_10OpaqueTypeILj8EEEjLi1ELi128ELi1ELi16ELi2EEEvPcNS1_25CatArrInputTensorMetadataIT_T0_XT2_EXT3_EEENS1_16TensorSizeStrideIS8_Lj4EEEiS8_.has_indirect_call, 0
	.section	.AMDGPU.csdata,"",@progbits
; Kernel info:
; codeLenInByte = 284
; TotalNumSgprs: 25
; NumVgprs: 10
; NumAgprs: 0
; TotalNumVgprs: 10
; ScratchSize: 0
; MemoryBound: 0
; FloatMode: 240
; IeeeMode: 1
; LDSByteSize: 0 bytes/workgroup (compile time only)
; SGPRBlocks: 3
; VGPRBlocks: 1
; NumSGPRsForWavesPerEU: 25
; NumVGPRsForWavesPerEU: 10
; AccumOffset: 12
; Occupancy: 8
; WaveLimiterHint : 1
; COMPUTE_PGM_RSRC2:SCRATCH_EN: 0
; COMPUTE_PGM_RSRC2:USER_SGPR: 2
; COMPUTE_PGM_RSRC2:TRAP_HANDLER: 0
; COMPUTE_PGM_RSRC2:TGID_X_EN: 1
; COMPUTE_PGM_RSRC2:TGID_Y_EN: 1
; COMPUTE_PGM_RSRC2:TGID_Z_EN: 0
; COMPUTE_PGM_RSRC2:TIDIG_COMP_CNT: 0
; COMPUTE_PGM_RSRC3_GFX90A:ACCUM_OFFSET: 2
; COMPUTE_PGM_RSRC3_GFX90A:TG_SPLIT: 0
	.section	.text._ZN2at6native12_GLOBAL__N_135CatArrayBatchedCopy_alignedK_contigINS1_10OpaqueTypeILj8EEEjLi1ELi128ELi1ELi16EEEvPT_NS1_25CatArrInputTensorMetadataIS5_T0_XT2_EXT3_EEENS1_16TensorSizeStrideIS8_Lj4EEEiS8_,"axG",@progbits,_ZN2at6native12_GLOBAL__N_135CatArrayBatchedCopy_alignedK_contigINS1_10OpaqueTypeILj8EEEjLi1ELi128ELi1ELi16EEEvPT_NS1_25CatArrInputTensorMetadataIS5_T0_XT2_EXT3_EEENS1_16TensorSizeStrideIS8_Lj4EEEiS8_,comdat
	.globl	_ZN2at6native12_GLOBAL__N_135CatArrayBatchedCopy_alignedK_contigINS1_10OpaqueTypeILj8EEEjLi1ELi128ELi1ELi16EEEvPT_NS1_25CatArrInputTensorMetadataIS5_T0_XT2_EXT3_EEENS1_16TensorSizeStrideIS8_Lj4EEEiS8_ ; -- Begin function _ZN2at6native12_GLOBAL__N_135CatArrayBatchedCopy_alignedK_contigINS1_10OpaqueTypeILj8EEEjLi1ELi128ELi1ELi16EEEvPT_NS1_25CatArrInputTensorMetadataIS5_T0_XT2_EXT3_EEENS1_16TensorSizeStrideIS8_Lj4EEEiS8_
	.p2align	8
	.type	_ZN2at6native12_GLOBAL__N_135CatArrayBatchedCopy_alignedK_contigINS1_10OpaqueTypeILj8EEEjLi1ELi128ELi1ELi16EEEvPT_NS1_25CatArrInputTensorMetadataIS5_T0_XT2_EXT3_EEENS1_16TensorSizeStrideIS8_Lj4EEEiS8_,@function
_ZN2at6native12_GLOBAL__N_135CatArrayBatchedCopy_alignedK_contigINS1_10OpaqueTypeILj8EEEjLi1ELi128ELi1ELi16EEEvPT_NS1_25CatArrInputTensorMetadataIS5_T0_XT2_EXT3_EEENS1_16TensorSizeStrideIS8_Lj4EEEiS8_: ; @_ZN2at6native12_GLOBAL__N_135CatArrayBatchedCopy_alignedK_contigINS1_10OpaqueTypeILj8EEEjLi1ELi128ELi1ELi16EEEvPT_NS1_25CatArrInputTensorMetadataIS5_T0_XT2_EXT3_EEENS1_16TensorSizeStrideIS8_Lj4EEEiS8_
; %bb.0:
	s_mov_b32 s4, s3
	s_load_dword s3, s[0:1], 0xadc
	s_add_u32 s8, s0, 0xad0
	s_addc_u32 s9, s1, 0
	s_mov_b32 s5, 0
	s_waitcnt lgkmcnt(0)
	s_and_b32 s13, s3, 0xffff
	s_mul_i32 s6, s2, s13
	s_lshl_b64 s[2:3], s[4:5], 2
	s_add_u32 s4, s0, s2
	s_addc_u32 s5, s1, s3
	s_load_dword s10, s[4:5], 0x808
	v_add_u32_e32 v1, s6, v0
	v_lshlrev_b32_e32 v0, 1, v1
	s_add_u32 s4, s4, 8
	s_addc_u32 s5, s5, 0
	s_waitcnt lgkmcnt(0)
	v_cmp_gt_u32_e32 vcc, s10, v0
	s_and_saveexec_b64 s[6:7], vcc
	s_cbranch_execz .LBB61_8
; %bb.1:
	s_add_u32 s6, s4, s2
	s_addc_u32 s7, s5, s3
	s_sub_u32 s2, 0, s2
	s_subb_u32 s3, 0, s3
	s_add_u32 s14, s6, s2
	s_addc_u32 s15, s7, s3
	s_load_dword s12, s[14:15], 0x400
	s_load_dword s16, s[0:1], 0xacc
	s_load_dwordx2 s[2:3], s[0:1], 0x0
	s_load_dwordx2 s[4:5], s[6:7], 0x0
	s_load_dword s11, s[0:1], 0xab8
	v_add_u32_e32 v2, 2, v0
	s_mov_b64 s[0:1], 0
	s_waitcnt lgkmcnt(0)
	s_mul_i32 s12, s12, s16
	v_cmp_ge_u32_e32 vcc, s10, v2
	s_and_saveexec_b64 s[6:7], vcc
	s_cbranch_execz .LBB61_5
; %bb.2:
	s_load_dword s8, s[8:9], 0x0
	v_mul_lo_u32 v2, s11, v0
	v_mul_lo_u32 v1, s11, v1
	v_add_u32_e32 v2, s11, v2
	v_lshlrev_b32_e32 v3, 1, v1
	s_waitcnt lgkmcnt(0)
	s_mul_i32 s9, s8, s13
	s_lshl_b32 s8, s9, 1
	s_mul_i32 s9, s9, s11
	s_lshl_b32 s9, s9, 1
	v_mov_b32_e32 v1, 0
	s_mov_b32 s13, s12
.LBB61_3:                               ; =>This Inner Loop Header: Depth=1
	v_lshl_add_u64 v[4:5], v[0:1], 3, s[4:5]
	global_load_dwordx4 v[4:7], v[4:5], off
	v_add_u32_e32 v0, s8, v0
	v_add_u32_e32 v12, 2, v0
	v_add_u32_e32 v8, s13, v3
	v_mov_b32_e32 v9, v1
	v_add_u32_e32 v10, s13, v2
	s_add_i32 s13, s13, s9
	v_cmp_lt_u32_e32 vcc, s10, v12
	v_mov_b32_e32 v11, v1
	v_lshl_add_u64 v[8:9], v[8:9], 3, s[2:3]
	s_or_b64 s[0:1], vcc, s[0:1]
	v_lshl_add_u64 v[10:11], v[10:11], 3, s[2:3]
	s_waitcnt vmcnt(0)
	global_store_dwordx2 v[8:9], v[4:5], off
	global_store_dwordx2 v[10:11], v[6:7], off
	s_andn2_b64 exec, exec, s[0:1]
	s_cbranch_execnz .LBB61_3
; %bb.4:
	s_or_b64 exec, exec, s[0:1]
.LBB61_5:
	s_or_b64 exec, exec, s[6:7]
	v_cmp_gt_u32_e32 vcc, s10, v0
	s_and_b64 exec, exec, vcc
	s_cbranch_execz .LBB61_8
; %bb.6:
	v_mov_b32_e32 v3, 0
	v_mov_b32_e32 v1, v3
	v_lshl_add_u64 v[4:5], v[0:1], 3, s[4:5]
	v_mul_lo_u32 v1, v0, s11
	v_add_u32_e32 v2, s12, v1
	s_mov_b64 s[0:1], 0
.LBB61_7:                               ; =>This Inner Loop Header: Depth=1
	global_load_dwordx2 v[6:7], v[4:5], off
	v_add_u32_e32 v0, 1, v0
	v_cmp_le_u32_e32 vcc, s10, v0
	v_lshl_add_u64 v[8:9], v[2:3], 3, s[2:3]
	v_lshl_add_u64 v[4:5], v[4:5], 0, 8
	v_add_u32_e32 v2, s11, v2
	s_or_b64 s[0:1], vcc, s[0:1]
	s_waitcnt vmcnt(0)
	global_store_dwordx2 v[8:9], v[6:7], off
	s_andn2_b64 exec, exec, s[0:1]
	s_cbranch_execnz .LBB61_7
.LBB61_8:
	s_endpgm
	.section	.rodata,"a",@progbits
	.p2align	6, 0x0
	.amdhsa_kernel _ZN2at6native12_GLOBAL__N_135CatArrayBatchedCopy_alignedK_contigINS1_10OpaqueTypeILj8EEEjLi1ELi128ELi1ELi16EEEvPT_NS1_25CatArrInputTensorMetadataIS5_T0_XT2_EXT3_EEENS1_16TensorSizeStrideIS8_Lj4EEEiS8_
		.amdhsa_group_segment_fixed_size 0
		.amdhsa_private_segment_fixed_size 0
		.amdhsa_kernarg_size 3024
		.amdhsa_user_sgpr_count 2
		.amdhsa_user_sgpr_dispatch_ptr 0
		.amdhsa_user_sgpr_queue_ptr 0
		.amdhsa_user_sgpr_kernarg_segment_ptr 1
		.amdhsa_user_sgpr_dispatch_id 0
		.amdhsa_user_sgpr_kernarg_preload_length 0
		.amdhsa_user_sgpr_kernarg_preload_offset 0
		.amdhsa_user_sgpr_private_segment_size 0
		.amdhsa_uses_dynamic_stack 0
		.amdhsa_enable_private_segment 0
		.amdhsa_system_sgpr_workgroup_id_x 1
		.amdhsa_system_sgpr_workgroup_id_y 1
		.amdhsa_system_sgpr_workgroup_id_z 0
		.amdhsa_system_sgpr_workgroup_info 0
		.amdhsa_system_vgpr_workitem_id 0
		.amdhsa_next_free_vgpr 13
		.amdhsa_next_free_sgpr 17
		.amdhsa_accum_offset 16
		.amdhsa_reserve_vcc 1
		.amdhsa_float_round_mode_32 0
		.amdhsa_float_round_mode_16_64 0
		.amdhsa_float_denorm_mode_32 3
		.amdhsa_float_denorm_mode_16_64 3
		.amdhsa_dx10_clamp 1
		.amdhsa_ieee_mode 1
		.amdhsa_fp16_overflow 0
		.amdhsa_tg_split 0
		.amdhsa_exception_fp_ieee_invalid_op 0
		.amdhsa_exception_fp_denorm_src 0
		.amdhsa_exception_fp_ieee_div_zero 0
		.amdhsa_exception_fp_ieee_overflow 0
		.amdhsa_exception_fp_ieee_underflow 0
		.amdhsa_exception_fp_ieee_inexact 0
		.amdhsa_exception_int_div_zero 0
	.end_amdhsa_kernel
	.section	.text._ZN2at6native12_GLOBAL__N_135CatArrayBatchedCopy_alignedK_contigINS1_10OpaqueTypeILj8EEEjLi1ELi128ELi1ELi16EEEvPT_NS1_25CatArrInputTensorMetadataIS5_T0_XT2_EXT3_EEENS1_16TensorSizeStrideIS8_Lj4EEEiS8_,"axG",@progbits,_ZN2at6native12_GLOBAL__N_135CatArrayBatchedCopy_alignedK_contigINS1_10OpaqueTypeILj8EEEjLi1ELi128ELi1ELi16EEEvPT_NS1_25CatArrInputTensorMetadataIS5_T0_XT2_EXT3_EEENS1_16TensorSizeStrideIS8_Lj4EEEiS8_,comdat
.Lfunc_end61:
	.size	_ZN2at6native12_GLOBAL__N_135CatArrayBatchedCopy_alignedK_contigINS1_10OpaqueTypeILj8EEEjLi1ELi128ELi1ELi16EEEvPT_NS1_25CatArrInputTensorMetadataIS5_T0_XT2_EXT3_EEENS1_16TensorSizeStrideIS8_Lj4EEEiS8_, .Lfunc_end61-_ZN2at6native12_GLOBAL__N_135CatArrayBatchedCopy_alignedK_contigINS1_10OpaqueTypeILj8EEEjLi1ELi128ELi1ELi16EEEvPT_NS1_25CatArrInputTensorMetadataIS5_T0_XT2_EXT3_EEENS1_16TensorSizeStrideIS8_Lj4EEEiS8_
                                        ; -- End function
	.set _ZN2at6native12_GLOBAL__N_135CatArrayBatchedCopy_alignedK_contigINS1_10OpaqueTypeILj8EEEjLi1ELi128ELi1ELi16EEEvPT_NS1_25CatArrInputTensorMetadataIS5_T0_XT2_EXT3_EEENS1_16TensorSizeStrideIS8_Lj4EEEiS8_.num_vgpr, 13
	.set _ZN2at6native12_GLOBAL__N_135CatArrayBatchedCopy_alignedK_contigINS1_10OpaqueTypeILj8EEEjLi1ELi128ELi1ELi16EEEvPT_NS1_25CatArrInputTensorMetadataIS5_T0_XT2_EXT3_EEENS1_16TensorSizeStrideIS8_Lj4EEEiS8_.num_agpr, 0
	.set _ZN2at6native12_GLOBAL__N_135CatArrayBatchedCopy_alignedK_contigINS1_10OpaqueTypeILj8EEEjLi1ELi128ELi1ELi16EEEvPT_NS1_25CatArrInputTensorMetadataIS5_T0_XT2_EXT3_EEENS1_16TensorSizeStrideIS8_Lj4EEEiS8_.numbered_sgpr, 17
	.set _ZN2at6native12_GLOBAL__N_135CatArrayBatchedCopy_alignedK_contigINS1_10OpaqueTypeILj8EEEjLi1ELi128ELi1ELi16EEEvPT_NS1_25CatArrInputTensorMetadataIS5_T0_XT2_EXT3_EEENS1_16TensorSizeStrideIS8_Lj4EEEiS8_.num_named_barrier, 0
	.set _ZN2at6native12_GLOBAL__N_135CatArrayBatchedCopy_alignedK_contigINS1_10OpaqueTypeILj8EEEjLi1ELi128ELi1ELi16EEEvPT_NS1_25CatArrInputTensorMetadataIS5_T0_XT2_EXT3_EEENS1_16TensorSizeStrideIS8_Lj4EEEiS8_.private_seg_size, 0
	.set _ZN2at6native12_GLOBAL__N_135CatArrayBatchedCopy_alignedK_contigINS1_10OpaqueTypeILj8EEEjLi1ELi128ELi1ELi16EEEvPT_NS1_25CatArrInputTensorMetadataIS5_T0_XT2_EXT3_EEENS1_16TensorSizeStrideIS8_Lj4EEEiS8_.uses_vcc, 1
	.set _ZN2at6native12_GLOBAL__N_135CatArrayBatchedCopy_alignedK_contigINS1_10OpaqueTypeILj8EEEjLi1ELi128ELi1ELi16EEEvPT_NS1_25CatArrInputTensorMetadataIS5_T0_XT2_EXT3_EEENS1_16TensorSizeStrideIS8_Lj4EEEiS8_.uses_flat_scratch, 0
	.set _ZN2at6native12_GLOBAL__N_135CatArrayBatchedCopy_alignedK_contigINS1_10OpaqueTypeILj8EEEjLi1ELi128ELi1ELi16EEEvPT_NS1_25CatArrInputTensorMetadataIS5_T0_XT2_EXT3_EEENS1_16TensorSizeStrideIS8_Lj4EEEiS8_.has_dyn_sized_stack, 0
	.set _ZN2at6native12_GLOBAL__N_135CatArrayBatchedCopy_alignedK_contigINS1_10OpaqueTypeILj8EEEjLi1ELi128ELi1ELi16EEEvPT_NS1_25CatArrInputTensorMetadataIS5_T0_XT2_EXT3_EEENS1_16TensorSizeStrideIS8_Lj4EEEiS8_.has_recursion, 0
	.set _ZN2at6native12_GLOBAL__N_135CatArrayBatchedCopy_alignedK_contigINS1_10OpaqueTypeILj8EEEjLi1ELi128ELi1ELi16EEEvPT_NS1_25CatArrInputTensorMetadataIS5_T0_XT2_EXT3_EEENS1_16TensorSizeStrideIS8_Lj4EEEiS8_.has_indirect_call, 0
	.section	.AMDGPU.csdata,"",@progbits
; Kernel info:
; codeLenInByte = 460
; TotalNumSgprs: 23
; NumVgprs: 13
; NumAgprs: 0
; TotalNumVgprs: 13
; ScratchSize: 0
; MemoryBound: 0
; FloatMode: 240
; IeeeMode: 1
; LDSByteSize: 0 bytes/workgroup (compile time only)
; SGPRBlocks: 2
; VGPRBlocks: 1
; NumSGPRsForWavesPerEU: 23
; NumVGPRsForWavesPerEU: 13
; AccumOffset: 16
; Occupancy: 8
; WaveLimiterHint : 1
; COMPUTE_PGM_RSRC2:SCRATCH_EN: 0
; COMPUTE_PGM_RSRC2:USER_SGPR: 2
; COMPUTE_PGM_RSRC2:TRAP_HANDLER: 0
; COMPUTE_PGM_RSRC2:TGID_X_EN: 1
; COMPUTE_PGM_RSRC2:TGID_Y_EN: 1
; COMPUTE_PGM_RSRC2:TGID_Z_EN: 0
; COMPUTE_PGM_RSRC2:TIDIG_COMP_CNT: 0
; COMPUTE_PGM_RSRC3_GFX90A:ACCUM_OFFSET: 3
; COMPUTE_PGM_RSRC3_GFX90A:TG_SPLIT: 0
	.section	.text._ZN2at6native12_GLOBAL__N_135CatArrayBatchedCopy_alignedK_contigINS1_10OpaqueTypeILj8EEEjLi1ELi128ELi1ELi8EEEvPT_NS1_25CatArrInputTensorMetadataIS5_T0_XT2_EXT3_EEENS1_16TensorSizeStrideIS8_Lj4EEEiS8_,"axG",@progbits,_ZN2at6native12_GLOBAL__N_135CatArrayBatchedCopy_alignedK_contigINS1_10OpaqueTypeILj8EEEjLi1ELi128ELi1ELi8EEEvPT_NS1_25CatArrInputTensorMetadataIS5_T0_XT2_EXT3_EEENS1_16TensorSizeStrideIS8_Lj4EEEiS8_,comdat
	.globl	_ZN2at6native12_GLOBAL__N_135CatArrayBatchedCopy_alignedK_contigINS1_10OpaqueTypeILj8EEEjLi1ELi128ELi1ELi8EEEvPT_NS1_25CatArrInputTensorMetadataIS5_T0_XT2_EXT3_EEENS1_16TensorSizeStrideIS8_Lj4EEEiS8_ ; -- Begin function _ZN2at6native12_GLOBAL__N_135CatArrayBatchedCopy_alignedK_contigINS1_10OpaqueTypeILj8EEEjLi1ELi128ELi1ELi8EEEvPT_NS1_25CatArrInputTensorMetadataIS5_T0_XT2_EXT3_EEENS1_16TensorSizeStrideIS8_Lj4EEEiS8_
	.p2align	8
	.type	_ZN2at6native12_GLOBAL__N_135CatArrayBatchedCopy_alignedK_contigINS1_10OpaqueTypeILj8EEEjLi1ELi128ELi1ELi8EEEvPT_NS1_25CatArrInputTensorMetadataIS5_T0_XT2_EXT3_EEENS1_16TensorSizeStrideIS8_Lj4EEEiS8_,@function
_ZN2at6native12_GLOBAL__N_135CatArrayBatchedCopy_alignedK_contigINS1_10OpaqueTypeILj8EEEjLi1ELi128ELi1ELi8EEEvPT_NS1_25CatArrInputTensorMetadataIS5_T0_XT2_EXT3_EEENS1_16TensorSizeStrideIS8_Lj4EEEiS8_: ; @_ZN2at6native12_GLOBAL__N_135CatArrayBatchedCopy_alignedK_contigINS1_10OpaqueTypeILj8EEEjLi1ELi128ELi1ELi8EEEvPT_NS1_25CatArrInputTensorMetadataIS5_T0_XT2_EXT3_EEENS1_16TensorSizeStrideIS8_Lj4EEEiS8_
; %bb.0:
	s_mov_b32 s4, s3
	s_load_dword s3, s[0:1], 0xadc
	s_add_u32 s6, s0, 0xad0
	s_mov_b32 s5, 0
	s_addc_u32 s7, s1, 0
	s_lshl_b64 s[4:5], s[4:5], 2
	s_waitcnt lgkmcnt(0)
	s_and_b32 s9, s3, 0xffff
	s_add_u32 s10, s0, s4
	s_addc_u32 s11, s1, s5
	s_load_dword s8, s[10:11], 0x808
	s_mul_i32 s2, s2, s9
	v_add_u32_e32 v0, s2, v0
	s_add_u32 s2, s10, 8
	s_addc_u32 s3, s11, 0
	s_waitcnt lgkmcnt(0)
	v_cmp_gt_u32_e32 vcc, s8, v0
	s_and_saveexec_b64 s[10:11], vcc
	s_cbranch_execz .LBB62_6
; %bb.1:
	s_add_u32 s10, s2, s4
	s_addc_u32 s11, s3, s5
	s_sub_u32 s2, 0, s4
	s_subb_u32 s3, 0, s5
	s_add_u32 s12, s10, s2
	s_load_dword s7, s[6:7], 0x0
	s_addc_u32 s13, s11, s3
	s_load_dword s14, s[12:13], 0x400
	s_load_dword s15, s[0:1], 0xacc
	s_load_dwordx2 s[4:5], s[10:11], 0x0
	s_load_dword s6, s[0:1], 0xab8
	s_load_dwordx2 s[2:3], s[0:1], 0x0
	s_mov_b64 s[0:1], 0
	s_waitcnt lgkmcnt(0)
	s_mul_i32 s14, s14, s15
	s_mul_i32 s7, s7, s9
	v_mul_lo_u32 v1, s6, v0
	s_mul_i32 s9, s7, s6
	v_add_u32_e32 v2, s14, v1
	v_mov_b32_e32 v1, 0
.LBB62_2:                               ; =>This Inner Loop Header: Depth=1
	v_lshl_add_u64 v[4:5], v[0:1], 3, s[4:5]
	global_load_dwordx2 v[4:5], v[4:5], off
	v_mov_b32_e32 v3, v1
	v_add_u32_e32 v0, s7, v0
	v_lshl_add_u64 v[6:7], v[2:3], 3, s[2:3]
	v_add_u32_e32 v3, 1, v0
	v_cmp_lt_u32_e32 vcc, s8, v3
	v_add_u32_e32 v2, s9, v2
	s_or_b64 s[0:1], vcc, s[0:1]
	s_waitcnt vmcnt(0)
	global_store_dwordx2 v[6:7], v[4:5], off
	s_andn2_b64 exec, exec, s[0:1]
	s_cbranch_execnz .LBB62_2
; %bb.3:
	s_or_b64 exec, exec, s[0:1]
	v_cmp_gt_u32_e32 vcc, s8, v0
	s_and_b64 exec, exec, vcc
	s_cbranch_execz .LBB62_6
; %bb.4:
	v_mov_b32_e32 v3, 0
	v_mov_b32_e32 v1, v3
	v_lshl_add_u64 v[4:5], v[0:1], 3, s[4:5]
	s_mov_b64 s[0:1], 0
.LBB62_5:                               ; =>This Inner Loop Header: Depth=1
	global_load_dwordx2 v[6:7], v[4:5], off
	v_add_u32_e32 v0, 1, v0
	v_cmp_le_u32_e32 vcc, s8, v0
	v_lshl_add_u64 v[8:9], v[2:3], 3, s[2:3]
	v_lshl_add_u64 v[4:5], v[4:5], 0, 8
	v_add_u32_e32 v2, s6, v2
	s_or_b64 s[0:1], vcc, s[0:1]
	s_waitcnt vmcnt(0)
	global_store_dwordx2 v[8:9], v[6:7], off
	s_andn2_b64 exec, exec, s[0:1]
	s_cbranch_execnz .LBB62_5
.LBB62_6:
	s_endpgm
	.section	.rodata,"a",@progbits
	.p2align	6, 0x0
	.amdhsa_kernel _ZN2at6native12_GLOBAL__N_135CatArrayBatchedCopy_alignedK_contigINS1_10OpaqueTypeILj8EEEjLi1ELi128ELi1ELi8EEEvPT_NS1_25CatArrInputTensorMetadataIS5_T0_XT2_EXT3_EEENS1_16TensorSizeStrideIS8_Lj4EEEiS8_
		.amdhsa_group_segment_fixed_size 0
		.amdhsa_private_segment_fixed_size 0
		.amdhsa_kernarg_size 3024
		.amdhsa_user_sgpr_count 2
		.amdhsa_user_sgpr_dispatch_ptr 0
		.amdhsa_user_sgpr_queue_ptr 0
		.amdhsa_user_sgpr_kernarg_segment_ptr 1
		.amdhsa_user_sgpr_dispatch_id 0
		.amdhsa_user_sgpr_kernarg_preload_length 0
		.amdhsa_user_sgpr_kernarg_preload_offset 0
		.amdhsa_user_sgpr_private_segment_size 0
		.amdhsa_uses_dynamic_stack 0
		.amdhsa_enable_private_segment 0
		.amdhsa_system_sgpr_workgroup_id_x 1
		.amdhsa_system_sgpr_workgroup_id_y 1
		.amdhsa_system_sgpr_workgroup_id_z 0
		.amdhsa_system_sgpr_workgroup_info 0
		.amdhsa_system_vgpr_workitem_id 0
		.amdhsa_next_free_vgpr 10
		.amdhsa_next_free_sgpr 16
		.amdhsa_accum_offset 12
		.amdhsa_reserve_vcc 1
		.amdhsa_float_round_mode_32 0
		.amdhsa_float_round_mode_16_64 0
		.amdhsa_float_denorm_mode_32 3
		.amdhsa_float_denorm_mode_16_64 3
		.amdhsa_dx10_clamp 1
		.amdhsa_ieee_mode 1
		.amdhsa_fp16_overflow 0
		.amdhsa_tg_split 0
		.amdhsa_exception_fp_ieee_invalid_op 0
		.amdhsa_exception_fp_denorm_src 0
		.amdhsa_exception_fp_ieee_div_zero 0
		.amdhsa_exception_fp_ieee_overflow 0
		.amdhsa_exception_fp_ieee_underflow 0
		.amdhsa_exception_fp_ieee_inexact 0
		.amdhsa_exception_int_div_zero 0
	.end_amdhsa_kernel
	.section	.text._ZN2at6native12_GLOBAL__N_135CatArrayBatchedCopy_alignedK_contigINS1_10OpaqueTypeILj8EEEjLi1ELi128ELi1ELi8EEEvPT_NS1_25CatArrInputTensorMetadataIS5_T0_XT2_EXT3_EEENS1_16TensorSizeStrideIS8_Lj4EEEiS8_,"axG",@progbits,_ZN2at6native12_GLOBAL__N_135CatArrayBatchedCopy_alignedK_contigINS1_10OpaqueTypeILj8EEEjLi1ELi128ELi1ELi8EEEvPT_NS1_25CatArrInputTensorMetadataIS5_T0_XT2_EXT3_EEENS1_16TensorSizeStrideIS8_Lj4EEEiS8_,comdat
.Lfunc_end62:
	.size	_ZN2at6native12_GLOBAL__N_135CatArrayBatchedCopy_alignedK_contigINS1_10OpaqueTypeILj8EEEjLi1ELi128ELi1ELi8EEEvPT_NS1_25CatArrInputTensorMetadataIS5_T0_XT2_EXT3_EEENS1_16TensorSizeStrideIS8_Lj4EEEiS8_, .Lfunc_end62-_ZN2at6native12_GLOBAL__N_135CatArrayBatchedCopy_alignedK_contigINS1_10OpaqueTypeILj8EEEjLi1ELi128ELi1ELi8EEEvPT_NS1_25CatArrInputTensorMetadataIS5_T0_XT2_EXT3_EEENS1_16TensorSizeStrideIS8_Lj4EEEiS8_
                                        ; -- End function
	.set _ZN2at6native12_GLOBAL__N_135CatArrayBatchedCopy_alignedK_contigINS1_10OpaqueTypeILj8EEEjLi1ELi128ELi1ELi8EEEvPT_NS1_25CatArrInputTensorMetadataIS5_T0_XT2_EXT3_EEENS1_16TensorSizeStrideIS8_Lj4EEEiS8_.num_vgpr, 10
	.set _ZN2at6native12_GLOBAL__N_135CatArrayBatchedCopy_alignedK_contigINS1_10OpaqueTypeILj8EEEjLi1ELi128ELi1ELi8EEEvPT_NS1_25CatArrInputTensorMetadataIS5_T0_XT2_EXT3_EEENS1_16TensorSizeStrideIS8_Lj4EEEiS8_.num_agpr, 0
	.set _ZN2at6native12_GLOBAL__N_135CatArrayBatchedCopy_alignedK_contigINS1_10OpaqueTypeILj8EEEjLi1ELi128ELi1ELi8EEEvPT_NS1_25CatArrInputTensorMetadataIS5_T0_XT2_EXT3_EEENS1_16TensorSizeStrideIS8_Lj4EEEiS8_.numbered_sgpr, 16
	.set _ZN2at6native12_GLOBAL__N_135CatArrayBatchedCopy_alignedK_contigINS1_10OpaqueTypeILj8EEEjLi1ELi128ELi1ELi8EEEvPT_NS1_25CatArrInputTensorMetadataIS5_T0_XT2_EXT3_EEENS1_16TensorSizeStrideIS8_Lj4EEEiS8_.num_named_barrier, 0
	.set _ZN2at6native12_GLOBAL__N_135CatArrayBatchedCopy_alignedK_contigINS1_10OpaqueTypeILj8EEEjLi1ELi128ELi1ELi8EEEvPT_NS1_25CatArrInputTensorMetadataIS5_T0_XT2_EXT3_EEENS1_16TensorSizeStrideIS8_Lj4EEEiS8_.private_seg_size, 0
	.set _ZN2at6native12_GLOBAL__N_135CatArrayBatchedCopy_alignedK_contigINS1_10OpaqueTypeILj8EEEjLi1ELi128ELi1ELi8EEEvPT_NS1_25CatArrInputTensorMetadataIS5_T0_XT2_EXT3_EEENS1_16TensorSizeStrideIS8_Lj4EEEiS8_.uses_vcc, 1
	.set _ZN2at6native12_GLOBAL__N_135CatArrayBatchedCopy_alignedK_contigINS1_10OpaqueTypeILj8EEEjLi1ELi128ELi1ELi8EEEvPT_NS1_25CatArrInputTensorMetadataIS5_T0_XT2_EXT3_EEENS1_16TensorSizeStrideIS8_Lj4EEEiS8_.uses_flat_scratch, 0
	.set _ZN2at6native12_GLOBAL__N_135CatArrayBatchedCopy_alignedK_contigINS1_10OpaqueTypeILj8EEEjLi1ELi128ELi1ELi8EEEvPT_NS1_25CatArrInputTensorMetadataIS5_T0_XT2_EXT3_EEENS1_16TensorSizeStrideIS8_Lj4EEEiS8_.has_dyn_sized_stack, 0
	.set _ZN2at6native12_GLOBAL__N_135CatArrayBatchedCopy_alignedK_contigINS1_10OpaqueTypeILj8EEEjLi1ELi128ELi1ELi8EEEvPT_NS1_25CatArrInputTensorMetadataIS5_T0_XT2_EXT3_EEENS1_16TensorSizeStrideIS8_Lj4EEEiS8_.has_recursion, 0
	.set _ZN2at6native12_GLOBAL__N_135CatArrayBatchedCopy_alignedK_contigINS1_10OpaqueTypeILj8EEEjLi1ELi128ELi1ELi8EEEvPT_NS1_25CatArrInputTensorMetadataIS5_T0_XT2_EXT3_EEENS1_16TensorSizeStrideIS8_Lj4EEEiS8_.has_indirect_call, 0
	.section	.AMDGPU.csdata,"",@progbits
; Kernel info:
; codeLenInByte = 368
; TotalNumSgprs: 22
; NumVgprs: 10
; NumAgprs: 0
; TotalNumVgprs: 10
; ScratchSize: 0
; MemoryBound: 0
; FloatMode: 240
; IeeeMode: 1
; LDSByteSize: 0 bytes/workgroup (compile time only)
; SGPRBlocks: 2
; VGPRBlocks: 1
; NumSGPRsForWavesPerEU: 22
; NumVGPRsForWavesPerEU: 10
; AccumOffset: 12
; Occupancy: 8
; WaveLimiterHint : 1
; COMPUTE_PGM_RSRC2:SCRATCH_EN: 0
; COMPUTE_PGM_RSRC2:USER_SGPR: 2
; COMPUTE_PGM_RSRC2:TRAP_HANDLER: 0
; COMPUTE_PGM_RSRC2:TGID_X_EN: 1
; COMPUTE_PGM_RSRC2:TGID_Y_EN: 1
; COMPUTE_PGM_RSRC2:TGID_Z_EN: 0
; COMPUTE_PGM_RSRC2:TIDIG_COMP_CNT: 0
; COMPUTE_PGM_RSRC3_GFX90A:ACCUM_OFFSET: 2
; COMPUTE_PGM_RSRC3_GFX90A:TG_SPLIT: 0
	.section	.text._ZN2at6native12_GLOBAL__N_126CatArrayBatchedCopy_contigINS1_10OpaqueTypeILj8EEEjLi1ELi128ELi1EEEvPT_NS1_25CatArrInputTensorMetadataIS5_T0_XT2_EXT3_EEENS1_16TensorSizeStrideIS8_Lj4EEEiS8_,"axG",@progbits,_ZN2at6native12_GLOBAL__N_126CatArrayBatchedCopy_contigINS1_10OpaqueTypeILj8EEEjLi1ELi128ELi1EEEvPT_NS1_25CatArrInputTensorMetadataIS5_T0_XT2_EXT3_EEENS1_16TensorSizeStrideIS8_Lj4EEEiS8_,comdat
	.globl	_ZN2at6native12_GLOBAL__N_126CatArrayBatchedCopy_contigINS1_10OpaqueTypeILj8EEEjLi1ELi128ELi1EEEvPT_NS1_25CatArrInputTensorMetadataIS5_T0_XT2_EXT3_EEENS1_16TensorSizeStrideIS8_Lj4EEEiS8_ ; -- Begin function _ZN2at6native12_GLOBAL__N_126CatArrayBatchedCopy_contigINS1_10OpaqueTypeILj8EEEjLi1ELi128ELi1EEEvPT_NS1_25CatArrInputTensorMetadataIS5_T0_XT2_EXT3_EEENS1_16TensorSizeStrideIS8_Lj4EEEiS8_
	.p2align	8
	.type	_ZN2at6native12_GLOBAL__N_126CatArrayBatchedCopy_contigINS1_10OpaqueTypeILj8EEEjLi1ELi128ELi1EEEvPT_NS1_25CatArrInputTensorMetadataIS5_T0_XT2_EXT3_EEENS1_16TensorSizeStrideIS8_Lj4EEEiS8_,@function
_ZN2at6native12_GLOBAL__N_126CatArrayBatchedCopy_contigINS1_10OpaqueTypeILj8EEEjLi1ELi128ELi1EEEvPT_NS1_25CatArrInputTensorMetadataIS5_T0_XT2_EXT3_EEENS1_16TensorSizeStrideIS8_Lj4EEEiS8_: ; @_ZN2at6native12_GLOBAL__N_126CatArrayBatchedCopy_contigINS1_10OpaqueTypeILj8EEEjLi1ELi128ELi1EEEvPT_NS1_25CatArrInputTensorMetadataIS5_T0_XT2_EXT3_EEENS1_16TensorSizeStrideIS8_Lj4EEEiS8_
; %bb.0:
	s_mov_b32 s6, s3
	s_load_dword s3, s[0:1], 0xadc
	s_add_u32 s4, s0, 0xad0
	s_mov_b32 s7, 0
	s_addc_u32 s5, s1, 0
	s_lshl_b64 s[6:7], s[6:7], 2
	s_waitcnt lgkmcnt(0)
	s_and_b32 s9, s3, 0xffff
	s_add_u32 s10, s0, s6
	s_addc_u32 s11, s1, s7
	s_load_dword s8, s[10:11], 0x808
	s_mul_i32 s2, s2, s9
	v_add_u32_e32 v0, s2, v0
	s_add_u32 s2, s10, 8
	s_addc_u32 s3, s11, 0
	s_waitcnt lgkmcnt(0)
	v_cmp_gt_u32_e32 vcc, s8, v0
	s_and_saveexec_b64 s[10:11], vcc
	s_cbranch_execz .LBB63_3
; %bb.1:
	s_add_u32 s10, s2, s6
	s_addc_u32 s11, s3, s7
	s_sub_u32 s2, 0, s6
	s_subb_u32 s3, 0, s7
	s_add_u32 s6, s10, s2
	s_load_dword s12, s[4:5], 0x0
	s_addc_u32 s7, s11, s3
	s_load_dword s13, s[6:7], 0x400
	s_load_dword s14, s[0:1], 0xacc
	s_load_dwordx2 s[2:3], s[10:11], 0x0
	s_load_dword s15, s[0:1], 0xab8
	s_load_dwordx2 s[4:5], s[0:1], 0x0
	s_mov_b64 s[0:1], 0
	s_waitcnt lgkmcnt(0)
	s_mul_i32 s13, s13, s14
	s_mul_i32 s6, s12, s9
	v_mul_lo_u32 v1, s15, v0
	v_add_u32_e32 v2, s13, v1
	s_mul_i32 s7, s6, s15
	v_mov_b32_e32 v1, 0
.LBB63_2:                               ; =>This Inner Loop Header: Depth=1
	v_lshl_add_u64 v[4:5], v[0:1], 3, s[2:3]
	global_load_dwordx2 v[4:5], v[4:5], off
	v_add_u32_e32 v0, s6, v0
	v_mov_b32_e32 v3, v1
	v_cmp_le_u32_e32 vcc, s8, v0
	v_lshl_add_u64 v[6:7], v[2:3], 3, s[4:5]
	v_add_u32_e32 v2, s7, v2
	s_or_b64 s[0:1], vcc, s[0:1]
	s_waitcnt vmcnt(0)
	global_store_dwordx2 v[6:7], v[4:5], off
	s_andn2_b64 exec, exec, s[0:1]
	s_cbranch_execnz .LBB63_2
.LBB63_3:
	s_endpgm
	.section	.rodata,"a",@progbits
	.p2align	6, 0x0
	.amdhsa_kernel _ZN2at6native12_GLOBAL__N_126CatArrayBatchedCopy_contigINS1_10OpaqueTypeILj8EEEjLi1ELi128ELi1EEEvPT_NS1_25CatArrInputTensorMetadataIS5_T0_XT2_EXT3_EEENS1_16TensorSizeStrideIS8_Lj4EEEiS8_
		.amdhsa_group_segment_fixed_size 0
		.amdhsa_private_segment_fixed_size 0
		.amdhsa_kernarg_size 3024
		.amdhsa_user_sgpr_count 2
		.amdhsa_user_sgpr_dispatch_ptr 0
		.amdhsa_user_sgpr_queue_ptr 0
		.amdhsa_user_sgpr_kernarg_segment_ptr 1
		.amdhsa_user_sgpr_dispatch_id 0
		.amdhsa_user_sgpr_kernarg_preload_length 0
		.amdhsa_user_sgpr_kernarg_preload_offset 0
		.amdhsa_user_sgpr_private_segment_size 0
		.amdhsa_uses_dynamic_stack 0
		.amdhsa_enable_private_segment 0
		.amdhsa_system_sgpr_workgroup_id_x 1
		.amdhsa_system_sgpr_workgroup_id_y 1
		.amdhsa_system_sgpr_workgroup_id_z 0
		.amdhsa_system_sgpr_workgroup_info 0
		.amdhsa_system_vgpr_workitem_id 0
		.amdhsa_next_free_vgpr 8
		.amdhsa_next_free_sgpr 16
		.amdhsa_accum_offset 8
		.amdhsa_reserve_vcc 1
		.amdhsa_float_round_mode_32 0
		.amdhsa_float_round_mode_16_64 0
		.amdhsa_float_denorm_mode_32 3
		.amdhsa_float_denorm_mode_16_64 3
		.amdhsa_dx10_clamp 1
		.amdhsa_ieee_mode 1
		.amdhsa_fp16_overflow 0
		.amdhsa_tg_split 0
		.amdhsa_exception_fp_ieee_invalid_op 0
		.amdhsa_exception_fp_denorm_src 0
		.amdhsa_exception_fp_ieee_div_zero 0
		.amdhsa_exception_fp_ieee_overflow 0
		.amdhsa_exception_fp_ieee_underflow 0
		.amdhsa_exception_fp_ieee_inexact 0
		.amdhsa_exception_int_div_zero 0
	.end_amdhsa_kernel
	.section	.text._ZN2at6native12_GLOBAL__N_126CatArrayBatchedCopy_contigINS1_10OpaqueTypeILj8EEEjLi1ELi128ELi1EEEvPT_NS1_25CatArrInputTensorMetadataIS5_T0_XT2_EXT3_EEENS1_16TensorSizeStrideIS8_Lj4EEEiS8_,"axG",@progbits,_ZN2at6native12_GLOBAL__N_126CatArrayBatchedCopy_contigINS1_10OpaqueTypeILj8EEEjLi1ELi128ELi1EEEvPT_NS1_25CatArrInputTensorMetadataIS5_T0_XT2_EXT3_EEENS1_16TensorSizeStrideIS8_Lj4EEEiS8_,comdat
.Lfunc_end63:
	.size	_ZN2at6native12_GLOBAL__N_126CatArrayBatchedCopy_contigINS1_10OpaqueTypeILj8EEEjLi1ELi128ELi1EEEvPT_NS1_25CatArrInputTensorMetadataIS5_T0_XT2_EXT3_EEENS1_16TensorSizeStrideIS8_Lj4EEEiS8_, .Lfunc_end63-_ZN2at6native12_GLOBAL__N_126CatArrayBatchedCopy_contigINS1_10OpaqueTypeILj8EEEjLi1ELi128ELi1EEEvPT_NS1_25CatArrInputTensorMetadataIS5_T0_XT2_EXT3_EEENS1_16TensorSizeStrideIS8_Lj4EEEiS8_
                                        ; -- End function
	.set _ZN2at6native12_GLOBAL__N_126CatArrayBatchedCopy_contigINS1_10OpaqueTypeILj8EEEjLi1ELi128ELi1EEEvPT_NS1_25CatArrInputTensorMetadataIS5_T0_XT2_EXT3_EEENS1_16TensorSizeStrideIS8_Lj4EEEiS8_.num_vgpr, 8
	.set _ZN2at6native12_GLOBAL__N_126CatArrayBatchedCopy_contigINS1_10OpaqueTypeILj8EEEjLi1ELi128ELi1EEEvPT_NS1_25CatArrInputTensorMetadataIS5_T0_XT2_EXT3_EEENS1_16TensorSizeStrideIS8_Lj4EEEiS8_.num_agpr, 0
	.set _ZN2at6native12_GLOBAL__N_126CatArrayBatchedCopy_contigINS1_10OpaqueTypeILj8EEEjLi1ELi128ELi1EEEvPT_NS1_25CatArrInputTensorMetadataIS5_T0_XT2_EXT3_EEENS1_16TensorSizeStrideIS8_Lj4EEEiS8_.numbered_sgpr, 16
	.set _ZN2at6native12_GLOBAL__N_126CatArrayBatchedCopy_contigINS1_10OpaqueTypeILj8EEEjLi1ELi128ELi1EEEvPT_NS1_25CatArrInputTensorMetadataIS5_T0_XT2_EXT3_EEENS1_16TensorSizeStrideIS8_Lj4EEEiS8_.num_named_barrier, 0
	.set _ZN2at6native12_GLOBAL__N_126CatArrayBatchedCopy_contigINS1_10OpaqueTypeILj8EEEjLi1ELi128ELi1EEEvPT_NS1_25CatArrInputTensorMetadataIS5_T0_XT2_EXT3_EEENS1_16TensorSizeStrideIS8_Lj4EEEiS8_.private_seg_size, 0
	.set _ZN2at6native12_GLOBAL__N_126CatArrayBatchedCopy_contigINS1_10OpaqueTypeILj8EEEjLi1ELi128ELi1EEEvPT_NS1_25CatArrInputTensorMetadataIS5_T0_XT2_EXT3_EEENS1_16TensorSizeStrideIS8_Lj4EEEiS8_.uses_vcc, 1
	.set _ZN2at6native12_GLOBAL__N_126CatArrayBatchedCopy_contigINS1_10OpaqueTypeILj8EEEjLi1ELi128ELi1EEEvPT_NS1_25CatArrInputTensorMetadataIS5_T0_XT2_EXT3_EEENS1_16TensorSizeStrideIS8_Lj4EEEiS8_.uses_flat_scratch, 0
	.set _ZN2at6native12_GLOBAL__N_126CatArrayBatchedCopy_contigINS1_10OpaqueTypeILj8EEEjLi1ELi128ELi1EEEvPT_NS1_25CatArrInputTensorMetadataIS5_T0_XT2_EXT3_EEENS1_16TensorSizeStrideIS8_Lj4EEEiS8_.has_dyn_sized_stack, 0
	.set _ZN2at6native12_GLOBAL__N_126CatArrayBatchedCopy_contigINS1_10OpaqueTypeILj8EEEjLi1ELi128ELi1EEEvPT_NS1_25CatArrInputTensorMetadataIS5_T0_XT2_EXT3_EEENS1_16TensorSizeStrideIS8_Lj4EEEiS8_.has_recursion, 0
	.set _ZN2at6native12_GLOBAL__N_126CatArrayBatchedCopy_contigINS1_10OpaqueTypeILj8EEEjLi1ELi128ELi1EEEvPT_NS1_25CatArrInputTensorMetadataIS5_T0_XT2_EXT3_EEENS1_16TensorSizeStrideIS8_Lj4EEEiS8_.has_indirect_call, 0
	.section	.AMDGPU.csdata,"",@progbits
; Kernel info:
; codeLenInByte = 268
; TotalNumSgprs: 22
; NumVgprs: 8
; NumAgprs: 0
; TotalNumVgprs: 8
; ScratchSize: 0
; MemoryBound: 0
; FloatMode: 240
; IeeeMode: 1
; LDSByteSize: 0 bytes/workgroup (compile time only)
; SGPRBlocks: 2
; VGPRBlocks: 0
; NumSGPRsForWavesPerEU: 22
; NumVGPRsForWavesPerEU: 8
; AccumOffset: 8
; Occupancy: 8
; WaveLimiterHint : 1
; COMPUTE_PGM_RSRC2:SCRATCH_EN: 0
; COMPUTE_PGM_RSRC2:USER_SGPR: 2
; COMPUTE_PGM_RSRC2:TRAP_HANDLER: 0
; COMPUTE_PGM_RSRC2:TGID_X_EN: 1
; COMPUTE_PGM_RSRC2:TGID_Y_EN: 1
; COMPUTE_PGM_RSRC2:TGID_Z_EN: 0
; COMPUTE_PGM_RSRC2:TIDIG_COMP_CNT: 0
; COMPUTE_PGM_RSRC3_GFX90A:ACCUM_OFFSET: 1
; COMPUTE_PGM_RSRC3_GFX90A:TG_SPLIT: 0
	.section	.text._ZN2at6native12_GLOBAL__N_119CatArrayBatchedCopyINS1_10OpaqueTypeILj8EEEjLi1ELi128ELi1EEEvPT_NS1_25CatArrInputTensorMetadataIS5_T0_XT2_EXT3_EEENS1_16TensorSizeStrideIS8_Lj4EEEiS8_,"axG",@progbits,_ZN2at6native12_GLOBAL__N_119CatArrayBatchedCopyINS1_10OpaqueTypeILj8EEEjLi1ELi128ELi1EEEvPT_NS1_25CatArrInputTensorMetadataIS5_T0_XT2_EXT3_EEENS1_16TensorSizeStrideIS8_Lj4EEEiS8_,comdat
	.globl	_ZN2at6native12_GLOBAL__N_119CatArrayBatchedCopyINS1_10OpaqueTypeILj8EEEjLi1ELi128ELi1EEEvPT_NS1_25CatArrInputTensorMetadataIS5_T0_XT2_EXT3_EEENS1_16TensorSizeStrideIS8_Lj4EEEiS8_ ; -- Begin function _ZN2at6native12_GLOBAL__N_119CatArrayBatchedCopyINS1_10OpaqueTypeILj8EEEjLi1ELi128ELi1EEEvPT_NS1_25CatArrInputTensorMetadataIS5_T0_XT2_EXT3_EEENS1_16TensorSizeStrideIS8_Lj4EEEiS8_
	.p2align	8
	.type	_ZN2at6native12_GLOBAL__N_119CatArrayBatchedCopyINS1_10OpaqueTypeILj8EEEjLi1ELi128ELi1EEEvPT_NS1_25CatArrInputTensorMetadataIS5_T0_XT2_EXT3_EEENS1_16TensorSizeStrideIS8_Lj4EEEiS8_,@function
_ZN2at6native12_GLOBAL__N_119CatArrayBatchedCopyINS1_10OpaqueTypeILj8EEEjLi1ELi128ELi1EEEvPT_NS1_25CatArrInputTensorMetadataIS5_T0_XT2_EXT3_EEENS1_16TensorSizeStrideIS8_Lj4EEEiS8_: ; @_ZN2at6native12_GLOBAL__N_119CatArrayBatchedCopyINS1_10OpaqueTypeILj8EEEjLi1ELi128ELi1EEEvPT_NS1_25CatArrInputTensorMetadataIS5_T0_XT2_EXT3_EEENS1_16TensorSizeStrideIS8_Lj4EEEiS8_
; %bb.0:
	s_mov_b32 s4, s3
	s_load_dword s3, s[0:1], 0xadc
	s_or_b32 s10, s0, 8
	s_add_u32 s8, s0, 0xad0
	s_mov_b32 s5, 0
	s_addc_u32 s9, s1, 0
	s_waitcnt lgkmcnt(0)
	s_and_b32 s13, s3, 0xffff
	s_lshl_b64 s[6:7], s[4:5], 2
	s_add_u32 s14, s10, s6
	s_addc_u32 s15, s1, s7
	s_load_dword s12, s[14:15], 0x800
	s_mul_i32 s2, s2, s13
	v_add_u32_e32 v4, s2, v0
	s_waitcnt lgkmcnt(0)
	v_cmp_gt_u32_e32 vcc, s12, v4
	s_and_saveexec_b64 s[2:3], vcc
	s_cbranch_execz .LBB64_3
; %bb.1:
	s_add_u32 s14, s10, s4
	s_addc_u32 s15, s1, 0
	v_mov_b32_e32 v1, 0
	global_load_ubyte v0, v1, s[14:15] offset:2560
	s_mov_b32 s11, s1
	s_load_dword s5, s[8:9], 0x0
	s_load_dwordx2 s[2:3], s[0:1], 0x0
	s_load_dword s16, s[0:1], 0xacc
	s_load_dword s17, s[10:11], 0xa90
	;; [unrolled: 1-line block ×3, first 2 shown]
	s_waitcnt lgkmcnt(0)
	s_mul_i32 s8, s5, s13
	s_mul_hi_u32 s9, s4, 7
	s_mul_i32 s4, s4, 7
	s_mov_b64 s[0:1], 0
	v_mul_lo_u32 v2, s18, v4
	s_waitcnt vmcnt(0)
	v_readfirstlane_b32 s5, v0
	s_and_b32 s13, 1, s5
	s_add_u32 s10, s14, s4
	s_addc_u32 s11, s15, s9
	s_sub_u32 s4, 0, s6
	s_subb_u32 s5, 0, s7
	s_add_u32 s6, s10, s4
	s_addc_u32 s7, s11, s5
	s_load_dwordx2 s[4:5], s[10:11], 0x0
	s_load_dword s9, s[6:7], 0x400
	s_cmp_eq_u32 s13, 1
	s_cselect_b32 s6, 1, s17
	v_mul_lo_u32 v0, s6, v4
	s_mul_i32 s6, s8, s6
	s_waitcnt lgkmcnt(0)
	s_mul_i32 s9, s9, s16
	v_add_u32_e32 v2, s9, v2
	s_mul_i32 s7, s8, s18
.LBB64_2:                               ; =>This Inner Loop Header: Depth=1
	v_lshl_add_u64 v[6:7], v[0:1], 3, s[4:5]
	global_load_dwordx2 v[6:7], v[6:7], off
	v_add_u32_e32 v4, s8, v4
	v_mov_b32_e32 v3, v1
	v_cmp_le_u32_e32 vcc, s12, v4
	v_add_u32_e32 v0, s6, v0
	v_lshl_add_u64 v[8:9], v[2:3], 3, s[2:3]
	v_add_u32_e32 v2, s7, v2
	s_or_b64 s[0:1], vcc, s[0:1]
	s_waitcnt vmcnt(0)
	global_store_dwordx2 v[8:9], v[6:7], off
	s_andn2_b64 exec, exec, s[0:1]
	s_cbranch_execnz .LBB64_2
.LBB64_3:
	s_endpgm
	.section	.rodata,"a",@progbits
	.p2align	6, 0x0
	.amdhsa_kernel _ZN2at6native12_GLOBAL__N_119CatArrayBatchedCopyINS1_10OpaqueTypeILj8EEEjLi1ELi128ELi1EEEvPT_NS1_25CatArrInputTensorMetadataIS5_T0_XT2_EXT3_EEENS1_16TensorSizeStrideIS8_Lj4EEEiS8_
		.amdhsa_group_segment_fixed_size 0
		.amdhsa_private_segment_fixed_size 0
		.amdhsa_kernarg_size 3024
		.amdhsa_user_sgpr_count 2
		.amdhsa_user_sgpr_dispatch_ptr 0
		.amdhsa_user_sgpr_queue_ptr 0
		.amdhsa_user_sgpr_kernarg_segment_ptr 1
		.amdhsa_user_sgpr_dispatch_id 0
		.amdhsa_user_sgpr_kernarg_preload_length 0
		.amdhsa_user_sgpr_kernarg_preload_offset 0
		.amdhsa_user_sgpr_private_segment_size 0
		.amdhsa_uses_dynamic_stack 0
		.amdhsa_enable_private_segment 0
		.amdhsa_system_sgpr_workgroup_id_x 1
		.amdhsa_system_sgpr_workgroup_id_y 1
		.amdhsa_system_sgpr_workgroup_id_z 0
		.amdhsa_system_sgpr_workgroup_info 0
		.amdhsa_system_vgpr_workitem_id 0
		.amdhsa_next_free_vgpr 10
		.amdhsa_next_free_sgpr 19
		.amdhsa_accum_offset 12
		.amdhsa_reserve_vcc 1
		.amdhsa_float_round_mode_32 0
		.amdhsa_float_round_mode_16_64 0
		.amdhsa_float_denorm_mode_32 3
		.amdhsa_float_denorm_mode_16_64 3
		.amdhsa_dx10_clamp 1
		.amdhsa_ieee_mode 1
		.amdhsa_fp16_overflow 0
		.amdhsa_tg_split 0
		.amdhsa_exception_fp_ieee_invalid_op 0
		.amdhsa_exception_fp_denorm_src 0
		.amdhsa_exception_fp_ieee_div_zero 0
		.amdhsa_exception_fp_ieee_overflow 0
		.amdhsa_exception_fp_ieee_underflow 0
		.amdhsa_exception_fp_ieee_inexact 0
		.amdhsa_exception_int_div_zero 0
	.end_amdhsa_kernel
	.section	.text._ZN2at6native12_GLOBAL__N_119CatArrayBatchedCopyINS1_10OpaqueTypeILj8EEEjLi1ELi128ELi1EEEvPT_NS1_25CatArrInputTensorMetadataIS5_T0_XT2_EXT3_EEENS1_16TensorSizeStrideIS8_Lj4EEEiS8_,"axG",@progbits,_ZN2at6native12_GLOBAL__N_119CatArrayBatchedCopyINS1_10OpaqueTypeILj8EEEjLi1ELi128ELi1EEEvPT_NS1_25CatArrInputTensorMetadataIS5_T0_XT2_EXT3_EEENS1_16TensorSizeStrideIS8_Lj4EEEiS8_,comdat
.Lfunc_end64:
	.size	_ZN2at6native12_GLOBAL__N_119CatArrayBatchedCopyINS1_10OpaqueTypeILj8EEEjLi1ELi128ELi1EEEvPT_NS1_25CatArrInputTensorMetadataIS5_T0_XT2_EXT3_EEENS1_16TensorSizeStrideIS8_Lj4EEEiS8_, .Lfunc_end64-_ZN2at6native12_GLOBAL__N_119CatArrayBatchedCopyINS1_10OpaqueTypeILj8EEEjLi1ELi128ELi1EEEvPT_NS1_25CatArrInputTensorMetadataIS5_T0_XT2_EXT3_EEENS1_16TensorSizeStrideIS8_Lj4EEEiS8_
                                        ; -- End function
	.set _ZN2at6native12_GLOBAL__N_119CatArrayBatchedCopyINS1_10OpaqueTypeILj8EEEjLi1ELi128ELi1EEEvPT_NS1_25CatArrInputTensorMetadataIS5_T0_XT2_EXT3_EEENS1_16TensorSizeStrideIS8_Lj4EEEiS8_.num_vgpr, 10
	.set _ZN2at6native12_GLOBAL__N_119CatArrayBatchedCopyINS1_10OpaqueTypeILj8EEEjLi1ELi128ELi1EEEvPT_NS1_25CatArrInputTensorMetadataIS5_T0_XT2_EXT3_EEENS1_16TensorSizeStrideIS8_Lj4EEEiS8_.num_agpr, 0
	.set _ZN2at6native12_GLOBAL__N_119CatArrayBatchedCopyINS1_10OpaqueTypeILj8EEEjLi1ELi128ELi1EEEvPT_NS1_25CatArrInputTensorMetadataIS5_T0_XT2_EXT3_EEENS1_16TensorSizeStrideIS8_Lj4EEEiS8_.numbered_sgpr, 19
	.set _ZN2at6native12_GLOBAL__N_119CatArrayBatchedCopyINS1_10OpaqueTypeILj8EEEjLi1ELi128ELi1EEEvPT_NS1_25CatArrInputTensorMetadataIS5_T0_XT2_EXT3_EEENS1_16TensorSizeStrideIS8_Lj4EEEiS8_.num_named_barrier, 0
	.set _ZN2at6native12_GLOBAL__N_119CatArrayBatchedCopyINS1_10OpaqueTypeILj8EEEjLi1ELi128ELi1EEEvPT_NS1_25CatArrInputTensorMetadataIS5_T0_XT2_EXT3_EEENS1_16TensorSizeStrideIS8_Lj4EEEiS8_.private_seg_size, 0
	.set _ZN2at6native12_GLOBAL__N_119CatArrayBatchedCopyINS1_10OpaqueTypeILj8EEEjLi1ELi128ELi1EEEvPT_NS1_25CatArrInputTensorMetadataIS5_T0_XT2_EXT3_EEENS1_16TensorSizeStrideIS8_Lj4EEEiS8_.uses_vcc, 1
	.set _ZN2at6native12_GLOBAL__N_119CatArrayBatchedCopyINS1_10OpaqueTypeILj8EEEjLi1ELi128ELi1EEEvPT_NS1_25CatArrInputTensorMetadataIS5_T0_XT2_EXT3_EEENS1_16TensorSizeStrideIS8_Lj4EEEiS8_.uses_flat_scratch, 0
	.set _ZN2at6native12_GLOBAL__N_119CatArrayBatchedCopyINS1_10OpaqueTypeILj8EEEjLi1ELi128ELi1EEEvPT_NS1_25CatArrInputTensorMetadataIS5_T0_XT2_EXT3_EEENS1_16TensorSizeStrideIS8_Lj4EEEiS8_.has_dyn_sized_stack, 0
	.set _ZN2at6native12_GLOBAL__N_119CatArrayBatchedCopyINS1_10OpaqueTypeILj8EEEjLi1ELi128ELi1EEEvPT_NS1_25CatArrInputTensorMetadataIS5_T0_XT2_EXT3_EEENS1_16TensorSizeStrideIS8_Lj4EEEiS8_.has_recursion, 0
	.set _ZN2at6native12_GLOBAL__N_119CatArrayBatchedCopyINS1_10OpaqueTypeILj8EEEjLi1ELi128ELi1EEEvPT_NS1_25CatArrInputTensorMetadataIS5_T0_XT2_EXT3_EEENS1_16TensorSizeStrideIS8_Lj4EEEiS8_.has_indirect_call, 0
	.section	.AMDGPU.csdata,"",@progbits
; Kernel info:
; codeLenInByte = 340
; TotalNumSgprs: 25
; NumVgprs: 10
; NumAgprs: 0
; TotalNumVgprs: 10
; ScratchSize: 0
; MemoryBound: 0
; FloatMode: 240
; IeeeMode: 1
; LDSByteSize: 0 bytes/workgroup (compile time only)
; SGPRBlocks: 3
; VGPRBlocks: 1
; NumSGPRsForWavesPerEU: 25
; NumVGPRsForWavesPerEU: 10
; AccumOffset: 12
; Occupancy: 8
; WaveLimiterHint : 1
; COMPUTE_PGM_RSRC2:SCRATCH_EN: 0
; COMPUTE_PGM_RSRC2:USER_SGPR: 2
; COMPUTE_PGM_RSRC2:TRAP_HANDLER: 0
; COMPUTE_PGM_RSRC2:TGID_X_EN: 1
; COMPUTE_PGM_RSRC2:TGID_Y_EN: 1
; COMPUTE_PGM_RSRC2:TGID_Z_EN: 0
; COMPUTE_PGM_RSRC2:TIDIG_COMP_CNT: 0
; COMPUTE_PGM_RSRC3_GFX90A:ACCUM_OFFSET: 2
; COMPUTE_PGM_RSRC3_GFX90A:TG_SPLIT: 0
	.section	.text._ZN2at6native12_GLOBAL__N_130CatArrayBatchedCopy_vectorizedINS1_10OpaqueTypeILj8EEEjLi2ELi128ELi1ELi16ELi2EEEvPcNS1_25CatArrInputTensorMetadataIT_T0_XT2_EXT3_EEENS1_16TensorSizeStrideIS8_Lj4EEEiS8_,"axG",@progbits,_ZN2at6native12_GLOBAL__N_130CatArrayBatchedCopy_vectorizedINS1_10OpaqueTypeILj8EEEjLi2ELi128ELi1ELi16ELi2EEEvPcNS1_25CatArrInputTensorMetadataIT_T0_XT2_EXT3_EEENS1_16TensorSizeStrideIS8_Lj4EEEiS8_,comdat
	.globl	_ZN2at6native12_GLOBAL__N_130CatArrayBatchedCopy_vectorizedINS1_10OpaqueTypeILj8EEEjLi2ELi128ELi1ELi16ELi2EEEvPcNS1_25CatArrInputTensorMetadataIT_T0_XT2_EXT3_EEENS1_16TensorSizeStrideIS8_Lj4EEEiS8_ ; -- Begin function _ZN2at6native12_GLOBAL__N_130CatArrayBatchedCopy_vectorizedINS1_10OpaqueTypeILj8EEEjLi2ELi128ELi1ELi16ELi2EEEvPcNS1_25CatArrInputTensorMetadataIT_T0_XT2_EXT3_EEENS1_16TensorSizeStrideIS8_Lj4EEEiS8_
	.p2align	8
	.type	_ZN2at6native12_GLOBAL__N_130CatArrayBatchedCopy_vectorizedINS1_10OpaqueTypeILj8EEEjLi2ELi128ELi1ELi16ELi2EEEvPcNS1_25CatArrInputTensorMetadataIT_T0_XT2_EXT3_EEENS1_16TensorSizeStrideIS8_Lj4EEEiS8_,@function
_ZN2at6native12_GLOBAL__N_130CatArrayBatchedCopy_vectorizedINS1_10OpaqueTypeILj8EEEjLi2ELi128ELi1ELi16ELi2EEEvPcNS1_25CatArrInputTensorMetadataIT_T0_XT2_EXT3_EEENS1_16TensorSizeStrideIS8_Lj4EEEiS8_: ; @_ZN2at6native12_GLOBAL__N_130CatArrayBatchedCopy_vectorizedINS1_10OpaqueTypeILj8EEEjLi2ELi128ELi1ELi16ELi2EEEvPcNS1_25CatArrInputTensorMetadataIT_T0_XT2_EXT3_EEENS1_16TensorSizeStrideIS8_Lj4EEEiS8_
; %bb.0:
	s_mov_b32 s6, s3
	s_load_dword s3, s[0:1], 0xadc
	s_add_u32 s4, s0, 0xad0
	s_mov_b32 s7, 0
	s_addc_u32 s5, s1, 0
	s_lshl_b64 s[8:9], s[6:7], 2
	s_waitcnt lgkmcnt(0)
	s_and_b32 s11, s3, 0xffff
	s_add_u32 s12, s0, s8
	s_addc_u32 s13, s1, s9
	s_load_dword s6, s[12:13], 0x808
	s_mul_i32 s2, s2, s11
	v_add_u32_e32 v0, s2, v0
	s_add_u32 s2, s12, 8
	s_addc_u32 s3, s13, 0
	s_waitcnt lgkmcnt(0)
	s_lshr_b32 s10, s6, 1
	v_cmp_gt_u32_e32 vcc, s10, v0
	s_and_saveexec_b64 s[12:13], vcc
	s_cbranch_execz .LBB65_3
; %bb.1:
	s_add_u32 s14, s2, s8
	s_addc_u32 s15, s3, s9
	s_sub_u32 s2, 0, s8
	s_load_dwordx2 s[12:13], s[0:1], 0xac8
	s_subb_u32 s3, 0, s9
	s_add_u32 s8, s14, s2
	s_addc_u32 s9, s15, s3
	s_load_dword s6, s[8:9], 0x400
	s_load_dword s16, s[8:9], 0x600
	s_load_dwordx2 s[2:3], s[0:1], 0xab8
	s_load_dword s17, s[0:1], 0xaac
	s_waitcnt lgkmcnt(0)
	s_mul_i32 s6, s6, s13
	s_lshr_b32 s6, s6, 1
	s_mul_i32 s16, s16, s13
	s_lshr_b32 s8, s16, 1
	s_lshl_b64 s[6:7], s[6:7], 4
	s_cmp_eq_u32 s12, 1
	s_cselect_b32 s8, s8, s17
	v_cvt_f32_u32_e32 v1, s8
	s_load_dword s9, s[4:5], 0x0
	s_load_dwordx2 s[12:13], s[0:1], 0x0
	s_mov_b64 s[4:5], 0
	s_load_dwordx2 s[0:1], s[14:15], 0x0
	v_rcp_iflag_f32_e32 v1, v1
	s_waitcnt lgkmcnt(0)
	s_mul_i32 s9, s9, s11
	s_add_u32 s6, s12, s6
	s_addc_u32 s7, s13, s7
	v_mul_f32_e32 v1, 0x4f7ffffe, v1
	v_cvt_u32_f32_e32 v1, v1
	s_sub_i32 s11, 0, s8
	v_mul_lo_u32 v2, s11, v1
	v_mul_hi_u32 v2, v1, v2
	v_add_u32_e32 v2, v1, v2
	v_mov_b32_e32 v1, 0
.LBB65_2:                               ; =>This Inner Loop Header: Depth=1
	v_lshl_add_u64 v[4:5], v[0:1], 4, s[0:1]
	global_load_dwordx4 v[4:7], v[4:5], off
	v_mul_hi_u32 v3, v2, v0
	v_mul_lo_u32 v8, s8, v3
	v_not_b32_e32 v9, v3
	v_sub_u32_e32 v11, v0, v8
	v_add_u32_e32 v10, 1, v3
	v_mad_u64_u32 v[8:9], s[12:13], s8, v9, v[0:1]
	v_cmp_le_u32_e32 vcc, s8, v11
	s_nop 1
	v_cndmask_b32_e32 v3, v3, v10, vcc
	v_cndmask_b32_e32 v8, v11, v8, vcc
	v_add_u32_e32 v9, 1, v3
	v_cmp_le_u32_e32 vcc, s8, v8
	s_nop 1
	v_cndmask_b32_e32 v3, v3, v9, vcc
	v_mad_u64_u32 v[8:9], s[12:13], s11, v3, v[0:1]
	v_mul_lo_u32 v10, v3, s2
	v_add_u32_e32 v0, s9, v0
	v_mad_u64_u32 v[8:9], s[12:13], v8, s3, v[10:11]
	v_cmp_le_u32_e32 vcc, s10, v0
	v_mov_b32_e32 v9, v1
	s_or_b64 s[4:5], vcc, s[4:5]
	v_lshl_add_u64 v[8:9], v[8:9], 4, s[6:7]
	s_waitcnt vmcnt(0)
	global_store_dwordx4 v[8:9], v[4:7], off
	s_andn2_b64 exec, exec, s[4:5]
	s_cbranch_execnz .LBB65_2
.LBB65_3:
	s_endpgm
	.section	.rodata,"a",@progbits
	.p2align	6, 0x0
	.amdhsa_kernel _ZN2at6native12_GLOBAL__N_130CatArrayBatchedCopy_vectorizedINS1_10OpaqueTypeILj8EEEjLi2ELi128ELi1ELi16ELi2EEEvPcNS1_25CatArrInputTensorMetadataIT_T0_XT2_EXT3_EEENS1_16TensorSizeStrideIS8_Lj4EEEiS8_
		.amdhsa_group_segment_fixed_size 0
		.amdhsa_private_segment_fixed_size 0
		.amdhsa_kernarg_size 3024
		.amdhsa_user_sgpr_count 2
		.amdhsa_user_sgpr_dispatch_ptr 0
		.amdhsa_user_sgpr_queue_ptr 0
		.amdhsa_user_sgpr_kernarg_segment_ptr 1
		.amdhsa_user_sgpr_dispatch_id 0
		.amdhsa_user_sgpr_kernarg_preload_length 0
		.amdhsa_user_sgpr_kernarg_preload_offset 0
		.amdhsa_user_sgpr_private_segment_size 0
		.amdhsa_uses_dynamic_stack 0
		.amdhsa_enable_private_segment 0
		.amdhsa_system_sgpr_workgroup_id_x 1
		.amdhsa_system_sgpr_workgroup_id_y 1
		.amdhsa_system_sgpr_workgroup_id_z 0
		.amdhsa_system_sgpr_workgroup_info 0
		.amdhsa_system_vgpr_workitem_id 0
		.amdhsa_next_free_vgpr 12
		.amdhsa_next_free_sgpr 18
		.amdhsa_accum_offset 12
		.amdhsa_reserve_vcc 1
		.amdhsa_float_round_mode_32 0
		.amdhsa_float_round_mode_16_64 0
		.amdhsa_float_denorm_mode_32 3
		.amdhsa_float_denorm_mode_16_64 3
		.amdhsa_dx10_clamp 1
		.amdhsa_ieee_mode 1
		.amdhsa_fp16_overflow 0
		.amdhsa_tg_split 0
		.amdhsa_exception_fp_ieee_invalid_op 0
		.amdhsa_exception_fp_denorm_src 0
		.amdhsa_exception_fp_ieee_div_zero 0
		.amdhsa_exception_fp_ieee_overflow 0
		.amdhsa_exception_fp_ieee_underflow 0
		.amdhsa_exception_fp_ieee_inexact 0
		.amdhsa_exception_int_div_zero 0
	.end_amdhsa_kernel
	.section	.text._ZN2at6native12_GLOBAL__N_130CatArrayBatchedCopy_vectorizedINS1_10OpaqueTypeILj8EEEjLi2ELi128ELi1ELi16ELi2EEEvPcNS1_25CatArrInputTensorMetadataIT_T0_XT2_EXT3_EEENS1_16TensorSizeStrideIS8_Lj4EEEiS8_,"axG",@progbits,_ZN2at6native12_GLOBAL__N_130CatArrayBatchedCopy_vectorizedINS1_10OpaqueTypeILj8EEEjLi2ELi128ELi1ELi16ELi2EEEvPcNS1_25CatArrInputTensorMetadataIT_T0_XT2_EXT3_EEENS1_16TensorSizeStrideIS8_Lj4EEEiS8_,comdat
.Lfunc_end65:
	.size	_ZN2at6native12_GLOBAL__N_130CatArrayBatchedCopy_vectorizedINS1_10OpaqueTypeILj8EEEjLi2ELi128ELi1ELi16ELi2EEEvPcNS1_25CatArrInputTensorMetadataIT_T0_XT2_EXT3_EEENS1_16TensorSizeStrideIS8_Lj4EEEiS8_, .Lfunc_end65-_ZN2at6native12_GLOBAL__N_130CatArrayBatchedCopy_vectorizedINS1_10OpaqueTypeILj8EEEjLi2ELi128ELi1ELi16ELi2EEEvPcNS1_25CatArrInputTensorMetadataIT_T0_XT2_EXT3_EEENS1_16TensorSizeStrideIS8_Lj4EEEiS8_
                                        ; -- End function
	.set _ZN2at6native12_GLOBAL__N_130CatArrayBatchedCopy_vectorizedINS1_10OpaqueTypeILj8EEEjLi2ELi128ELi1ELi16ELi2EEEvPcNS1_25CatArrInputTensorMetadataIT_T0_XT2_EXT3_EEENS1_16TensorSizeStrideIS8_Lj4EEEiS8_.num_vgpr, 12
	.set _ZN2at6native12_GLOBAL__N_130CatArrayBatchedCopy_vectorizedINS1_10OpaqueTypeILj8EEEjLi2ELi128ELi1ELi16ELi2EEEvPcNS1_25CatArrInputTensorMetadataIT_T0_XT2_EXT3_EEENS1_16TensorSizeStrideIS8_Lj4EEEiS8_.num_agpr, 0
	.set _ZN2at6native12_GLOBAL__N_130CatArrayBatchedCopy_vectorizedINS1_10OpaqueTypeILj8EEEjLi2ELi128ELi1ELi16ELi2EEEvPcNS1_25CatArrInputTensorMetadataIT_T0_XT2_EXT3_EEENS1_16TensorSizeStrideIS8_Lj4EEEiS8_.numbered_sgpr, 18
	.set _ZN2at6native12_GLOBAL__N_130CatArrayBatchedCopy_vectorizedINS1_10OpaqueTypeILj8EEEjLi2ELi128ELi1ELi16ELi2EEEvPcNS1_25CatArrInputTensorMetadataIT_T0_XT2_EXT3_EEENS1_16TensorSizeStrideIS8_Lj4EEEiS8_.num_named_barrier, 0
	.set _ZN2at6native12_GLOBAL__N_130CatArrayBatchedCopy_vectorizedINS1_10OpaqueTypeILj8EEEjLi2ELi128ELi1ELi16ELi2EEEvPcNS1_25CatArrInputTensorMetadataIT_T0_XT2_EXT3_EEENS1_16TensorSizeStrideIS8_Lj4EEEiS8_.private_seg_size, 0
	.set _ZN2at6native12_GLOBAL__N_130CatArrayBatchedCopy_vectorizedINS1_10OpaqueTypeILj8EEEjLi2ELi128ELi1ELi16ELi2EEEvPcNS1_25CatArrInputTensorMetadataIT_T0_XT2_EXT3_EEENS1_16TensorSizeStrideIS8_Lj4EEEiS8_.uses_vcc, 1
	.set _ZN2at6native12_GLOBAL__N_130CatArrayBatchedCopy_vectorizedINS1_10OpaqueTypeILj8EEEjLi2ELi128ELi1ELi16ELi2EEEvPcNS1_25CatArrInputTensorMetadataIT_T0_XT2_EXT3_EEENS1_16TensorSizeStrideIS8_Lj4EEEiS8_.uses_flat_scratch, 0
	.set _ZN2at6native12_GLOBAL__N_130CatArrayBatchedCopy_vectorizedINS1_10OpaqueTypeILj8EEEjLi2ELi128ELi1ELi16ELi2EEEvPcNS1_25CatArrInputTensorMetadataIT_T0_XT2_EXT3_EEENS1_16TensorSizeStrideIS8_Lj4EEEiS8_.has_dyn_sized_stack, 0
	.set _ZN2at6native12_GLOBAL__N_130CatArrayBatchedCopy_vectorizedINS1_10OpaqueTypeILj8EEEjLi2ELi128ELi1ELi16ELi2EEEvPcNS1_25CatArrInputTensorMetadataIT_T0_XT2_EXT3_EEENS1_16TensorSizeStrideIS8_Lj4EEEiS8_.has_recursion, 0
	.set _ZN2at6native12_GLOBAL__N_130CatArrayBatchedCopy_vectorizedINS1_10OpaqueTypeILj8EEEjLi2ELi128ELi1ELi16ELi2EEEvPcNS1_25CatArrInputTensorMetadataIT_T0_XT2_EXT3_EEENS1_16TensorSizeStrideIS8_Lj4EEEiS8_.has_indirect_call, 0
	.section	.AMDGPU.csdata,"",@progbits
; Kernel info:
; codeLenInByte = 440
; TotalNumSgprs: 24
; NumVgprs: 12
; NumAgprs: 0
; TotalNumVgprs: 12
; ScratchSize: 0
; MemoryBound: 0
; FloatMode: 240
; IeeeMode: 1
; LDSByteSize: 0 bytes/workgroup (compile time only)
; SGPRBlocks: 2
; VGPRBlocks: 1
; NumSGPRsForWavesPerEU: 24
; NumVGPRsForWavesPerEU: 12
; AccumOffset: 12
; Occupancy: 8
; WaveLimiterHint : 1
; COMPUTE_PGM_RSRC2:SCRATCH_EN: 0
; COMPUTE_PGM_RSRC2:USER_SGPR: 2
; COMPUTE_PGM_RSRC2:TRAP_HANDLER: 0
; COMPUTE_PGM_RSRC2:TGID_X_EN: 1
; COMPUTE_PGM_RSRC2:TGID_Y_EN: 1
; COMPUTE_PGM_RSRC2:TGID_Z_EN: 0
; COMPUTE_PGM_RSRC2:TIDIG_COMP_CNT: 0
; COMPUTE_PGM_RSRC3_GFX90A:ACCUM_OFFSET: 2
; COMPUTE_PGM_RSRC3_GFX90A:TG_SPLIT: 0
	.section	.text._ZN2at6native12_GLOBAL__N_135CatArrayBatchedCopy_alignedK_contigINS1_10OpaqueTypeILj8EEEjLi2ELi128ELi1ELi16EEEvPT_NS1_25CatArrInputTensorMetadataIS5_T0_XT2_EXT3_EEENS1_16TensorSizeStrideIS8_Lj4EEEiS8_,"axG",@progbits,_ZN2at6native12_GLOBAL__N_135CatArrayBatchedCopy_alignedK_contigINS1_10OpaqueTypeILj8EEEjLi2ELi128ELi1ELi16EEEvPT_NS1_25CatArrInputTensorMetadataIS5_T0_XT2_EXT3_EEENS1_16TensorSizeStrideIS8_Lj4EEEiS8_,comdat
	.globl	_ZN2at6native12_GLOBAL__N_135CatArrayBatchedCopy_alignedK_contigINS1_10OpaqueTypeILj8EEEjLi2ELi128ELi1ELi16EEEvPT_NS1_25CatArrInputTensorMetadataIS5_T0_XT2_EXT3_EEENS1_16TensorSizeStrideIS8_Lj4EEEiS8_ ; -- Begin function _ZN2at6native12_GLOBAL__N_135CatArrayBatchedCopy_alignedK_contigINS1_10OpaqueTypeILj8EEEjLi2ELi128ELi1ELi16EEEvPT_NS1_25CatArrInputTensorMetadataIS5_T0_XT2_EXT3_EEENS1_16TensorSizeStrideIS8_Lj4EEEiS8_
	.p2align	8
	.type	_ZN2at6native12_GLOBAL__N_135CatArrayBatchedCopy_alignedK_contigINS1_10OpaqueTypeILj8EEEjLi2ELi128ELi1ELi16EEEvPT_NS1_25CatArrInputTensorMetadataIS5_T0_XT2_EXT3_EEENS1_16TensorSizeStrideIS8_Lj4EEEiS8_,@function
_ZN2at6native12_GLOBAL__N_135CatArrayBatchedCopy_alignedK_contigINS1_10OpaqueTypeILj8EEEjLi2ELi128ELi1ELi16EEEvPT_NS1_25CatArrInputTensorMetadataIS5_T0_XT2_EXT3_EEENS1_16TensorSizeStrideIS8_Lj4EEEiS8_: ; @_ZN2at6native12_GLOBAL__N_135CatArrayBatchedCopy_alignedK_contigINS1_10OpaqueTypeILj8EEEjLi2ELi128ELi1ELi16EEEvPT_NS1_25CatArrInputTensorMetadataIS5_T0_XT2_EXT3_EEENS1_16TensorSizeStrideIS8_Lj4EEEiS8_
; %bb.0:
	s_mov_b32 s4, s3
	s_load_dword s3, s[0:1], 0xadc
	s_add_u32 s14, s0, 0xad0
	s_mov_b32 s5, 0
	s_addc_u32 s15, s1, 0
	s_lshl_b64 s[4:5], s[4:5], 2
	s_waitcnt lgkmcnt(0)
	s_and_b32 s19, s3, 0xffff
	s_add_u32 s6, s0, s4
	s_addc_u32 s7, s1, s5
	s_load_dword s16, s[6:7], 0x808
	s_mul_i32 s2, s2, s19
	v_add_lshl_u32 v0, s2, v0, 1
	s_add_u32 s2, s6, 8
	s_addc_u32 s3, s7, 0
	s_waitcnt lgkmcnt(0)
	v_cmp_gt_u32_e32 vcc, s16, v0
	s_and_saveexec_b64 s[6:7], vcc
	s_cbranch_execz .LBB66_8
; %bb.1:
	s_add_u32 s10, s2, s4
	s_addc_u32 s11, s3, s5
	s_sub_u32 s2, 0, s4
	s_subb_u32 s3, 0, s5
	s_add_u32 s12, s10, s2
	s_addc_u32 s13, s11, s3
	s_load_dword s20, s[12:13], 0x400
	s_load_dwordx2 s[2:3], s[0:1], 0x0
	s_load_dwordx2 s[8:9], s[0:1], 0xac8
	s_load_dword s17, s[0:1], 0xaac
	s_load_dwordx2 s[4:5], s[0:1], 0xab8
	s_load_dwordx2 s[6:7], s[10:11], 0x0
	s_load_dword s18, s[12:13], 0x600
	v_add_u32_e32 v1, 2, v0
	s_mov_b64 s[10:11], 0
	s_waitcnt lgkmcnt(0)
	s_mul_i32 s9, s20, s9
	v_cmp_ge_u32_e32 vcc, s16, v1
	s_and_saveexec_b64 s[12:13], vcc
	s_cbranch_execz .LBB66_5
; %bb.2:
	s_load_dword s0, s[14:15], 0x0
	s_waitcnt lgkmcnt(0)
	s_mul_i32 s0, s0, s19
	s_lshl_b32 s14, s0, 1
	s_cmp_eq_u32 s8, 1
	s_cselect_b32 s15, s18, s17
	v_cvt_f32_u32_e32 v1, s15
	s_sub_i32 s19, 0, s15
	v_rcp_iflag_f32_e32 v1, v1
	s_nop 0
	v_mul_f32_e32 v1, 0x4f7ffffe, v1
	v_cvt_u32_f32_e32 v2, v1
	v_mov_b32_e32 v1, 0
	v_mul_lo_u32 v3, s19, v2
	v_mul_hi_u32 v3, v2, v3
	v_add_u32_e32 v2, v2, v3
	v_add_u32_e32 v3, 1, v0
.LBB66_3:                               ; =>This Inner Loop Header: Depth=1
	v_lshl_add_u64 v[4:5], v[0:1], 3, s[6:7]
	global_load_dwordx4 v[4:7], v[4:5], off
	v_mul_hi_u32 v10, v2, v0
	v_mul_hi_u32 v14, v2, v3
	v_add_u32_e32 v8, 1, v0
	v_mov_b32_e32 v9, v1
	v_not_b32_e32 v16, v10
	v_mad_u64_u32 v[12:13], s[0:1], s19, v10, v[0:1]
	v_not_b32_e32 v18, v14
	v_add_u32_e32 v13, 1, v10
	v_mul_hi_u32 v20, v8, v2
	v_mad_u64_u32 v[14:15], s[0:1], s19, v14, v[8:9]
	v_cmp_le_u32_e32 vcc, s15, v12
	v_mad_u64_u32 v[16:17], s[0:1], s15, v16, v[0:1]
	s_nop 0
	v_cndmask_b32_e32 v10, v10, v13, vcc
	v_add_u32_e32 v13, 1, v20
	v_cmp_le_u32_e64 s[0:1], s15, v14
	v_mad_u64_u32 v[18:19], s[20:21], s15, v18, v[8:9]
	v_cndmask_b32_e32 v8, v12, v16, vcc
	v_add_u32_e32 v12, 1, v10
	v_cndmask_b32_e64 v15, v20, v13, s[0:1]
	v_cndmask_b32_e64 v13, v14, v18, s[0:1]
	v_cmp_le_u32_e32 vcc, s15, v8
	v_mov_b32_e32 v11, v1
	v_add_u32_e32 v3, s14, v3
	v_cndmask_b32_e32 v8, v10, v12, vcc
	v_add_u32_e32 v10, 1, v15
	v_cmp_le_u32_e32 vcc, s15, v13
	v_mad_u64_u32 v[12:13], s[0:1], s19, v8, v[0:1]
	s_nop 0
	v_cndmask_b32_e32 v10, v15, v10, vcc
	v_mul_lo_u32 v14, v12, s5
	v_mad_u64_u32 v[12:13], s[0:1], s19, v10, v[0:1]
	v_add_u32_e32 v0, s14, v0
	v_mul_lo_u32 v8, v8, s4
	v_mul_lo_u32 v12, s5, v12
	v_add_u32_e32 v13, 2, v0
	v_mul_lo_u32 v10, v10, s4
	v_add3_u32 v8, v14, v8, s9
	v_add_u32_e32 v12, s5, v12
	v_cmp_lt_u32_e32 vcc, s16, v13
	v_lshl_add_u64 v[8:9], v[8:9], 3, s[2:3]
	v_add3_u32 v10, v12, v10, s9
	s_or_b64 s[10:11], vcc, s[10:11]
	v_lshl_add_u64 v[10:11], v[10:11], 3, s[2:3]
	s_waitcnt vmcnt(0)
	global_store_dwordx2 v[8:9], v[4:5], off
	global_store_dwordx2 v[10:11], v[6:7], off
	s_andn2_b64 exec, exec, s[10:11]
	s_cbranch_execnz .LBB66_3
; %bb.4:
	s_or_b64 exec, exec, s[10:11]
.LBB66_5:
	s_or_b64 exec, exec, s[12:13]
	v_cmp_gt_u32_e32 vcc, s16, v0
	s_and_b64 exec, exec, vcc
	s_cbranch_execz .LBB66_8
; %bb.6:
	s_cmp_eq_u32 s8, 1
	s_cselect_b32 s8, s18, s17
	v_cvt_f32_u32_e32 v1, s8
	v_mov_b32_e32 v3, 0
	s_sub_i32 s10, 0, s8
	v_mov_b32_e32 v5, v3
	v_rcp_iflag_f32_e32 v1, v1
	s_nop 0
	v_mul_f32_e32 v1, 0x4f7ffffe, v1
	v_cvt_u32_f32_e32 v2, v1
	v_mov_b32_e32 v1, v3
	v_lshl_add_u64 v[6:7], v[0:1], 3, s[6:7]
	v_mul_lo_u32 v1, s10, v2
	v_mul_hi_u32 v1, v2, v1
	v_add_u32_e32 v4, v2, v1
	v_mad_u64_u32 v[8:9], s[0:1], v0, v4, 0
	s_mov_b64 s[0:1], 0
.LBB66_7:                               ; =>This Inner Loop Header: Depth=1
	global_load_dwordx2 v[10:11], v[6:7], off
	v_mul_lo_u32 v1, s8, v9
	v_not_b32_e32 v2, v9
	v_sub_u32_e32 v1, v0, v1
	v_add_u32_e32 v14, 1, v9
	v_mad_u64_u32 v[12:13], s[6:7], s8, v2, v[0:1]
	v_cmp_le_u32_e32 vcc, s8, v1
	v_lshl_add_u64 v[6:7], v[6:7], 0, 8
	s_nop 0
	v_cndmask_b32_e32 v2, v9, v14, vcc
	v_cndmask_b32_e32 v1, v1, v12, vcc
	v_add_u32_e32 v12, 1, v2
	v_cmp_le_u32_e32 vcc, s8, v1
	v_lshl_add_u64 v[8:9], v[8:9], 0, v[4:5]
	s_nop 0
	v_cndmask_b32_e32 v1, v2, v12, vcc
	v_mad_u64_u32 v[12:13], s[6:7], s10, v1, v[0:1]
	v_mul_lo_u32 v1, v1, s4
	v_add_u32_e32 v0, 1, v0
	v_mul_lo_u32 v2, v12, s5
	v_cmp_le_u32_e32 vcc, s16, v0
	v_add3_u32 v2, v2, v1, s9
	s_or_b64 s[0:1], vcc, s[0:1]
	v_lshl_add_u64 v[12:13], v[2:3], 3, s[2:3]
	s_waitcnt vmcnt(0)
	global_store_dwordx2 v[12:13], v[10:11], off
	s_andn2_b64 exec, exec, s[0:1]
	s_cbranch_execnz .LBB66_7
.LBB66_8:
	s_endpgm
	.section	.rodata,"a",@progbits
	.p2align	6, 0x0
	.amdhsa_kernel _ZN2at6native12_GLOBAL__N_135CatArrayBatchedCopy_alignedK_contigINS1_10OpaqueTypeILj8EEEjLi2ELi128ELi1ELi16EEEvPT_NS1_25CatArrInputTensorMetadataIS5_T0_XT2_EXT3_EEENS1_16TensorSizeStrideIS8_Lj4EEEiS8_
		.amdhsa_group_segment_fixed_size 0
		.amdhsa_private_segment_fixed_size 0
		.amdhsa_kernarg_size 3024
		.amdhsa_user_sgpr_count 2
		.amdhsa_user_sgpr_dispatch_ptr 0
		.amdhsa_user_sgpr_queue_ptr 0
		.amdhsa_user_sgpr_kernarg_segment_ptr 1
		.amdhsa_user_sgpr_dispatch_id 0
		.amdhsa_user_sgpr_kernarg_preload_length 0
		.amdhsa_user_sgpr_kernarg_preload_offset 0
		.amdhsa_user_sgpr_private_segment_size 0
		.amdhsa_uses_dynamic_stack 0
		.amdhsa_enable_private_segment 0
		.amdhsa_system_sgpr_workgroup_id_x 1
		.amdhsa_system_sgpr_workgroup_id_y 1
		.amdhsa_system_sgpr_workgroup_id_z 0
		.amdhsa_system_sgpr_workgroup_info 0
		.amdhsa_system_vgpr_workitem_id 0
		.amdhsa_next_free_vgpr 21
		.amdhsa_next_free_sgpr 22
		.amdhsa_accum_offset 24
		.amdhsa_reserve_vcc 1
		.amdhsa_float_round_mode_32 0
		.amdhsa_float_round_mode_16_64 0
		.amdhsa_float_denorm_mode_32 3
		.amdhsa_float_denorm_mode_16_64 3
		.amdhsa_dx10_clamp 1
		.amdhsa_ieee_mode 1
		.amdhsa_fp16_overflow 0
		.amdhsa_tg_split 0
		.amdhsa_exception_fp_ieee_invalid_op 0
		.amdhsa_exception_fp_denorm_src 0
		.amdhsa_exception_fp_ieee_div_zero 0
		.amdhsa_exception_fp_ieee_overflow 0
		.amdhsa_exception_fp_ieee_underflow 0
		.amdhsa_exception_fp_ieee_inexact 0
		.amdhsa_exception_int_div_zero 0
	.end_amdhsa_kernel
	.section	.text._ZN2at6native12_GLOBAL__N_135CatArrayBatchedCopy_alignedK_contigINS1_10OpaqueTypeILj8EEEjLi2ELi128ELi1ELi16EEEvPT_NS1_25CatArrInputTensorMetadataIS5_T0_XT2_EXT3_EEENS1_16TensorSizeStrideIS8_Lj4EEEiS8_,"axG",@progbits,_ZN2at6native12_GLOBAL__N_135CatArrayBatchedCopy_alignedK_contigINS1_10OpaqueTypeILj8EEEjLi2ELi128ELi1ELi16EEEvPT_NS1_25CatArrInputTensorMetadataIS5_T0_XT2_EXT3_EEENS1_16TensorSizeStrideIS8_Lj4EEEiS8_,comdat
.Lfunc_end66:
	.size	_ZN2at6native12_GLOBAL__N_135CatArrayBatchedCopy_alignedK_contigINS1_10OpaqueTypeILj8EEEjLi2ELi128ELi1ELi16EEEvPT_NS1_25CatArrInputTensorMetadataIS5_T0_XT2_EXT3_EEENS1_16TensorSizeStrideIS8_Lj4EEEiS8_, .Lfunc_end66-_ZN2at6native12_GLOBAL__N_135CatArrayBatchedCopy_alignedK_contigINS1_10OpaqueTypeILj8EEEjLi2ELi128ELi1ELi16EEEvPT_NS1_25CatArrInputTensorMetadataIS5_T0_XT2_EXT3_EEENS1_16TensorSizeStrideIS8_Lj4EEEiS8_
                                        ; -- End function
	.set _ZN2at6native12_GLOBAL__N_135CatArrayBatchedCopy_alignedK_contigINS1_10OpaqueTypeILj8EEEjLi2ELi128ELi1ELi16EEEvPT_NS1_25CatArrInputTensorMetadataIS5_T0_XT2_EXT3_EEENS1_16TensorSizeStrideIS8_Lj4EEEiS8_.num_vgpr, 21
	.set _ZN2at6native12_GLOBAL__N_135CatArrayBatchedCopy_alignedK_contigINS1_10OpaqueTypeILj8EEEjLi2ELi128ELi1ELi16EEEvPT_NS1_25CatArrInputTensorMetadataIS5_T0_XT2_EXT3_EEENS1_16TensorSizeStrideIS8_Lj4EEEiS8_.num_agpr, 0
	.set _ZN2at6native12_GLOBAL__N_135CatArrayBatchedCopy_alignedK_contigINS1_10OpaqueTypeILj8EEEjLi2ELi128ELi1ELi16EEEvPT_NS1_25CatArrInputTensorMetadataIS5_T0_XT2_EXT3_EEENS1_16TensorSizeStrideIS8_Lj4EEEiS8_.numbered_sgpr, 22
	.set _ZN2at6native12_GLOBAL__N_135CatArrayBatchedCopy_alignedK_contigINS1_10OpaqueTypeILj8EEEjLi2ELi128ELi1ELi16EEEvPT_NS1_25CatArrInputTensorMetadataIS5_T0_XT2_EXT3_EEENS1_16TensorSizeStrideIS8_Lj4EEEiS8_.num_named_barrier, 0
	.set _ZN2at6native12_GLOBAL__N_135CatArrayBatchedCopy_alignedK_contigINS1_10OpaqueTypeILj8EEEjLi2ELi128ELi1ELi16EEEvPT_NS1_25CatArrInputTensorMetadataIS5_T0_XT2_EXT3_EEENS1_16TensorSizeStrideIS8_Lj4EEEiS8_.private_seg_size, 0
	.set _ZN2at6native12_GLOBAL__N_135CatArrayBatchedCopy_alignedK_contigINS1_10OpaqueTypeILj8EEEjLi2ELi128ELi1ELi16EEEvPT_NS1_25CatArrInputTensorMetadataIS5_T0_XT2_EXT3_EEENS1_16TensorSizeStrideIS8_Lj4EEEiS8_.uses_vcc, 1
	.set _ZN2at6native12_GLOBAL__N_135CatArrayBatchedCopy_alignedK_contigINS1_10OpaqueTypeILj8EEEjLi2ELi128ELi1ELi16EEEvPT_NS1_25CatArrInputTensorMetadataIS5_T0_XT2_EXT3_EEENS1_16TensorSizeStrideIS8_Lj4EEEiS8_.uses_flat_scratch, 0
	.set _ZN2at6native12_GLOBAL__N_135CatArrayBatchedCopy_alignedK_contigINS1_10OpaqueTypeILj8EEEjLi2ELi128ELi1ELi16EEEvPT_NS1_25CatArrInputTensorMetadataIS5_T0_XT2_EXT3_EEENS1_16TensorSizeStrideIS8_Lj4EEEiS8_.has_dyn_sized_stack, 0
	.set _ZN2at6native12_GLOBAL__N_135CatArrayBatchedCopy_alignedK_contigINS1_10OpaqueTypeILj8EEEjLi2ELi128ELi1ELi16EEEvPT_NS1_25CatArrInputTensorMetadataIS5_T0_XT2_EXT3_EEENS1_16TensorSizeStrideIS8_Lj4EEEiS8_.has_recursion, 0
	.set _ZN2at6native12_GLOBAL__N_135CatArrayBatchedCopy_alignedK_contigINS1_10OpaqueTypeILj8EEEjLi2ELi128ELi1ELi16EEEvPT_NS1_25CatArrInputTensorMetadataIS5_T0_XT2_EXT3_EEENS1_16TensorSizeStrideIS8_Lj4EEEiS8_.has_indirect_call, 0
	.section	.AMDGPU.csdata,"",@progbits
; Kernel info:
; codeLenInByte = 856
; TotalNumSgprs: 28
; NumVgprs: 21
; NumAgprs: 0
; TotalNumVgprs: 21
; ScratchSize: 0
; MemoryBound: 0
; FloatMode: 240
; IeeeMode: 1
; LDSByteSize: 0 bytes/workgroup (compile time only)
; SGPRBlocks: 3
; VGPRBlocks: 2
; NumSGPRsForWavesPerEU: 28
; NumVGPRsForWavesPerEU: 21
; AccumOffset: 24
; Occupancy: 8
; WaveLimiterHint : 1
; COMPUTE_PGM_RSRC2:SCRATCH_EN: 0
; COMPUTE_PGM_RSRC2:USER_SGPR: 2
; COMPUTE_PGM_RSRC2:TRAP_HANDLER: 0
; COMPUTE_PGM_RSRC2:TGID_X_EN: 1
; COMPUTE_PGM_RSRC2:TGID_Y_EN: 1
; COMPUTE_PGM_RSRC2:TGID_Z_EN: 0
; COMPUTE_PGM_RSRC2:TIDIG_COMP_CNT: 0
; COMPUTE_PGM_RSRC3_GFX90A:ACCUM_OFFSET: 5
; COMPUTE_PGM_RSRC3_GFX90A:TG_SPLIT: 0
	.section	.text._ZN2at6native12_GLOBAL__N_135CatArrayBatchedCopy_alignedK_contigINS1_10OpaqueTypeILj8EEEjLi2ELi128ELi1ELi8EEEvPT_NS1_25CatArrInputTensorMetadataIS5_T0_XT2_EXT3_EEENS1_16TensorSizeStrideIS8_Lj4EEEiS8_,"axG",@progbits,_ZN2at6native12_GLOBAL__N_135CatArrayBatchedCopy_alignedK_contigINS1_10OpaqueTypeILj8EEEjLi2ELi128ELi1ELi8EEEvPT_NS1_25CatArrInputTensorMetadataIS5_T0_XT2_EXT3_EEENS1_16TensorSizeStrideIS8_Lj4EEEiS8_,comdat
	.globl	_ZN2at6native12_GLOBAL__N_135CatArrayBatchedCopy_alignedK_contigINS1_10OpaqueTypeILj8EEEjLi2ELi128ELi1ELi8EEEvPT_NS1_25CatArrInputTensorMetadataIS5_T0_XT2_EXT3_EEENS1_16TensorSizeStrideIS8_Lj4EEEiS8_ ; -- Begin function _ZN2at6native12_GLOBAL__N_135CatArrayBatchedCopy_alignedK_contigINS1_10OpaqueTypeILj8EEEjLi2ELi128ELi1ELi8EEEvPT_NS1_25CatArrInputTensorMetadataIS5_T0_XT2_EXT3_EEENS1_16TensorSizeStrideIS8_Lj4EEEiS8_
	.p2align	8
	.type	_ZN2at6native12_GLOBAL__N_135CatArrayBatchedCopy_alignedK_contigINS1_10OpaqueTypeILj8EEEjLi2ELi128ELi1ELi8EEEvPT_NS1_25CatArrInputTensorMetadataIS5_T0_XT2_EXT3_EEENS1_16TensorSizeStrideIS8_Lj4EEEiS8_,@function
_ZN2at6native12_GLOBAL__N_135CatArrayBatchedCopy_alignedK_contigINS1_10OpaqueTypeILj8EEEjLi2ELi128ELi1ELi8EEEvPT_NS1_25CatArrInputTensorMetadataIS5_T0_XT2_EXT3_EEENS1_16TensorSizeStrideIS8_Lj4EEEiS8_: ; @_ZN2at6native12_GLOBAL__N_135CatArrayBatchedCopy_alignedK_contigINS1_10OpaqueTypeILj8EEEjLi2ELi128ELi1ELi8EEEvPT_NS1_25CatArrInputTensorMetadataIS5_T0_XT2_EXT3_EEENS1_16TensorSizeStrideIS8_Lj4EEEiS8_
; %bb.0:
	s_mov_b32 s4, s3
	s_load_dword s3, s[0:1], 0xadc
	s_add_u32 s8, s0, 0xad0
	s_mov_b32 s5, 0
	s_addc_u32 s9, s1, 0
	s_lshl_b64 s[4:5], s[4:5], 2
	s_waitcnt lgkmcnt(0)
	s_and_b32 s12, s3, 0xffff
	s_add_u32 s6, s0, s4
	s_addc_u32 s7, s1, s5
	s_load_dword s10, s[6:7], 0x808
	s_mul_i32 s2, s2, s12
	v_add_u32_e32 v2, s2, v0
	s_add_u32 s2, s6, 8
	s_addc_u32 s3, s7, 0
	s_waitcnt lgkmcnt(0)
	v_cmp_gt_u32_e32 vcc, s10, v2
	s_and_saveexec_b64 s[6:7], vcc
	s_cbranch_execz .LBB67_6
; %bb.1:
	s_add_u32 s14, s2, s4
	s_addc_u32 s15, s3, s5
	s_sub_u32 s2, 0, s4
	s_subb_u32 s3, 0, s5
	s_add_u32 s16, s14, s2
	s_addc_u32 s17, s15, s3
	s_load_dword s4, s[16:17], 0x600
	s_load_dwordx2 s[18:19], s[0:1], 0xac8
	s_load_dword s5, s[0:1], 0xaac
	s_load_dwordx2 s[2:3], s[0:1], 0xab8
	v_mov_b32_e32 v5, 0
	v_add_u32_e32 v3, 1, v2
	s_waitcnt lgkmcnt(0)
	s_cmp_eq_u32 s18, 1
	s_cselect_b32 s11, s4, s5
	v_cvt_f32_u32_e32 v0, s11
	s_load_dwordx2 s[4:5], s[0:1], 0x0
	s_load_dwordx2 s[6:7], s[14:15], 0x0
	s_load_dword s13, s[16:17], 0x400
	s_mov_b64 s[0:1], 0
	s_load_dword s8, s[8:9], 0x0
	v_rcp_iflag_f32_e32 v0, v0
	s_sub_i32 s9, 0, s11
	s_waitcnt lgkmcnt(0)
	s_mul_i32 s12, s8, s12
	v_mul_f32_e32 v0, 0x4f7ffffe, v0
	v_cvt_u32_f32_e32 v0, v0
	s_mul_i32 s8, s13, s19
	v_mul_lo_u32 v1, s9, v0
	v_mul_hi_u32 v1, v0, v1
	v_add_u32_e32 v0, v0, v1
	v_mov_b32_e32 v1, v5
.LBB67_2:                               ; =>This Inner Loop Header: Depth=1
	v_add_u32_e32 v4, -1, v3
	v_lshl_add_u64 v[6:7], v[4:5], 3, s[6:7]
	global_load_dwordx2 v[6:7], v[6:7], off
	v_mul_hi_u32 v8, v0, v2
	v_add_u32_e32 v3, s12, v3
	v_mul_lo_u32 v9, s11, v8
	v_not_b32_e32 v8, v8
	v_mul_hi_u32 v10, v4, v0
	v_cmp_lt_u32_e32 vcc, s10, v3
	v_sub_u32_e32 v11, v2, v9
	v_mad_u64_u32 v[8:9], s[14:15], s11, v8, v[2:3]
	v_add_u32_e32 v9, 1, v10
	s_or_b64 s[0:1], vcc, s[0:1]
	v_cmp_le_u32_e32 vcc, s11, v11
	v_add_u32_e32 v2, s12, v2
	s_nop 0
	v_cndmask_b32_e32 v9, v10, v9, vcc
	v_cndmask_b32_e32 v8, v11, v8, vcc
	v_add_u32_e32 v10, 1, v9
	v_cmp_le_u32_e32 vcc, s11, v8
	s_nop 1
	v_cndmask_b32_e32 v10, v9, v10, vcc
	v_mad_u64_u32 v[8:9], s[14:15], s9, v10, v[4:5]
	v_mul_lo_u32 v4, v10, s2
	v_mul_lo_u32 v8, v8, s3
	v_add3_u32 v4, v8, v4, s8
	v_lshl_add_u64 v[8:9], v[4:5], 3, s[4:5]
	s_waitcnt vmcnt(0)
	global_store_dwordx2 v[8:9], v[6:7], off
	s_andn2_b64 exec, exec, s[0:1]
	s_cbranch_execnz .LBB67_2
; %bb.3:
	s_or_b64 exec, exec, s[0:1]
	v_add_u32_e32 v2, -1, v3
	v_cmp_gt_u32_e32 vcc, s10, v2
	s_and_b64 exec, exec, vcc
	s_cbranch_execz .LBB67_6
; %bb.4:
	v_mov_b32_e32 v5, 0
	v_mov_b32_e32 v3, v5
	v_mad_u64_u32 v[6:7], s[0:1], v0, v2, 0
	v_lshl_add_u64 v[8:9], v[2:3], 3, s[6:7]
	s_mov_b64 s[0:1], 0
.LBB67_5:                               ; =>This Inner Loop Header: Depth=1
	global_load_dwordx2 v[10:11], v[8:9], off
	v_not_b32_e32 v3, v7
	v_mul_lo_u32 v4, s11, v7
	v_mad_u64_u32 v[12:13], s[6:7], s11, v3, v[2:3]
	v_sub_u32_e32 v3, v2, v4
	v_add_u32_e32 v14, 1, v7
	v_cmp_le_u32_e32 vcc, s11, v3
	v_lshl_add_u64 v[8:9], v[8:9], 0, 8
	s_nop 0
	v_cndmask_b32_e32 v4, v7, v14, vcc
	v_cndmask_b32_e32 v3, v3, v12, vcc
	v_add_u32_e32 v12, 1, v4
	v_cmp_le_u32_e32 vcc, s11, v3
	v_lshl_add_u64 v[6:7], v[6:7], 0, v[0:1]
	s_nop 0
	v_cndmask_b32_e32 v3, v4, v12, vcc
	v_mad_u64_u32 v[12:13], s[6:7], s9, v3, v[2:3]
	v_mul_lo_u32 v3, v3, s2
	v_add_u32_e32 v2, 1, v2
	v_mul_lo_u32 v4, v12, s3
	v_cmp_le_u32_e32 vcc, s10, v2
	v_add3_u32 v4, v3, s8, v4
	s_or_b64 s[0:1], vcc, s[0:1]
	v_lshl_add_u64 v[12:13], v[4:5], 3, s[4:5]
	s_waitcnt vmcnt(0)
	global_store_dwordx2 v[12:13], v[10:11], off
	s_andn2_b64 exec, exec, s[0:1]
	s_cbranch_execnz .LBB67_5
.LBB67_6:
	s_endpgm
	.section	.rodata,"a",@progbits
	.p2align	6, 0x0
	.amdhsa_kernel _ZN2at6native12_GLOBAL__N_135CatArrayBatchedCopy_alignedK_contigINS1_10OpaqueTypeILj8EEEjLi2ELi128ELi1ELi8EEEvPT_NS1_25CatArrInputTensorMetadataIS5_T0_XT2_EXT3_EEENS1_16TensorSizeStrideIS8_Lj4EEEiS8_
		.amdhsa_group_segment_fixed_size 0
		.amdhsa_private_segment_fixed_size 0
		.amdhsa_kernarg_size 3024
		.amdhsa_user_sgpr_count 2
		.amdhsa_user_sgpr_dispatch_ptr 0
		.amdhsa_user_sgpr_queue_ptr 0
		.amdhsa_user_sgpr_kernarg_segment_ptr 1
		.amdhsa_user_sgpr_dispatch_id 0
		.amdhsa_user_sgpr_kernarg_preload_length 0
		.amdhsa_user_sgpr_kernarg_preload_offset 0
		.amdhsa_user_sgpr_private_segment_size 0
		.amdhsa_uses_dynamic_stack 0
		.amdhsa_enable_private_segment 0
		.amdhsa_system_sgpr_workgroup_id_x 1
		.amdhsa_system_sgpr_workgroup_id_y 1
		.amdhsa_system_sgpr_workgroup_id_z 0
		.amdhsa_system_sgpr_workgroup_info 0
		.amdhsa_system_vgpr_workitem_id 0
		.amdhsa_next_free_vgpr 15
		.amdhsa_next_free_sgpr 20
		.amdhsa_accum_offset 16
		.amdhsa_reserve_vcc 1
		.amdhsa_float_round_mode_32 0
		.amdhsa_float_round_mode_16_64 0
		.amdhsa_float_denorm_mode_32 3
		.amdhsa_float_denorm_mode_16_64 3
		.amdhsa_dx10_clamp 1
		.amdhsa_ieee_mode 1
		.amdhsa_fp16_overflow 0
		.amdhsa_tg_split 0
		.amdhsa_exception_fp_ieee_invalid_op 0
		.amdhsa_exception_fp_denorm_src 0
		.amdhsa_exception_fp_ieee_div_zero 0
		.amdhsa_exception_fp_ieee_overflow 0
		.amdhsa_exception_fp_ieee_underflow 0
		.amdhsa_exception_fp_ieee_inexact 0
		.amdhsa_exception_int_div_zero 0
	.end_amdhsa_kernel
	.section	.text._ZN2at6native12_GLOBAL__N_135CatArrayBatchedCopy_alignedK_contigINS1_10OpaqueTypeILj8EEEjLi2ELi128ELi1ELi8EEEvPT_NS1_25CatArrInputTensorMetadataIS5_T0_XT2_EXT3_EEENS1_16TensorSizeStrideIS8_Lj4EEEiS8_,"axG",@progbits,_ZN2at6native12_GLOBAL__N_135CatArrayBatchedCopy_alignedK_contigINS1_10OpaqueTypeILj8EEEjLi2ELi128ELi1ELi8EEEvPT_NS1_25CatArrInputTensorMetadataIS5_T0_XT2_EXT3_EEENS1_16TensorSizeStrideIS8_Lj4EEEiS8_,comdat
.Lfunc_end67:
	.size	_ZN2at6native12_GLOBAL__N_135CatArrayBatchedCopy_alignedK_contigINS1_10OpaqueTypeILj8EEEjLi2ELi128ELi1ELi8EEEvPT_NS1_25CatArrInputTensorMetadataIS5_T0_XT2_EXT3_EEENS1_16TensorSizeStrideIS8_Lj4EEEiS8_, .Lfunc_end67-_ZN2at6native12_GLOBAL__N_135CatArrayBatchedCopy_alignedK_contigINS1_10OpaqueTypeILj8EEEjLi2ELi128ELi1ELi8EEEvPT_NS1_25CatArrInputTensorMetadataIS5_T0_XT2_EXT3_EEENS1_16TensorSizeStrideIS8_Lj4EEEiS8_
                                        ; -- End function
	.set _ZN2at6native12_GLOBAL__N_135CatArrayBatchedCopy_alignedK_contigINS1_10OpaqueTypeILj8EEEjLi2ELi128ELi1ELi8EEEvPT_NS1_25CatArrInputTensorMetadataIS5_T0_XT2_EXT3_EEENS1_16TensorSizeStrideIS8_Lj4EEEiS8_.num_vgpr, 15
	.set _ZN2at6native12_GLOBAL__N_135CatArrayBatchedCopy_alignedK_contigINS1_10OpaqueTypeILj8EEEjLi2ELi128ELi1ELi8EEEvPT_NS1_25CatArrInputTensorMetadataIS5_T0_XT2_EXT3_EEENS1_16TensorSizeStrideIS8_Lj4EEEiS8_.num_agpr, 0
	.set _ZN2at6native12_GLOBAL__N_135CatArrayBatchedCopy_alignedK_contigINS1_10OpaqueTypeILj8EEEjLi2ELi128ELi1ELi8EEEvPT_NS1_25CatArrInputTensorMetadataIS5_T0_XT2_EXT3_EEENS1_16TensorSizeStrideIS8_Lj4EEEiS8_.numbered_sgpr, 20
	.set _ZN2at6native12_GLOBAL__N_135CatArrayBatchedCopy_alignedK_contigINS1_10OpaqueTypeILj8EEEjLi2ELi128ELi1ELi8EEEvPT_NS1_25CatArrInputTensorMetadataIS5_T0_XT2_EXT3_EEENS1_16TensorSizeStrideIS8_Lj4EEEiS8_.num_named_barrier, 0
	.set _ZN2at6native12_GLOBAL__N_135CatArrayBatchedCopy_alignedK_contigINS1_10OpaqueTypeILj8EEEjLi2ELi128ELi1ELi8EEEvPT_NS1_25CatArrInputTensorMetadataIS5_T0_XT2_EXT3_EEENS1_16TensorSizeStrideIS8_Lj4EEEiS8_.private_seg_size, 0
	.set _ZN2at6native12_GLOBAL__N_135CatArrayBatchedCopy_alignedK_contigINS1_10OpaqueTypeILj8EEEjLi2ELi128ELi1ELi8EEEvPT_NS1_25CatArrInputTensorMetadataIS5_T0_XT2_EXT3_EEENS1_16TensorSizeStrideIS8_Lj4EEEiS8_.uses_vcc, 1
	.set _ZN2at6native12_GLOBAL__N_135CatArrayBatchedCopy_alignedK_contigINS1_10OpaqueTypeILj8EEEjLi2ELi128ELi1ELi8EEEvPT_NS1_25CatArrInputTensorMetadataIS5_T0_XT2_EXT3_EEENS1_16TensorSizeStrideIS8_Lj4EEEiS8_.uses_flat_scratch, 0
	.set _ZN2at6native12_GLOBAL__N_135CatArrayBatchedCopy_alignedK_contigINS1_10OpaqueTypeILj8EEEjLi2ELi128ELi1ELi8EEEvPT_NS1_25CatArrInputTensorMetadataIS5_T0_XT2_EXT3_EEENS1_16TensorSizeStrideIS8_Lj4EEEiS8_.has_dyn_sized_stack, 0
	.set _ZN2at6native12_GLOBAL__N_135CatArrayBatchedCopy_alignedK_contigINS1_10OpaqueTypeILj8EEEjLi2ELi128ELi1ELi8EEEvPT_NS1_25CatArrInputTensorMetadataIS5_T0_XT2_EXT3_EEENS1_16TensorSizeStrideIS8_Lj4EEEiS8_.has_recursion, 0
	.set _ZN2at6native12_GLOBAL__N_135CatArrayBatchedCopy_alignedK_contigINS1_10OpaqueTypeILj8EEEjLi2ELi128ELi1ELi8EEEvPT_NS1_25CatArrInputTensorMetadataIS5_T0_XT2_EXT3_EEENS1_16TensorSizeStrideIS8_Lj4EEEiS8_.has_indirect_call, 0
	.section	.AMDGPU.csdata,"",@progbits
; Kernel info:
; codeLenInByte = 644
; TotalNumSgprs: 26
; NumVgprs: 15
; NumAgprs: 0
; TotalNumVgprs: 15
; ScratchSize: 0
; MemoryBound: 0
; FloatMode: 240
; IeeeMode: 1
; LDSByteSize: 0 bytes/workgroup (compile time only)
; SGPRBlocks: 3
; VGPRBlocks: 1
; NumSGPRsForWavesPerEU: 26
; NumVGPRsForWavesPerEU: 15
; AccumOffset: 16
; Occupancy: 8
; WaveLimiterHint : 1
; COMPUTE_PGM_RSRC2:SCRATCH_EN: 0
; COMPUTE_PGM_RSRC2:USER_SGPR: 2
; COMPUTE_PGM_RSRC2:TRAP_HANDLER: 0
; COMPUTE_PGM_RSRC2:TGID_X_EN: 1
; COMPUTE_PGM_RSRC2:TGID_Y_EN: 1
; COMPUTE_PGM_RSRC2:TGID_Z_EN: 0
; COMPUTE_PGM_RSRC2:TIDIG_COMP_CNT: 0
; COMPUTE_PGM_RSRC3_GFX90A:ACCUM_OFFSET: 3
; COMPUTE_PGM_RSRC3_GFX90A:TG_SPLIT: 0
	.section	.text._ZN2at6native12_GLOBAL__N_126CatArrayBatchedCopy_contigINS1_10OpaqueTypeILj8EEEjLi2ELi128ELi1EEEvPT_NS1_25CatArrInputTensorMetadataIS5_T0_XT2_EXT3_EEENS1_16TensorSizeStrideIS8_Lj4EEEiS8_,"axG",@progbits,_ZN2at6native12_GLOBAL__N_126CatArrayBatchedCopy_contigINS1_10OpaqueTypeILj8EEEjLi2ELi128ELi1EEEvPT_NS1_25CatArrInputTensorMetadataIS5_T0_XT2_EXT3_EEENS1_16TensorSizeStrideIS8_Lj4EEEiS8_,comdat
	.globl	_ZN2at6native12_GLOBAL__N_126CatArrayBatchedCopy_contigINS1_10OpaqueTypeILj8EEEjLi2ELi128ELi1EEEvPT_NS1_25CatArrInputTensorMetadataIS5_T0_XT2_EXT3_EEENS1_16TensorSizeStrideIS8_Lj4EEEiS8_ ; -- Begin function _ZN2at6native12_GLOBAL__N_126CatArrayBatchedCopy_contigINS1_10OpaqueTypeILj8EEEjLi2ELi128ELi1EEEvPT_NS1_25CatArrInputTensorMetadataIS5_T0_XT2_EXT3_EEENS1_16TensorSizeStrideIS8_Lj4EEEiS8_
	.p2align	8
	.type	_ZN2at6native12_GLOBAL__N_126CatArrayBatchedCopy_contigINS1_10OpaqueTypeILj8EEEjLi2ELi128ELi1EEEvPT_NS1_25CatArrInputTensorMetadataIS5_T0_XT2_EXT3_EEENS1_16TensorSizeStrideIS8_Lj4EEEiS8_,@function
_ZN2at6native12_GLOBAL__N_126CatArrayBatchedCopy_contigINS1_10OpaqueTypeILj8EEEjLi2ELi128ELi1EEEvPT_NS1_25CatArrInputTensorMetadataIS5_T0_XT2_EXT3_EEENS1_16TensorSizeStrideIS8_Lj4EEEiS8_: ; @_ZN2at6native12_GLOBAL__N_126CatArrayBatchedCopy_contigINS1_10OpaqueTypeILj8EEEjLi2ELi128ELi1EEEvPT_NS1_25CatArrInputTensorMetadataIS5_T0_XT2_EXT3_EEENS1_16TensorSizeStrideIS8_Lj4EEEiS8_
; %bb.0:
	s_mov_b32 s4, s3
	s_load_dword s3, s[0:1], 0xadc
	s_add_u32 s6, s0, 0xad0
	s_mov_b32 s5, 0
	s_addc_u32 s7, s1, 0
	s_lshl_b64 s[4:5], s[4:5], 2
	s_waitcnt lgkmcnt(0)
	s_and_b32 s10, s3, 0xffff
	s_add_u32 s12, s0, s4
	s_addc_u32 s13, s1, s5
	s_load_dword s8, s[12:13], 0x808
	s_mul_i32 s2, s2, s10
	v_add_u32_e32 v0, s2, v0
	s_add_u32 s2, s12, 8
	s_addc_u32 s3, s13, 0
	s_waitcnt lgkmcnt(0)
	v_cmp_gt_u32_e32 vcc, s8, v0
	s_and_saveexec_b64 s[12:13], vcc
	s_cbranch_execz .LBB68_3
; %bb.1:
	s_add_u32 s12, s2, s4
	s_addc_u32 s13, s3, s5
	s_sub_u32 s2, 0, s4
	s_subb_u32 s3, 0, s5
	s_add_u32 s14, s12, s2
	s_addc_u32 s15, s13, s3
	s_load_dword s4, s[14:15], 0x600
	s_load_dwordx2 s[16:17], s[0:1], 0xac8
	s_load_dword s5, s[0:1], 0xaac
	s_load_dwordx2 s[2:3], s[0:1], 0xab8
	s_waitcnt lgkmcnt(0)
	s_cmp_eq_u32 s16, 1
	s_cselect_b32 s9, s4, s5
	v_cvt_f32_u32_e32 v1, s9
	s_load_dwordx2 s[4:5], s[0:1], 0x0
	s_load_dword s11, s[6:7], 0x0
	s_nop 0
	s_load_dwordx2 s[0:1], s[12:13], 0x0
	s_load_dword s16, s[14:15], 0x400
	s_sub_i32 s12, 0, s9
	v_rcp_iflag_f32_e32 v1, v1
	s_mov_b64 s[6:7], 0
	s_waitcnt lgkmcnt(0)
	s_mul_i32 s10, s11, s10
	s_mul_i32 s11, s16, s17
	v_mul_f32_e32 v1, 0x4f7ffffe, v1
	v_cvt_u32_f32_e32 v1, v1
	v_mul_lo_u32 v2, s12, v1
	v_mul_hi_u32 v2, v1, v2
	v_add_u32_e32 v2, v1, v2
	v_mov_b32_e32 v1, 0
.LBB68_2:                               ; =>This Inner Loop Header: Depth=1
	v_lshl_add_u64 v[4:5], v[0:1], 3, s[0:1]
	global_load_dwordx2 v[4:5], v[4:5], off
	v_mul_hi_u32 v3, v2, v0
	v_mul_lo_u32 v6, s9, v3
	v_not_b32_e32 v8, v3
	v_sub_u32_e32 v6, v0, v6
	v_add_u32_e32 v10, 1, v3
	v_mad_u64_u32 v[8:9], s[14:15], s9, v8, v[0:1]
	v_cmp_le_u32_e32 vcc, s9, v6
	v_mov_b32_e32 v7, v1
	s_nop 0
	v_cndmask_b32_e32 v3, v3, v10, vcc
	v_cndmask_b32_e32 v6, v6, v8, vcc
	v_add_u32_e32 v8, 1, v3
	v_cmp_le_u32_e32 vcc, s9, v6
	s_nop 1
	v_cndmask_b32_e32 v3, v3, v8, vcc
	v_mad_u64_u32 v[8:9], s[14:15], s12, v3, v[0:1]
	v_mul_lo_u32 v3, v3, s2
	v_add_u32_e32 v0, s10, v0
	v_mul_lo_u32 v6, v8, s3
	v_cmp_le_u32_e32 vcc, s8, v0
	v_add3_u32 v6, v3, s11, v6
	s_or_b64 s[6:7], vcc, s[6:7]
	v_lshl_add_u64 v[6:7], v[6:7], 3, s[4:5]
	s_waitcnt vmcnt(0)
	global_store_dwordx2 v[6:7], v[4:5], off
	s_andn2_b64 exec, exec, s[6:7]
	s_cbranch_execnz .LBB68_2
.LBB68_3:
	s_endpgm
	.section	.rodata,"a",@progbits
	.p2align	6, 0x0
	.amdhsa_kernel _ZN2at6native12_GLOBAL__N_126CatArrayBatchedCopy_contigINS1_10OpaqueTypeILj8EEEjLi2ELi128ELi1EEEvPT_NS1_25CatArrInputTensorMetadataIS5_T0_XT2_EXT3_EEENS1_16TensorSizeStrideIS8_Lj4EEEiS8_
		.amdhsa_group_segment_fixed_size 0
		.amdhsa_private_segment_fixed_size 0
		.amdhsa_kernarg_size 3024
		.amdhsa_user_sgpr_count 2
		.amdhsa_user_sgpr_dispatch_ptr 0
		.amdhsa_user_sgpr_queue_ptr 0
		.amdhsa_user_sgpr_kernarg_segment_ptr 1
		.amdhsa_user_sgpr_dispatch_id 0
		.amdhsa_user_sgpr_kernarg_preload_length 0
		.amdhsa_user_sgpr_kernarg_preload_offset 0
		.amdhsa_user_sgpr_private_segment_size 0
		.amdhsa_uses_dynamic_stack 0
		.amdhsa_enable_private_segment 0
		.amdhsa_system_sgpr_workgroup_id_x 1
		.amdhsa_system_sgpr_workgroup_id_y 1
		.amdhsa_system_sgpr_workgroup_id_z 0
		.amdhsa_system_sgpr_workgroup_info 0
		.amdhsa_system_vgpr_workitem_id 0
		.amdhsa_next_free_vgpr 11
		.amdhsa_next_free_sgpr 18
		.amdhsa_accum_offset 12
		.amdhsa_reserve_vcc 1
		.amdhsa_float_round_mode_32 0
		.amdhsa_float_round_mode_16_64 0
		.amdhsa_float_denorm_mode_32 3
		.amdhsa_float_denorm_mode_16_64 3
		.amdhsa_dx10_clamp 1
		.amdhsa_ieee_mode 1
		.amdhsa_fp16_overflow 0
		.amdhsa_tg_split 0
		.amdhsa_exception_fp_ieee_invalid_op 0
		.amdhsa_exception_fp_denorm_src 0
		.amdhsa_exception_fp_ieee_div_zero 0
		.amdhsa_exception_fp_ieee_overflow 0
		.amdhsa_exception_fp_ieee_underflow 0
		.amdhsa_exception_fp_ieee_inexact 0
		.amdhsa_exception_int_div_zero 0
	.end_amdhsa_kernel
	.section	.text._ZN2at6native12_GLOBAL__N_126CatArrayBatchedCopy_contigINS1_10OpaqueTypeILj8EEEjLi2ELi128ELi1EEEvPT_NS1_25CatArrInputTensorMetadataIS5_T0_XT2_EXT3_EEENS1_16TensorSizeStrideIS8_Lj4EEEiS8_,"axG",@progbits,_ZN2at6native12_GLOBAL__N_126CatArrayBatchedCopy_contigINS1_10OpaqueTypeILj8EEEjLi2ELi128ELi1EEEvPT_NS1_25CatArrInputTensorMetadataIS5_T0_XT2_EXT3_EEENS1_16TensorSizeStrideIS8_Lj4EEEiS8_,comdat
.Lfunc_end68:
	.size	_ZN2at6native12_GLOBAL__N_126CatArrayBatchedCopy_contigINS1_10OpaqueTypeILj8EEEjLi2ELi128ELi1EEEvPT_NS1_25CatArrInputTensorMetadataIS5_T0_XT2_EXT3_EEENS1_16TensorSizeStrideIS8_Lj4EEEiS8_, .Lfunc_end68-_ZN2at6native12_GLOBAL__N_126CatArrayBatchedCopy_contigINS1_10OpaqueTypeILj8EEEjLi2ELi128ELi1EEEvPT_NS1_25CatArrInputTensorMetadataIS5_T0_XT2_EXT3_EEENS1_16TensorSizeStrideIS8_Lj4EEEiS8_
                                        ; -- End function
	.set _ZN2at6native12_GLOBAL__N_126CatArrayBatchedCopy_contigINS1_10OpaqueTypeILj8EEEjLi2ELi128ELi1EEEvPT_NS1_25CatArrInputTensorMetadataIS5_T0_XT2_EXT3_EEENS1_16TensorSizeStrideIS8_Lj4EEEiS8_.num_vgpr, 11
	.set _ZN2at6native12_GLOBAL__N_126CatArrayBatchedCopy_contigINS1_10OpaqueTypeILj8EEEjLi2ELi128ELi1EEEvPT_NS1_25CatArrInputTensorMetadataIS5_T0_XT2_EXT3_EEENS1_16TensorSizeStrideIS8_Lj4EEEiS8_.num_agpr, 0
	.set _ZN2at6native12_GLOBAL__N_126CatArrayBatchedCopy_contigINS1_10OpaqueTypeILj8EEEjLi2ELi128ELi1EEEvPT_NS1_25CatArrInputTensorMetadataIS5_T0_XT2_EXT3_EEENS1_16TensorSizeStrideIS8_Lj4EEEiS8_.numbered_sgpr, 18
	.set _ZN2at6native12_GLOBAL__N_126CatArrayBatchedCopy_contigINS1_10OpaqueTypeILj8EEEjLi2ELi128ELi1EEEvPT_NS1_25CatArrInputTensorMetadataIS5_T0_XT2_EXT3_EEENS1_16TensorSizeStrideIS8_Lj4EEEiS8_.num_named_barrier, 0
	.set _ZN2at6native12_GLOBAL__N_126CatArrayBatchedCopy_contigINS1_10OpaqueTypeILj8EEEjLi2ELi128ELi1EEEvPT_NS1_25CatArrInputTensorMetadataIS5_T0_XT2_EXT3_EEENS1_16TensorSizeStrideIS8_Lj4EEEiS8_.private_seg_size, 0
	.set _ZN2at6native12_GLOBAL__N_126CatArrayBatchedCopy_contigINS1_10OpaqueTypeILj8EEEjLi2ELi128ELi1EEEvPT_NS1_25CatArrInputTensorMetadataIS5_T0_XT2_EXT3_EEENS1_16TensorSizeStrideIS8_Lj4EEEiS8_.uses_vcc, 1
	.set _ZN2at6native12_GLOBAL__N_126CatArrayBatchedCopy_contigINS1_10OpaqueTypeILj8EEEjLi2ELi128ELi1EEEvPT_NS1_25CatArrInputTensorMetadataIS5_T0_XT2_EXT3_EEENS1_16TensorSizeStrideIS8_Lj4EEEiS8_.uses_flat_scratch, 0
	.set _ZN2at6native12_GLOBAL__N_126CatArrayBatchedCopy_contigINS1_10OpaqueTypeILj8EEEjLi2ELi128ELi1EEEvPT_NS1_25CatArrInputTensorMetadataIS5_T0_XT2_EXT3_EEENS1_16TensorSizeStrideIS8_Lj4EEEiS8_.has_dyn_sized_stack, 0
	.set _ZN2at6native12_GLOBAL__N_126CatArrayBatchedCopy_contigINS1_10OpaqueTypeILj8EEEjLi2ELi128ELi1EEEvPT_NS1_25CatArrInputTensorMetadataIS5_T0_XT2_EXT3_EEENS1_16TensorSizeStrideIS8_Lj4EEEiS8_.has_recursion, 0
	.set _ZN2at6native12_GLOBAL__N_126CatArrayBatchedCopy_contigINS1_10OpaqueTypeILj8EEEjLi2ELi128ELi1EEEvPT_NS1_25CatArrInputTensorMetadataIS5_T0_XT2_EXT3_EEENS1_16TensorSizeStrideIS8_Lj4EEEiS8_.has_indirect_call, 0
	.section	.AMDGPU.csdata,"",@progbits
; Kernel info:
; codeLenInByte = 424
; TotalNumSgprs: 24
; NumVgprs: 11
; NumAgprs: 0
; TotalNumVgprs: 11
; ScratchSize: 0
; MemoryBound: 0
; FloatMode: 240
; IeeeMode: 1
; LDSByteSize: 0 bytes/workgroup (compile time only)
; SGPRBlocks: 2
; VGPRBlocks: 1
; NumSGPRsForWavesPerEU: 24
; NumVGPRsForWavesPerEU: 11
; AccumOffset: 12
; Occupancy: 8
; WaveLimiterHint : 1
; COMPUTE_PGM_RSRC2:SCRATCH_EN: 0
; COMPUTE_PGM_RSRC2:USER_SGPR: 2
; COMPUTE_PGM_RSRC2:TRAP_HANDLER: 0
; COMPUTE_PGM_RSRC2:TGID_X_EN: 1
; COMPUTE_PGM_RSRC2:TGID_Y_EN: 1
; COMPUTE_PGM_RSRC2:TGID_Z_EN: 0
; COMPUTE_PGM_RSRC2:TIDIG_COMP_CNT: 0
; COMPUTE_PGM_RSRC3_GFX90A:ACCUM_OFFSET: 2
; COMPUTE_PGM_RSRC3_GFX90A:TG_SPLIT: 0
	.section	.text._ZN2at6native12_GLOBAL__N_119CatArrayBatchedCopyINS1_10OpaqueTypeILj8EEEjLi2ELi128ELi1EEEvPT_NS1_25CatArrInputTensorMetadataIS5_T0_XT2_EXT3_EEENS1_16TensorSizeStrideIS8_Lj4EEEiS8_,"axG",@progbits,_ZN2at6native12_GLOBAL__N_119CatArrayBatchedCopyINS1_10OpaqueTypeILj8EEEjLi2ELi128ELi1EEEvPT_NS1_25CatArrInputTensorMetadataIS5_T0_XT2_EXT3_EEENS1_16TensorSizeStrideIS8_Lj4EEEiS8_,comdat
	.globl	_ZN2at6native12_GLOBAL__N_119CatArrayBatchedCopyINS1_10OpaqueTypeILj8EEEjLi2ELi128ELi1EEEvPT_NS1_25CatArrInputTensorMetadataIS5_T0_XT2_EXT3_EEENS1_16TensorSizeStrideIS8_Lj4EEEiS8_ ; -- Begin function _ZN2at6native12_GLOBAL__N_119CatArrayBatchedCopyINS1_10OpaqueTypeILj8EEEjLi2ELi128ELi1EEEvPT_NS1_25CatArrInputTensorMetadataIS5_T0_XT2_EXT3_EEENS1_16TensorSizeStrideIS8_Lj4EEEiS8_
	.p2align	8
	.type	_ZN2at6native12_GLOBAL__N_119CatArrayBatchedCopyINS1_10OpaqueTypeILj8EEEjLi2ELi128ELi1EEEvPT_NS1_25CatArrInputTensorMetadataIS5_T0_XT2_EXT3_EEENS1_16TensorSizeStrideIS8_Lj4EEEiS8_,@function
_ZN2at6native12_GLOBAL__N_119CatArrayBatchedCopyINS1_10OpaqueTypeILj8EEEjLi2ELi128ELi1EEEvPT_NS1_25CatArrInputTensorMetadataIS5_T0_XT2_EXT3_EEENS1_16TensorSizeStrideIS8_Lj4EEEiS8_: ; @_ZN2at6native12_GLOBAL__N_119CatArrayBatchedCopyINS1_10OpaqueTypeILj8EEEjLi2ELi128ELi1EEEvPT_NS1_25CatArrInputTensorMetadataIS5_T0_XT2_EXT3_EEENS1_16TensorSizeStrideIS8_Lj4EEEiS8_
; %bb.0:
	s_mov_b32 s6, s3
	s_load_dword s3, s[0:1], 0xadc
	s_or_b32 s10, s0, 8
	s_add_u32 s12, s0, 0xad0
	s_mov_b32 s7, 0
	s_addc_u32 s13, s1, 0
	s_waitcnt lgkmcnt(0)
	s_and_b32 s15, s3, 0xffff
	s_lshl_b64 s[8:9], s[6:7], 2
	s_add_u32 s4, s10, s8
	s_addc_u32 s5, s1, s9
	s_load_dword s14, s[4:5], 0x800
	s_mul_i32 s2, s2, s15
	v_add_u32_e32 v0, s2, v0
	s_waitcnt lgkmcnt(0)
	v_cmp_gt_u32_e32 vcc, s14, v0
	s_and_saveexec_b64 s[2:3], vcc
	s_cbranch_execz .LBB69_5
; %bb.1:
	s_add_u32 s16, s10, s6
	s_addc_u32 s17, s1, 0
	v_mov_b32_e32 v1, 0
	global_load_ubyte v2, v1, s[16:17] offset:2560
	s_mov_b32 s11, s1
	s_load_dwordx2 s[18:19], s[0:1], 0xac8
	s_load_dwordx2 s[2:3], s[0:1], 0x0
	;; [unrolled: 1-line block ×3, first 2 shown]
	s_load_dword s20, s[0:1], 0xa8c
	s_load_dword s21, s[0:1], 0xaac
	s_load_dword s22, s[12:13], 0x0
	s_mul_hi_u32 s7, s6, 7
	s_mul_i32 s6, s6, 7
	s_waitcnt lgkmcnt(0)
	s_mul_i32 s15, s22, s15
	s_waitcnt vmcnt(0)
	v_and_b32_e32 v2, 1, v2
	v_cmp_eq_u32_e32 vcc, 1, v2
	s_xor_b64 s[0:1], vcc, -1
	s_add_u32 s12, s16, s6
	s_addc_u32 s13, s17, s7
	s_sub_u32 s6, 0, s8
	s_subb_u32 s7, 0, s9
	s_add_u32 s16, s12, s6
	s_addc_u32 s17, s13, s7
	s_load_dword s23, s[16:17], 0x600
	s_load_dwordx2 s[6:7], s[10:11], 0xa90
	s_load_dwordx2 s[8:9], s[12:13], 0x0
	s_load_dword s24, s[16:17], 0x400
	s_cmp_eq_u32 s18, 1
	s_waitcnt lgkmcnt(0)
	s_cselect_b32 s12, s23, s21
	s_cselect_b32 s13, s23, s20
	v_cvt_f32_u32_e32 v2, s12
	v_cvt_f32_u32_e32 v3, s13
	s_sub_i32 s17, 0, s12
	s_sub_i32 s18, 0, s13
	v_rcp_iflag_f32_e32 v2, v2
	v_rcp_iflag_f32_e32 v3, v3
	v_cndmask_b32_e64 v6, 0, 1, s[0:1]
	s_mov_b64 s[10:11], 0
	v_mul_f32_e32 v2, 0x4f7ffffe, v2
	v_mul_f32_e32 v3, 0x4f7ffffe, v3
	v_cvt_u32_f32_e32 v2, v2
	v_cvt_u32_f32_e32 v3, v3
	s_mul_i32 s16, s24, s19
	v_cmp_ne_u32_e64 s[0:1], 1, v6
	v_mul_lo_u32 v4, s17, v2
	v_mul_lo_u32 v5, s18, v3
	v_mul_hi_u32 v4, v2, v4
	v_mul_hi_u32 v5, v3, v5
	v_add_u32_e32 v4, v2, v4
	v_add_u32_e32 v5, v3, v5
	s_branch .LBB69_3
.LBB69_2:                               ;   in Loop: Header=BB69_3 Depth=1
	v_lshl_add_u64 v[2:3], v[2:3], 3, s[8:9]
	global_load_dwordx2 v[2:3], v[2:3], off
	v_mul_hi_u32 v8, v4, v0
	v_mad_u64_u32 v[6:7], s[20:21], s17, v8, v[0:1]
	v_not_b32_e32 v9, v8
	v_add_u32_e32 v7, 1, v8
	v_cmp_le_u32_e32 vcc, s12, v6
	s_nop 1
	v_cndmask_b32_e32 v7, v8, v7, vcc
	v_mad_u64_u32 v[8:9], s[20:21], s12, v9, v[0:1]
	v_cndmask_b32_e32 v6, v6, v8, vcc
	v_add_u32_e32 v8, 1, v7
	v_cmp_le_u32_e32 vcc, s12, v6
	s_nop 1
	v_cndmask_b32_e32 v8, v7, v8, vcc
	v_mad_u64_u32 v[6:7], s[20:21], s17, v8, v[0:1]
	v_mul_lo_u32 v6, v6, s5
	v_mul_lo_u32 v7, v8, s4
	v_add_u32_e32 v0, s15, v0
	v_add3_u32 v6, v6, v7, s16
	v_mov_b32_e32 v7, v1
	v_cmp_le_u32_e32 vcc, s14, v0
	v_lshl_add_u64 v[6:7], v[6:7], 3, s[2:3]
	s_or_b64 s[10:11], vcc, s[10:11]
	s_waitcnt vmcnt(0)
	global_store_dwordx2 v[6:7], v[2:3], off
	s_andn2_b64 exec, exec, s[10:11]
	s_cbranch_execz .LBB69_5
.LBB69_3:                               ; =>This Inner Loop Header: Depth=1
	s_and_b64 vcc, exec, s[0:1]
	v_mov_b64_e32 v[2:3], v[0:1]
	s_cbranch_vccnz .LBB69_2
; %bb.4:                                ;   in Loop: Header=BB69_3 Depth=1
	v_mul_hi_u32 v6, v5, v0
	v_mad_u64_u32 v[2:3], s[20:21], s18, v6, v[0:1]
	v_not_b32_e32 v7, v6
	v_add_u32_e32 v3, 1, v6
	v_cmp_le_u32_e32 vcc, s13, v2
	s_nop 1
	v_cndmask_b32_e32 v3, v6, v3, vcc
	v_mad_u64_u32 v[6:7], s[20:21], s13, v7, v[0:1]
	v_cndmask_b32_e32 v2, v2, v6, vcc
	v_add_u32_e32 v6, 1, v3
	v_cmp_le_u32_e32 vcc, s13, v2
	s_nop 1
	v_cndmask_b32_e32 v6, v3, v6, vcc
	v_mad_u64_u32 v[2:3], s[20:21], s18, v6, v[0:1]
	v_mul_lo_u32 v6, v6, s6
	v_mad_u64_u32 v[2:3], s[20:21], v2, s7, v[6:7]
	v_mov_b32_e32 v3, v1
	s_branch .LBB69_2
.LBB69_5:
	s_endpgm
	.section	.rodata,"a",@progbits
	.p2align	6, 0x0
	.amdhsa_kernel _ZN2at6native12_GLOBAL__N_119CatArrayBatchedCopyINS1_10OpaqueTypeILj8EEEjLi2ELi128ELi1EEEvPT_NS1_25CatArrInputTensorMetadataIS5_T0_XT2_EXT3_EEENS1_16TensorSizeStrideIS8_Lj4EEEiS8_
		.amdhsa_group_segment_fixed_size 0
		.amdhsa_private_segment_fixed_size 0
		.amdhsa_kernarg_size 3024
		.amdhsa_user_sgpr_count 2
		.amdhsa_user_sgpr_dispatch_ptr 0
		.amdhsa_user_sgpr_queue_ptr 0
		.amdhsa_user_sgpr_kernarg_segment_ptr 1
		.amdhsa_user_sgpr_dispatch_id 0
		.amdhsa_user_sgpr_kernarg_preload_length 0
		.amdhsa_user_sgpr_kernarg_preload_offset 0
		.amdhsa_user_sgpr_private_segment_size 0
		.amdhsa_uses_dynamic_stack 0
		.amdhsa_enable_private_segment 0
		.amdhsa_system_sgpr_workgroup_id_x 1
		.amdhsa_system_sgpr_workgroup_id_y 1
		.amdhsa_system_sgpr_workgroup_id_z 0
		.amdhsa_system_sgpr_workgroup_info 0
		.amdhsa_system_vgpr_workitem_id 0
		.amdhsa_next_free_vgpr 10
		.amdhsa_next_free_sgpr 25
		.amdhsa_accum_offset 12
		.amdhsa_reserve_vcc 1
		.amdhsa_float_round_mode_32 0
		.amdhsa_float_round_mode_16_64 0
		.amdhsa_float_denorm_mode_32 3
		.amdhsa_float_denorm_mode_16_64 3
		.amdhsa_dx10_clamp 1
		.amdhsa_ieee_mode 1
		.amdhsa_fp16_overflow 0
		.amdhsa_tg_split 0
		.amdhsa_exception_fp_ieee_invalid_op 0
		.amdhsa_exception_fp_denorm_src 0
		.amdhsa_exception_fp_ieee_div_zero 0
		.amdhsa_exception_fp_ieee_overflow 0
		.amdhsa_exception_fp_ieee_underflow 0
		.amdhsa_exception_fp_ieee_inexact 0
		.amdhsa_exception_int_div_zero 0
	.end_amdhsa_kernel
	.section	.text._ZN2at6native12_GLOBAL__N_119CatArrayBatchedCopyINS1_10OpaqueTypeILj8EEEjLi2ELi128ELi1EEEvPT_NS1_25CatArrInputTensorMetadataIS5_T0_XT2_EXT3_EEENS1_16TensorSizeStrideIS8_Lj4EEEiS8_,"axG",@progbits,_ZN2at6native12_GLOBAL__N_119CatArrayBatchedCopyINS1_10OpaqueTypeILj8EEEjLi2ELi128ELi1EEEvPT_NS1_25CatArrInputTensorMetadataIS5_T0_XT2_EXT3_EEENS1_16TensorSizeStrideIS8_Lj4EEEiS8_,comdat
.Lfunc_end69:
	.size	_ZN2at6native12_GLOBAL__N_119CatArrayBatchedCopyINS1_10OpaqueTypeILj8EEEjLi2ELi128ELi1EEEvPT_NS1_25CatArrInputTensorMetadataIS5_T0_XT2_EXT3_EEENS1_16TensorSizeStrideIS8_Lj4EEEiS8_, .Lfunc_end69-_ZN2at6native12_GLOBAL__N_119CatArrayBatchedCopyINS1_10OpaqueTypeILj8EEEjLi2ELi128ELi1EEEvPT_NS1_25CatArrInputTensorMetadataIS5_T0_XT2_EXT3_EEENS1_16TensorSizeStrideIS8_Lj4EEEiS8_
                                        ; -- End function
	.set _ZN2at6native12_GLOBAL__N_119CatArrayBatchedCopyINS1_10OpaqueTypeILj8EEEjLi2ELi128ELi1EEEvPT_NS1_25CatArrInputTensorMetadataIS5_T0_XT2_EXT3_EEENS1_16TensorSizeStrideIS8_Lj4EEEiS8_.num_vgpr, 10
	.set _ZN2at6native12_GLOBAL__N_119CatArrayBatchedCopyINS1_10OpaqueTypeILj8EEEjLi2ELi128ELi1EEEvPT_NS1_25CatArrInputTensorMetadataIS5_T0_XT2_EXT3_EEENS1_16TensorSizeStrideIS8_Lj4EEEiS8_.num_agpr, 0
	.set _ZN2at6native12_GLOBAL__N_119CatArrayBatchedCopyINS1_10OpaqueTypeILj8EEEjLi2ELi128ELi1EEEvPT_NS1_25CatArrInputTensorMetadataIS5_T0_XT2_EXT3_EEENS1_16TensorSizeStrideIS8_Lj4EEEiS8_.numbered_sgpr, 25
	.set _ZN2at6native12_GLOBAL__N_119CatArrayBatchedCopyINS1_10OpaqueTypeILj8EEEjLi2ELi128ELi1EEEvPT_NS1_25CatArrInputTensorMetadataIS5_T0_XT2_EXT3_EEENS1_16TensorSizeStrideIS8_Lj4EEEiS8_.num_named_barrier, 0
	.set _ZN2at6native12_GLOBAL__N_119CatArrayBatchedCopyINS1_10OpaqueTypeILj8EEEjLi2ELi128ELi1EEEvPT_NS1_25CatArrInputTensorMetadataIS5_T0_XT2_EXT3_EEENS1_16TensorSizeStrideIS8_Lj4EEEiS8_.private_seg_size, 0
	.set _ZN2at6native12_GLOBAL__N_119CatArrayBatchedCopyINS1_10OpaqueTypeILj8EEEjLi2ELi128ELi1EEEvPT_NS1_25CatArrInputTensorMetadataIS5_T0_XT2_EXT3_EEENS1_16TensorSizeStrideIS8_Lj4EEEiS8_.uses_vcc, 1
	.set _ZN2at6native12_GLOBAL__N_119CatArrayBatchedCopyINS1_10OpaqueTypeILj8EEEjLi2ELi128ELi1EEEvPT_NS1_25CatArrInputTensorMetadataIS5_T0_XT2_EXT3_EEENS1_16TensorSizeStrideIS8_Lj4EEEiS8_.uses_flat_scratch, 0
	.set _ZN2at6native12_GLOBAL__N_119CatArrayBatchedCopyINS1_10OpaqueTypeILj8EEEjLi2ELi128ELi1EEEvPT_NS1_25CatArrInputTensorMetadataIS5_T0_XT2_EXT3_EEENS1_16TensorSizeStrideIS8_Lj4EEEiS8_.has_dyn_sized_stack, 0
	.set _ZN2at6native12_GLOBAL__N_119CatArrayBatchedCopyINS1_10OpaqueTypeILj8EEEjLi2ELi128ELi1EEEvPT_NS1_25CatArrInputTensorMetadataIS5_T0_XT2_EXT3_EEENS1_16TensorSizeStrideIS8_Lj4EEEiS8_.has_recursion, 0
	.set _ZN2at6native12_GLOBAL__N_119CatArrayBatchedCopyINS1_10OpaqueTypeILj8EEEjLi2ELi128ELi1EEEvPT_NS1_25CatArrInputTensorMetadataIS5_T0_XT2_EXT3_EEENS1_16TensorSizeStrideIS8_Lj4EEEiS8_.has_indirect_call, 0
	.section	.AMDGPU.csdata,"",@progbits
; Kernel info:
; codeLenInByte = 648
; TotalNumSgprs: 31
; NumVgprs: 10
; NumAgprs: 0
; TotalNumVgprs: 10
; ScratchSize: 0
; MemoryBound: 0
; FloatMode: 240
; IeeeMode: 1
; LDSByteSize: 0 bytes/workgroup (compile time only)
; SGPRBlocks: 3
; VGPRBlocks: 1
; NumSGPRsForWavesPerEU: 31
; NumVGPRsForWavesPerEU: 10
; AccumOffset: 12
; Occupancy: 8
; WaveLimiterHint : 1
; COMPUTE_PGM_RSRC2:SCRATCH_EN: 0
; COMPUTE_PGM_RSRC2:USER_SGPR: 2
; COMPUTE_PGM_RSRC2:TRAP_HANDLER: 0
; COMPUTE_PGM_RSRC2:TGID_X_EN: 1
; COMPUTE_PGM_RSRC2:TGID_Y_EN: 1
; COMPUTE_PGM_RSRC2:TGID_Z_EN: 0
; COMPUTE_PGM_RSRC2:TIDIG_COMP_CNT: 0
; COMPUTE_PGM_RSRC3_GFX90A:ACCUM_OFFSET: 2
; COMPUTE_PGM_RSRC3_GFX90A:TG_SPLIT: 0
	.section	.text._ZN2at6native12_GLOBAL__N_130CatArrayBatchedCopy_vectorizedINS1_10OpaqueTypeILj8EEEjLi3ELi128ELi1ELi16ELi2EEEvPcNS1_25CatArrInputTensorMetadataIT_T0_XT2_EXT3_EEENS1_16TensorSizeStrideIS8_Lj4EEEiS8_,"axG",@progbits,_ZN2at6native12_GLOBAL__N_130CatArrayBatchedCopy_vectorizedINS1_10OpaqueTypeILj8EEEjLi3ELi128ELi1ELi16ELi2EEEvPcNS1_25CatArrInputTensorMetadataIT_T0_XT2_EXT3_EEENS1_16TensorSizeStrideIS8_Lj4EEEiS8_,comdat
	.globl	_ZN2at6native12_GLOBAL__N_130CatArrayBatchedCopy_vectorizedINS1_10OpaqueTypeILj8EEEjLi3ELi128ELi1ELi16ELi2EEEvPcNS1_25CatArrInputTensorMetadataIT_T0_XT2_EXT3_EEENS1_16TensorSizeStrideIS8_Lj4EEEiS8_ ; -- Begin function _ZN2at6native12_GLOBAL__N_130CatArrayBatchedCopy_vectorizedINS1_10OpaqueTypeILj8EEEjLi3ELi128ELi1ELi16ELi2EEEvPcNS1_25CatArrInputTensorMetadataIT_T0_XT2_EXT3_EEENS1_16TensorSizeStrideIS8_Lj4EEEiS8_
	.p2align	8
	.type	_ZN2at6native12_GLOBAL__N_130CatArrayBatchedCopy_vectorizedINS1_10OpaqueTypeILj8EEEjLi3ELi128ELi1ELi16ELi2EEEvPcNS1_25CatArrInputTensorMetadataIT_T0_XT2_EXT3_EEENS1_16TensorSizeStrideIS8_Lj4EEEiS8_,@function
_ZN2at6native12_GLOBAL__N_130CatArrayBatchedCopy_vectorizedINS1_10OpaqueTypeILj8EEEjLi3ELi128ELi1ELi16ELi2EEEvPcNS1_25CatArrInputTensorMetadataIT_T0_XT2_EXT3_EEENS1_16TensorSizeStrideIS8_Lj4EEEiS8_: ; @_ZN2at6native12_GLOBAL__N_130CatArrayBatchedCopy_vectorizedINS1_10OpaqueTypeILj8EEEjLi3ELi128ELi1ELi16ELi2EEEvPcNS1_25CatArrInputTensorMetadataIT_T0_XT2_EXT3_EEENS1_16TensorSizeStrideIS8_Lj4EEEiS8_
; %bb.0:
	s_mov_b32 s8, s3
	s_load_dword s3, s[0:1], 0xadc
	s_add_u32 s10, s0, 0xad0
	s_mov_b32 s9, 0
	s_addc_u32 s11, s1, 0
	s_lshl_b64 s[12:13], s[8:9], 2
	s_waitcnt lgkmcnt(0)
	s_and_b32 s15, s3, 0xffff
	s_add_u32 s4, s0, s12
	s_addc_u32 s5, s1, s13
	s_load_dword s6, s[4:5], 0x808
	s_mul_i32 s2, s2, s15
	v_add_u32_e32 v0, s2, v0
	s_add_u32 s2, s4, 8
	s_addc_u32 s3, s5, 0
	s_waitcnt lgkmcnt(0)
	s_lshr_b32 s14, s6, 1
	v_cmp_gt_u32_e32 vcc, s14, v0
	s_and_saveexec_b64 s[4:5], vcc
	s_cbranch_execz .LBB70_3
; %bb.1:
	s_add_u32 s18, s2, s12
	s_addc_u32 s19, s3, s13
	s_load_dwordx2 s[16:17], s[0:1], 0xac8
	s_load_dwordx4 s[4:7], s[0:1], 0xab8
	s_sub_u32 s2, 0, s12
	s_subb_u32 s3, 0, s13
	s_add_u32 s12, s18, s2
	s_addc_u32 s13, s19, s3
	s_load_dwordx2 s[2:3], s[18:19], 0x0
	s_waitcnt lgkmcnt(0)
	s_load_dword s7, s[12:13], 0x400
	s_load_dword s24, s[12:13], 0x600
	s_load_dwordx2 s[20:21], s[0:1], 0x0
	s_load_dwordx2 s[22:23], s[0:1], 0xaac
	s_load_dword s25, s[10:11], 0x0
	s_waitcnt lgkmcnt(0)
	s_mul_i32 s7, s7, s17
	s_lshr_b32 s8, s7, 1
	s_mul_i32 s24, s24, s17
	s_lshr_b32 s11, s24, 1
	s_lshl_b64 s[8:9], s[8:9], 4
	s_cmp_eq_u32 s16, 2
	s_cselect_b32 s7, s11, s23
	v_cvt_f32_u32_e32 v1, s7
	s_cmp_eq_u32 s16, 1
	s_cselect_b32 s11, s11, s22
	v_cvt_f32_u32_e32 v2, s11
	v_rcp_iflag_f32_e32 v1, v1
	s_add_u32 s8, s20, s8
	s_addc_u32 s9, s21, s9
	v_rcp_iflag_f32_e32 v2, v2
	v_mul_f32_e32 v1, 0x4f7ffffe, v1
	v_cvt_u32_f32_e32 v1, v1
	s_sub_i32 s12, 0, s7
	v_mul_f32_e32 v2, 0x4f7ffffe, v2
	v_cvt_u32_f32_e32 v4, v2
	v_mul_lo_u32 v3, s12, v1
	v_mul_hi_u32 v3, v1, v3
	s_sub_i32 s13, 0, s11
	v_add_u32_e32 v2, v1, v3
	v_mul_lo_u32 v3, s13, v4
	v_mul_hi_u32 v3, v4, v3
	s_mov_b64 s[0:1], 0
	s_mul_i32 s10, s25, s15
	v_mov_b32_e32 v1, 0
	v_add_u32_e32 v3, v4, v3
.LBB70_2:                               ; =>This Inner Loop Header: Depth=1
	v_lshl_add_u64 v[4:5], v[0:1], 4, s[2:3]
	global_load_dwordx4 v[4:7], v[4:5], off
	v_mul_hi_u32 v8, v2, v0
	v_mul_lo_u32 v10, s7, v8
	v_not_b32_e32 v11, v8
	v_sub_u32_e32 v13, v0, v10
	v_add_u32_e32 v12, 1, v8
	v_mad_u64_u32 v[10:11], s[16:17], s7, v11, v[0:1]
	v_cmp_le_u32_e32 vcc, s7, v13
	v_mov_b32_e32 v9, v1
	s_nop 0
	v_cndmask_b32_e32 v8, v8, v12, vcc
	v_cndmask_b32_e32 v10, v13, v10, vcc
	v_add_u32_e32 v11, 1, v8
	v_cmp_le_u32_e32 vcc, s7, v10
	s_nop 1
	v_cndmask_b32_e32 v8, v8, v11, vcc
	v_mad_u64_u32 v[10:11], s[16:17], s12, v8, v[0:1]
	v_mul_hi_u32 v11, v8, v3
	v_add_u32_e32 v0, s10, v0
	v_mul_lo_u32 v12, v11, s11
	v_cmp_le_u32_e32 vcc, s14, v0
	v_sub_u32_e32 v12, v8, v12
	v_add_u32_e32 v13, 1, v11
	s_or_b64 s[0:1], vcc, s[0:1]
	v_cmp_le_u32_e32 vcc, s11, v12
	v_mul_lo_u32 v10, v10, s6
	s_nop 0
	v_cndmask_b32_e32 v11, v11, v13, vcc
	v_subrev_u32_e32 v13, s11, v12
	v_cndmask_b32_e32 v12, v12, v13, vcc
	v_add_u32_e32 v13, 1, v11
	v_cmp_le_u32_e32 vcc, s11, v12
	s_nop 1
	v_cndmask_b32_e32 v11, v11, v13, vcc
	v_mul_lo_u32 v12, v11, s11
	v_sub_u32_e32 v8, v8, v12
	v_mul_lo_u32 v11, v11, s4
	v_mul_lo_u32 v8, v8, s5
	v_add3_u32 v8, v10, v11, v8
	v_lshl_add_u64 v[8:9], v[8:9], 4, s[8:9]
	s_waitcnt vmcnt(0)
	global_store_dwordx4 v[8:9], v[4:7], off
	s_andn2_b64 exec, exec, s[0:1]
	s_cbranch_execnz .LBB70_2
.LBB70_3:
	s_endpgm
	.section	.rodata,"a",@progbits
	.p2align	6, 0x0
	.amdhsa_kernel _ZN2at6native12_GLOBAL__N_130CatArrayBatchedCopy_vectorizedINS1_10OpaqueTypeILj8EEEjLi3ELi128ELi1ELi16ELi2EEEvPcNS1_25CatArrInputTensorMetadataIT_T0_XT2_EXT3_EEENS1_16TensorSizeStrideIS8_Lj4EEEiS8_
		.amdhsa_group_segment_fixed_size 0
		.amdhsa_private_segment_fixed_size 0
		.amdhsa_kernarg_size 3024
		.amdhsa_user_sgpr_count 2
		.amdhsa_user_sgpr_dispatch_ptr 0
		.amdhsa_user_sgpr_queue_ptr 0
		.amdhsa_user_sgpr_kernarg_segment_ptr 1
		.amdhsa_user_sgpr_dispatch_id 0
		.amdhsa_user_sgpr_kernarg_preload_length 0
		.amdhsa_user_sgpr_kernarg_preload_offset 0
		.amdhsa_user_sgpr_private_segment_size 0
		.amdhsa_uses_dynamic_stack 0
		.amdhsa_enable_private_segment 0
		.amdhsa_system_sgpr_workgroup_id_x 1
		.amdhsa_system_sgpr_workgroup_id_y 1
		.amdhsa_system_sgpr_workgroup_id_z 0
		.amdhsa_system_sgpr_workgroup_info 0
		.amdhsa_system_vgpr_workitem_id 0
		.amdhsa_next_free_vgpr 14
		.amdhsa_next_free_sgpr 26
		.amdhsa_accum_offset 16
		.amdhsa_reserve_vcc 1
		.amdhsa_float_round_mode_32 0
		.amdhsa_float_round_mode_16_64 0
		.amdhsa_float_denorm_mode_32 3
		.amdhsa_float_denorm_mode_16_64 3
		.amdhsa_dx10_clamp 1
		.amdhsa_ieee_mode 1
		.amdhsa_fp16_overflow 0
		.amdhsa_tg_split 0
		.amdhsa_exception_fp_ieee_invalid_op 0
		.amdhsa_exception_fp_denorm_src 0
		.amdhsa_exception_fp_ieee_div_zero 0
		.amdhsa_exception_fp_ieee_overflow 0
		.amdhsa_exception_fp_ieee_underflow 0
		.amdhsa_exception_fp_ieee_inexact 0
		.amdhsa_exception_int_div_zero 0
	.end_amdhsa_kernel
	.section	.text._ZN2at6native12_GLOBAL__N_130CatArrayBatchedCopy_vectorizedINS1_10OpaqueTypeILj8EEEjLi3ELi128ELi1ELi16ELi2EEEvPcNS1_25CatArrInputTensorMetadataIT_T0_XT2_EXT3_EEENS1_16TensorSizeStrideIS8_Lj4EEEiS8_,"axG",@progbits,_ZN2at6native12_GLOBAL__N_130CatArrayBatchedCopy_vectorizedINS1_10OpaqueTypeILj8EEEjLi3ELi128ELi1ELi16ELi2EEEvPcNS1_25CatArrInputTensorMetadataIT_T0_XT2_EXT3_EEENS1_16TensorSizeStrideIS8_Lj4EEEiS8_,comdat
.Lfunc_end70:
	.size	_ZN2at6native12_GLOBAL__N_130CatArrayBatchedCopy_vectorizedINS1_10OpaqueTypeILj8EEEjLi3ELi128ELi1ELi16ELi2EEEvPcNS1_25CatArrInputTensorMetadataIT_T0_XT2_EXT3_EEENS1_16TensorSizeStrideIS8_Lj4EEEiS8_, .Lfunc_end70-_ZN2at6native12_GLOBAL__N_130CatArrayBatchedCopy_vectorizedINS1_10OpaqueTypeILj8EEEjLi3ELi128ELi1ELi16ELi2EEEvPcNS1_25CatArrInputTensorMetadataIT_T0_XT2_EXT3_EEENS1_16TensorSizeStrideIS8_Lj4EEEiS8_
                                        ; -- End function
	.set _ZN2at6native12_GLOBAL__N_130CatArrayBatchedCopy_vectorizedINS1_10OpaqueTypeILj8EEEjLi3ELi128ELi1ELi16ELi2EEEvPcNS1_25CatArrInputTensorMetadataIT_T0_XT2_EXT3_EEENS1_16TensorSizeStrideIS8_Lj4EEEiS8_.num_vgpr, 14
	.set _ZN2at6native12_GLOBAL__N_130CatArrayBatchedCopy_vectorizedINS1_10OpaqueTypeILj8EEEjLi3ELi128ELi1ELi16ELi2EEEvPcNS1_25CatArrInputTensorMetadataIT_T0_XT2_EXT3_EEENS1_16TensorSizeStrideIS8_Lj4EEEiS8_.num_agpr, 0
	.set _ZN2at6native12_GLOBAL__N_130CatArrayBatchedCopy_vectorizedINS1_10OpaqueTypeILj8EEEjLi3ELi128ELi1ELi16ELi2EEEvPcNS1_25CatArrInputTensorMetadataIT_T0_XT2_EXT3_EEENS1_16TensorSizeStrideIS8_Lj4EEEiS8_.numbered_sgpr, 26
	.set _ZN2at6native12_GLOBAL__N_130CatArrayBatchedCopy_vectorizedINS1_10OpaqueTypeILj8EEEjLi3ELi128ELi1ELi16ELi2EEEvPcNS1_25CatArrInputTensorMetadataIT_T0_XT2_EXT3_EEENS1_16TensorSizeStrideIS8_Lj4EEEiS8_.num_named_barrier, 0
	.set _ZN2at6native12_GLOBAL__N_130CatArrayBatchedCopy_vectorizedINS1_10OpaqueTypeILj8EEEjLi3ELi128ELi1ELi16ELi2EEEvPcNS1_25CatArrInputTensorMetadataIT_T0_XT2_EXT3_EEENS1_16TensorSizeStrideIS8_Lj4EEEiS8_.private_seg_size, 0
	.set _ZN2at6native12_GLOBAL__N_130CatArrayBatchedCopy_vectorizedINS1_10OpaqueTypeILj8EEEjLi3ELi128ELi1ELi16ELi2EEEvPcNS1_25CatArrInputTensorMetadataIT_T0_XT2_EXT3_EEENS1_16TensorSizeStrideIS8_Lj4EEEiS8_.uses_vcc, 1
	.set _ZN2at6native12_GLOBAL__N_130CatArrayBatchedCopy_vectorizedINS1_10OpaqueTypeILj8EEEjLi3ELi128ELi1ELi16ELi2EEEvPcNS1_25CatArrInputTensorMetadataIT_T0_XT2_EXT3_EEENS1_16TensorSizeStrideIS8_Lj4EEEiS8_.uses_flat_scratch, 0
	.set _ZN2at6native12_GLOBAL__N_130CatArrayBatchedCopy_vectorizedINS1_10OpaqueTypeILj8EEEjLi3ELi128ELi1ELi16ELi2EEEvPcNS1_25CatArrInputTensorMetadataIT_T0_XT2_EXT3_EEENS1_16TensorSizeStrideIS8_Lj4EEEiS8_.has_dyn_sized_stack, 0
	.set _ZN2at6native12_GLOBAL__N_130CatArrayBatchedCopy_vectorizedINS1_10OpaqueTypeILj8EEEjLi3ELi128ELi1ELi16ELi2EEEvPcNS1_25CatArrInputTensorMetadataIT_T0_XT2_EXT3_EEENS1_16TensorSizeStrideIS8_Lj4EEEiS8_.has_recursion, 0
	.set _ZN2at6native12_GLOBAL__N_130CatArrayBatchedCopy_vectorizedINS1_10OpaqueTypeILj8EEEjLi3ELi128ELi1ELi16ELi2EEEvPcNS1_25CatArrInputTensorMetadataIT_T0_XT2_EXT3_EEENS1_16TensorSizeStrideIS8_Lj4EEEiS8_.has_indirect_call, 0
	.section	.AMDGPU.csdata,"",@progbits
; Kernel info:
; codeLenInByte = 580
; TotalNumSgprs: 32
; NumVgprs: 14
; NumAgprs: 0
; TotalNumVgprs: 14
; ScratchSize: 0
; MemoryBound: 0
; FloatMode: 240
; IeeeMode: 1
; LDSByteSize: 0 bytes/workgroup (compile time only)
; SGPRBlocks: 3
; VGPRBlocks: 1
; NumSGPRsForWavesPerEU: 32
; NumVGPRsForWavesPerEU: 14
; AccumOffset: 16
; Occupancy: 8
; WaveLimiterHint : 1
; COMPUTE_PGM_RSRC2:SCRATCH_EN: 0
; COMPUTE_PGM_RSRC2:USER_SGPR: 2
; COMPUTE_PGM_RSRC2:TRAP_HANDLER: 0
; COMPUTE_PGM_RSRC2:TGID_X_EN: 1
; COMPUTE_PGM_RSRC2:TGID_Y_EN: 1
; COMPUTE_PGM_RSRC2:TGID_Z_EN: 0
; COMPUTE_PGM_RSRC2:TIDIG_COMP_CNT: 0
; COMPUTE_PGM_RSRC3_GFX90A:ACCUM_OFFSET: 3
; COMPUTE_PGM_RSRC3_GFX90A:TG_SPLIT: 0
	.section	.text._ZN2at6native12_GLOBAL__N_135CatArrayBatchedCopy_alignedK_contigINS1_10OpaqueTypeILj8EEEjLi3ELi128ELi1ELi16EEEvPT_NS1_25CatArrInputTensorMetadataIS5_T0_XT2_EXT3_EEENS1_16TensorSizeStrideIS8_Lj4EEEiS8_,"axG",@progbits,_ZN2at6native12_GLOBAL__N_135CatArrayBatchedCopy_alignedK_contigINS1_10OpaqueTypeILj8EEEjLi3ELi128ELi1ELi16EEEvPT_NS1_25CatArrInputTensorMetadataIS5_T0_XT2_EXT3_EEENS1_16TensorSizeStrideIS8_Lj4EEEiS8_,comdat
	.globl	_ZN2at6native12_GLOBAL__N_135CatArrayBatchedCopy_alignedK_contigINS1_10OpaqueTypeILj8EEEjLi3ELi128ELi1ELi16EEEvPT_NS1_25CatArrInputTensorMetadataIS5_T0_XT2_EXT3_EEENS1_16TensorSizeStrideIS8_Lj4EEEiS8_ ; -- Begin function _ZN2at6native12_GLOBAL__N_135CatArrayBatchedCopy_alignedK_contigINS1_10OpaqueTypeILj8EEEjLi3ELi128ELi1ELi16EEEvPT_NS1_25CatArrInputTensorMetadataIS5_T0_XT2_EXT3_EEENS1_16TensorSizeStrideIS8_Lj4EEEiS8_
	.p2align	8
	.type	_ZN2at6native12_GLOBAL__N_135CatArrayBatchedCopy_alignedK_contigINS1_10OpaqueTypeILj8EEEjLi3ELi128ELi1ELi16EEEvPT_NS1_25CatArrInputTensorMetadataIS5_T0_XT2_EXT3_EEENS1_16TensorSizeStrideIS8_Lj4EEEiS8_,@function
_ZN2at6native12_GLOBAL__N_135CatArrayBatchedCopy_alignedK_contigINS1_10OpaqueTypeILj8EEEjLi3ELi128ELi1ELi16EEEvPT_NS1_25CatArrInputTensorMetadataIS5_T0_XT2_EXT3_EEENS1_16TensorSizeStrideIS8_Lj4EEEiS8_: ; @_ZN2at6native12_GLOBAL__N_135CatArrayBatchedCopy_alignedK_contigINS1_10OpaqueTypeILj8EEEjLi3ELi128ELi1ELi16EEEvPT_NS1_25CatArrInputTensorMetadataIS5_T0_XT2_EXT3_EEENS1_16TensorSizeStrideIS8_Lj4EEEiS8_
; %bb.0:
	s_mov_b32 s4, s3
	s_load_dword s3, s[0:1], 0xadc
	s_add_u32 s18, s0, 0xad0
	s_mov_b32 s5, 0
	s_addc_u32 s19, s1, 0
	s_lshl_b64 s[8:9], s[4:5], 2
	s_waitcnt lgkmcnt(0)
	s_and_b32 s22, s3, 0xffff
	s_add_u32 s4, s0, s8
	s_addc_u32 s5, s1, s9
	s_load_dword s20, s[4:5], 0x808
	s_mul_i32 s2, s2, s22
	v_add_lshl_u32 v0, s2, v0, 1
	s_add_u32 s2, s4, 8
	s_addc_u32 s3, s5, 0
	s_waitcnt lgkmcnt(0)
	v_cmp_gt_u32_e32 vcc, s20, v0
	s_and_saveexec_b64 s[4:5], vcc
	s_cbranch_execz .LBB71_8
; %bb.1:
	s_add_u32 s14, s2, s8
	s_addc_u32 s15, s3, s9
	s_sub_u32 s2, 0, s8
	s_load_dwordx2 s[10:11], s[0:1], 0xac8
	s_load_dwordx4 s[4:7], s[0:1], 0xab8
	s_subb_u32 s3, 0, s9
	s_add_u32 s16, s14, s2
	s_addc_u32 s17, s15, s3
	s_waitcnt lgkmcnt(0)
	s_load_dword s7, s[16:17], 0x400
	s_load_dwordx2 s[2:3], s[0:1], 0x0
	s_load_dwordx2 s[12:13], s[0:1], 0xaac
	;; [unrolled: 1-line block ×3, first 2 shown]
	s_load_dword s21, s[16:17], 0x600
	v_add_u32_e32 v1, 2, v0
	s_mov_b64 s[14:15], 0
	s_waitcnt lgkmcnt(0)
	s_mul_i32 s7, s7, s11
	v_cmp_ge_u32_e32 vcc, s20, v1
	s_and_saveexec_b64 s[16:17], vcc
	s_cbranch_execz .LBB71_5
; %bb.2:
	s_load_dword s0, s[18:19], 0x0
	s_waitcnt lgkmcnt(0)
	s_mul_i32 s0, s0, s22
	s_lshl_b32 s11, s0, 1
	s_cmp_eq_u32 s10, 2
	s_cselect_b32 s18, s21, s13
	s_cmp_eq_u32 s10, 1
	v_cvt_f32_u32_e32 v1, s18
	s_cselect_b32 s19, s21, s12
	v_cvt_f32_u32_e32 v2, s19
	s_sub_i32 s22, 0, s18
	v_rcp_iflag_f32_e32 v3, v1
	s_sub_i32 s0, 0, s19
	v_rcp_iflag_f32_e32 v2, v2
	v_mov_b32_e32 v1, 0
	v_mul_f32_e32 v3, 0x4f7ffffe, v3
	v_cvt_u32_f32_e32 v3, v3
	v_mul_f32_e32 v2, 0x4f7ffffe, v2
	v_cvt_u32_f32_e32 v4, v2
	v_mul_lo_u32 v2, s22, v3
	v_mul_hi_u32 v2, v3, v2
	v_mul_lo_u32 v5, s0, v4
	v_add_u32_e32 v2, v3, v2
	v_mul_hi_u32 v3, v4, v5
	v_add_u32_e32 v3, v4, v3
	v_add_u32_e32 v4, 1, v0
.LBB71_3:                               ; =>This Inner Loop Header: Depth=1
	v_lshl_add_u64 v[6:7], v[0:1], 3, s[8:9]
	global_load_dwordx4 v[6:9], v[6:7], off
	v_mul_hi_u32 v5, v2, v0
	v_mul_hi_u32 v12, v2, v4
	v_not_b32_e32 v18, v5
	v_mad_u64_u32 v[14:15], s[0:1], s22, v5, v[0:1]
	v_add_u32_e32 v10, 1, v0
	v_mov_b32_e32 v11, v1
	v_not_b32_e32 v20, v12
	v_add_u32_e32 v15, 1, v5
	v_cmp_le_u32_e32 vcc, s18, v14
	v_mad_u64_u32 v[18:19], s[0:1], s18, v18, v[0:1]
	v_mul_hi_u32 v22, v10, v2
	v_mad_u64_u32 v[16:17], s[0:1], s22, v12, v[10:11]
	v_cndmask_b32_e32 v5, v5, v15, vcc
	v_mad_u64_u32 v[20:21], s[24:25], s18, v20, v[10:11]
	v_cndmask_b32_e32 v10, v14, v18, vcc
	v_add_u32_e32 v12, 1, v22
	v_cmp_le_u32_e64 s[0:1], s18, v16
	v_add_u32_e32 v14, 1, v5
	v_cmp_le_u32_e32 vcc, s18, v10
	v_cndmask_b32_e64 v12, v22, v12, s[0:1]
	v_cndmask_b32_e64 v15, v16, v20, s[0:1]
	v_cndmask_b32_e32 v5, v5, v14, vcc
	v_add_u32_e32 v10, 1, v12
	v_cmp_le_u32_e32 vcc, s18, v15
	v_mad_u64_u32 v[14:15], s[0:1], s22, v5, v[0:1]
	v_mul_hi_u32 v15, v5, v3
	v_cndmask_b32_e32 v12, v12, v10, vcc
	v_mul_lo_u32 v10, v15, s19
	v_mad_u64_u32 v[16:17], s[0:1], s22, v12, v[0:1]
	v_mul_hi_u32 v17, v12, v3
	v_sub_u32_e32 v10, v5, v10
	v_add_u32_e32 v18, 1, v15
	v_add_u32_e32 v0, s11, v0
	v_mul_lo_u32 v19, v17, s19
	v_cmp_le_u32_e32 vcc, s19, v10
	v_add_u32_e32 v21, 2, v0
	v_sub_u32_e32 v19, v12, v19
	v_cndmask_b32_e32 v15, v15, v18, vcc
	v_subrev_u32_e32 v18, s19, v10
	v_add_u32_e32 v20, 1, v17
	v_cmp_lt_u32_e64 s[0:1], s20, v21
	v_cndmask_b32_e32 v10, v10, v18, vcc
	v_cmp_le_u32_e32 vcc, s19, v19
	v_add_u32_e32 v18, 1, v15
	s_or_b64 s[14:15], s[0:1], s[14:15]
	v_cndmask_b32_e32 v17, v17, v20, vcc
	v_subrev_u32_e32 v20, s19, v19
	v_cmp_le_u32_e64 s[0:1], s19, v10
	v_mul_lo_u32 v16, s6, v16
	v_mov_b32_e32 v13, v1
	v_cndmask_b32_e64 v10, v15, v18, s[0:1]
	v_cndmask_b32_e32 v15, v19, v20, vcc
	v_add_u32_e32 v18, 1, v17
	v_cmp_le_u32_e32 vcc, s19, v15
	v_mul_lo_u32 v19, v10, s19
	v_mul_lo_u32 v10, v10, s4
	v_cndmask_b32_e32 v17, v17, v18, vcc
	v_sub_u32_e32 v5, v5, v19
	v_mad_u64_u32 v[14:15], s[0:1], v14, s6, v[10:11]
	v_mul_lo_u32 v10, v17, s19
	v_mul_lo_u32 v15, v17, s4
	;; [unrolled: 1-line block ×3, first 2 shown]
	v_sub_u32_e32 v10, v12, v10
	v_add3_u32 v12, v16, s6, v15
	v_mul_lo_u32 v15, v10, s5
	v_add3_u32 v10, v14, v5, s7
	v_add_u32_e32 v4, s11, v4
	v_lshl_add_u64 v[10:11], v[10:11], 3, s[2:3]
	v_add3_u32 v12, v12, v15, s7
	v_lshl_add_u64 v[12:13], v[12:13], 3, s[2:3]
	s_waitcnt vmcnt(0)
	global_store_dwordx2 v[10:11], v[6:7], off
	global_store_dwordx2 v[12:13], v[8:9], off
	s_andn2_b64 exec, exec, s[14:15]
	s_cbranch_execnz .LBB71_3
; %bb.4:
	s_or_b64 exec, exec, s[14:15]
.LBB71_5:
	s_or_b64 exec, exec, s[16:17]
	v_cmp_gt_u32_e32 vcc, s20, v0
	s_and_b64 exec, exec, vcc
	s_cbranch_execz .LBB71_8
; %bb.6:
	s_cmp_eq_u32 s10, 2
	s_cselect_b32 s11, s21, s13
	v_cvt_f32_u32_e32 v1, s11
	s_cmp_eq_u32 s10, 1
	s_cselect_b32 s10, s21, s12
	v_cvt_f32_u32_e32 v2, s10
	v_rcp_iflag_f32_e32 v1, v1
	s_sub_i32 s0, 0, s11
	v_mov_b32_e32 v3, 0
	v_rcp_iflag_f32_e32 v2, v2
	v_mul_f32_e32 v1, 0x4f7ffffe, v1
	v_cvt_u32_f32_e32 v1, v1
	v_mov_b32_e32 v5, v3
	v_mul_f32_e32 v2, 0x4f7ffffe, v2
	v_cvt_u32_f32_e32 v2, v2
	v_mul_lo_u32 v4, s0, v1
	v_mul_hi_u32 v4, v1, v4
	s_sub_i32 s0, 0, s10
	v_add_u32_e32 v4, v1, v4
	v_mul_lo_u32 v1, s0, v2
	v_mul_hi_u32 v1, v2, v1
	v_add_u32_e32 v10, v2, v1
	v_mov_b32_e32 v1, v3
	v_mad_u64_u32 v[6:7], s[0:1], v0, v4, 0
	v_lshl_add_u64 v[8:9], v[0:1], 3, s[8:9]
	s_mov_b64 s[8:9], 0
.LBB71_7:                               ; =>This Inner Loop Header: Depth=1
	global_load_dwordx2 v[12:13], v[8:9], off
	v_mul_lo_u32 v1, s11, v7
	v_not_b32_e32 v2, v7
	v_sub_u32_e32 v1, v0, v1
	v_add_u32_e32 v11, 1, v7
	v_mad_u64_u32 v[14:15], s[0:1], s11, v2, v[0:1]
	v_cmp_le_u32_e32 vcc, s11, v1
	v_lshl_add_u64 v[8:9], v[8:9], 0, 8
	s_nop 0
	v_cndmask_b32_e32 v2, v7, v11, vcc
	v_cndmask_b32_e32 v1, v1, v14, vcc
	v_add_u32_e32 v11, 1, v2
	v_cmp_le_u32_e32 vcc, s11, v1
	v_lshl_add_u64 v[6:7], v[6:7], 0, v[4:5]
	s_nop 0
	v_cndmask_b32_e32 v1, v2, v11, vcc
	v_mul_hi_u32 v2, v1, v10
	v_mul_lo_u32 v14, v2, s10
	v_sub_u32_e32 v14, v1, v14
	v_mul_lo_u32 v11, v1, s11
	v_add_u32_e32 v15, 1, v2
	v_cmp_le_u32_e64 s[0:1], s10, v14
	v_sub_u32_e32 v11, v0, v11
	v_add_u32_e32 v0, 1, v0
	v_cndmask_b32_e64 v2, v2, v15, s[0:1]
	v_subrev_u32_e32 v15, s10, v14
	v_cmp_le_u32_e32 vcc, s20, v0
	v_cndmask_b32_e64 v14, v14, v15, s[0:1]
	s_or_b64 s[8:9], vcc, s[8:9]
	v_add_u32_e32 v15, 1, v2
	v_cmp_le_u32_e32 vcc, s10, v14
	s_nop 1
	v_cndmask_b32_e32 v2, v2, v15, vcc
	v_mul_lo_u32 v14, v2, s10
	v_mul_lo_u32 v2, v2, s4
	v_sub_u32_e32 v1, v1, v14
	v_mad_u64_u32 v[14:15], s[0:1], v11, s6, v[2:3]
	v_mul_lo_u32 v1, v1, s5
	v_add3_u32 v2, v14, v1, s7
	v_lshl_add_u64 v[14:15], v[2:3], 3, s[2:3]
	s_waitcnt vmcnt(0)
	global_store_dwordx2 v[14:15], v[12:13], off
	s_andn2_b64 exec, exec, s[8:9]
	s_cbranch_execnz .LBB71_7
.LBB71_8:
	s_endpgm
	.section	.rodata,"a",@progbits
	.p2align	6, 0x0
	.amdhsa_kernel _ZN2at6native12_GLOBAL__N_135CatArrayBatchedCopy_alignedK_contigINS1_10OpaqueTypeILj8EEEjLi3ELi128ELi1ELi16EEEvPT_NS1_25CatArrInputTensorMetadataIS5_T0_XT2_EXT3_EEENS1_16TensorSizeStrideIS8_Lj4EEEiS8_
		.amdhsa_group_segment_fixed_size 0
		.amdhsa_private_segment_fixed_size 0
		.amdhsa_kernarg_size 3024
		.amdhsa_user_sgpr_count 2
		.amdhsa_user_sgpr_dispatch_ptr 0
		.amdhsa_user_sgpr_queue_ptr 0
		.amdhsa_user_sgpr_kernarg_segment_ptr 1
		.amdhsa_user_sgpr_dispatch_id 0
		.amdhsa_user_sgpr_kernarg_preload_length 0
		.amdhsa_user_sgpr_kernarg_preload_offset 0
		.amdhsa_user_sgpr_private_segment_size 0
		.amdhsa_uses_dynamic_stack 0
		.amdhsa_enable_private_segment 0
		.amdhsa_system_sgpr_workgroup_id_x 1
		.amdhsa_system_sgpr_workgroup_id_y 1
		.amdhsa_system_sgpr_workgroup_id_z 0
		.amdhsa_system_sgpr_workgroup_info 0
		.amdhsa_system_vgpr_workitem_id 0
		.amdhsa_next_free_vgpr 23
		.amdhsa_next_free_sgpr 26
		.amdhsa_accum_offset 24
		.amdhsa_reserve_vcc 1
		.amdhsa_float_round_mode_32 0
		.amdhsa_float_round_mode_16_64 0
		.amdhsa_float_denorm_mode_32 3
		.amdhsa_float_denorm_mode_16_64 3
		.amdhsa_dx10_clamp 1
		.amdhsa_ieee_mode 1
		.amdhsa_fp16_overflow 0
		.amdhsa_tg_split 0
		.amdhsa_exception_fp_ieee_invalid_op 0
		.amdhsa_exception_fp_denorm_src 0
		.amdhsa_exception_fp_ieee_div_zero 0
		.amdhsa_exception_fp_ieee_overflow 0
		.amdhsa_exception_fp_ieee_underflow 0
		.amdhsa_exception_fp_ieee_inexact 0
		.amdhsa_exception_int_div_zero 0
	.end_amdhsa_kernel
	.section	.text._ZN2at6native12_GLOBAL__N_135CatArrayBatchedCopy_alignedK_contigINS1_10OpaqueTypeILj8EEEjLi3ELi128ELi1ELi16EEEvPT_NS1_25CatArrInputTensorMetadataIS5_T0_XT2_EXT3_EEENS1_16TensorSizeStrideIS8_Lj4EEEiS8_,"axG",@progbits,_ZN2at6native12_GLOBAL__N_135CatArrayBatchedCopy_alignedK_contigINS1_10OpaqueTypeILj8EEEjLi3ELi128ELi1ELi16EEEvPT_NS1_25CatArrInputTensorMetadataIS5_T0_XT2_EXT3_EEENS1_16TensorSizeStrideIS8_Lj4EEEiS8_,comdat
.Lfunc_end71:
	.size	_ZN2at6native12_GLOBAL__N_135CatArrayBatchedCopy_alignedK_contigINS1_10OpaqueTypeILj8EEEjLi3ELi128ELi1ELi16EEEvPT_NS1_25CatArrInputTensorMetadataIS5_T0_XT2_EXT3_EEENS1_16TensorSizeStrideIS8_Lj4EEEiS8_, .Lfunc_end71-_ZN2at6native12_GLOBAL__N_135CatArrayBatchedCopy_alignedK_contigINS1_10OpaqueTypeILj8EEEjLi3ELi128ELi1ELi16EEEvPT_NS1_25CatArrInputTensorMetadataIS5_T0_XT2_EXT3_EEENS1_16TensorSizeStrideIS8_Lj4EEEiS8_
                                        ; -- End function
	.set _ZN2at6native12_GLOBAL__N_135CatArrayBatchedCopy_alignedK_contigINS1_10OpaqueTypeILj8EEEjLi3ELi128ELi1ELi16EEEvPT_NS1_25CatArrInputTensorMetadataIS5_T0_XT2_EXT3_EEENS1_16TensorSizeStrideIS8_Lj4EEEiS8_.num_vgpr, 23
	.set _ZN2at6native12_GLOBAL__N_135CatArrayBatchedCopy_alignedK_contigINS1_10OpaqueTypeILj8EEEjLi3ELi128ELi1ELi16EEEvPT_NS1_25CatArrInputTensorMetadataIS5_T0_XT2_EXT3_EEENS1_16TensorSizeStrideIS8_Lj4EEEiS8_.num_agpr, 0
	.set _ZN2at6native12_GLOBAL__N_135CatArrayBatchedCopy_alignedK_contigINS1_10OpaqueTypeILj8EEEjLi3ELi128ELi1ELi16EEEvPT_NS1_25CatArrInputTensorMetadataIS5_T0_XT2_EXT3_EEENS1_16TensorSizeStrideIS8_Lj4EEEiS8_.numbered_sgpr, 26
	.set _ZN2at6native12_GLOBAL__N_135CatArrayBatchedCopy_alignedK_contigINS1_10OpaqueTypeILj8EEEjLi3ELi128ELi1ELi16EEEvPT_NS1_25CatArrInputTensorMetadataIS5_T0_XT2_EXT3_EEENS1_16TensorSizeStrideIS8_Lj4EEEiS8_.num_named_barrier, 0
	.set _ZN2at6native12_GLOBAL__N_135CatArrayBatchedCopy_alignedK_contigINS1_10OpaqueTypeILj8EEEjLi3ELi128ELi1ELi16EEEvPT_NS1_25CatArrInputTensorMetadataIS5_T0_XT2_EXT3_EEENS1_16TensorSizeStrideIS8_Lj4EEEiS8_.private_seg_size, 0
	.set _ZN2at6native12_GLOBAL__N_135CatArrayBatchedCopy_alignedK_contigINS1_10OpaqueTypeILj8EEEjLi3ELi128ELi1ELi16EEEvPT_NS1_25CatArrInputTensorMetadataIS5_T0_XT2_EXT3_EEENS1_16TensorSizeStrideIS8_Lj4EEEiS8_.uses_vcc, 1
	.set _ZN2at6native12_GLOBAL__N_135CatArrayBatchedCopy_alignedK_contigINS1_10OpaqueTypeILj8EEEjLi3ELi128ELi1ELi16EEEvPT_NS1_25CatArrInputTensorMetadataIS5_T0_XT2_EXT3_EEENS1_16TensorSizeStrideIS8_Lj4EEEiS8_.uses_flat_scratch, 0
	.set _ZN2at6native12_GLOBAL__N_135CatArrayBatchedCopy_alignedK_contigINS1_10OpaqueTypeILj8EEEjLi3ELi128ELi1ELi16EEEvPT_NS1_25CatArrInputTensorMetadataIS5_T0_XT2_EXT3_EEENS1_16TensorSizeStrideIS8_Lj4EEEiS8_.has_dyn_sized_stack, 0
	.set _ZN2at6native12_GLOBAL__N_135CatArrayBatchedCopy_alignedK_contigINS1_10OpaqueTypeILj8EEEjLi3ELi128ELi1ELi16EEEvPT_NS1_25CatArrInputTensorMetadataIS5_T0_XT2_EXT3_EEENS1_16TensorSizeStrideIS8_Lj4EEEiS8_.has_recursion, 0
	.set _ZN2at6native12_GLOBAL__N_135CatArrayBatchedCopy_alignedK_contigINS1_10OpaqueTypeILj8EEEjLi3ELi128ELi1ELi16EEEvPT_NS1_25CatArrInputTensorMetadataIS5_T0_XT2_EXT3_EEENS1_16TensorSizeStrideIS8_Lj4EEEiS8_.has_indirect_call, 0
	.section	.AMDGPU.csdata,"",@progbits
; Kernel info:
; codeLenInByte = 1200
; TotalNumSgprs: 32
; NumVgprs: 23
; NumAgprs: 0
; TotalNumVgprs: 23
; ScratchSize: 0
; MemoryBound: 0
; FloatMode: 240
; IeeeMode: 1
; LDSByteSize: 0 bytes/workgroup (compile time only)
; SGPRBlocks: 3
; VGPRBlocks: 2
; NumSGPRsForWavesPerEU: 32
; NumVGPRsForWavesPerEU: 23
; AccumOffset: 24
; Occupancy: 8
; WaveLimiterHint : 1
; COMPUTE_PGM_RSRC2:SCRATCH_EN: 0
; COMPUTE_PGM_RSRC2:USER_SGPR: 2
; COMPUTE_PGM_RSRC2:TRAP_HANDLER: 0
; COMPUTE_PGM_RSRC2:TGID_X_EN: 1
; COMPUTE_PGM_RSRC2:TGID_Y_EN: 1
; COMPUTE_PGM_RSRC2:TGID_Z_EN: 0
; COMPUTE_PGM_RSRC2:TIDIG_COMP_CNT: 0
; COMPUTE_PGM_RSRC3_GFX90A:ACCUM_OFFSET: 5
; COMPUTE_PGM_RSRC3_GFX90A:TG_SPLIT: 0
	.section	.text._ZN2at6native12_GLOBAL__N_135CatArrayBatchedCopy_alignedK_contigINS1_10OpaqueTypeILj8EEEjLi3ELi128ELi1ELi8EEEvPT_NS1_25CatArrInputTensorMetadataIS5_T0_XT2_EXT3_EEENS1_16TensorSizeStrideIS8_Lj4EEEiS8_,"axG",@progbits,_ZN2at6native12_GLOBAL__N_135CatArrayBatchedCopy_alignedK_contigINS1_10OpaqueTypeILj8EEEjLi3ELi128ELi1ELi8EEEvPT_NS1_25CatArrInputTensorMetadataIS5_T0_XT2_EXT3_EEENS1_16TensorSizeStrideIS8_Lj4EEEiS8_,comdat
	.globl	_ZN2at6native12_GLOBAL__N_135CatArrayBatchedCopy_alignedK_contigINS1_10OpaqueTypeILj8EEEjLi3ELi128ELi1ELi8EEEvPT_NS1_25CatArrInputTensorMetadataIS5_T0_XT2_EXT3_EEENS1_16TensorSizeStrideIS8_Lj4EEEiS8_ ; -- Begin function _ZN2at6native12_GLOBAL__N_135CatArrayBatchedCopy_alignedK_contigINS1_10OpaqueTypeILj8EEEjLi3ELi128ELi1ELi8EEEvPT_NS1_25CatArrInputTensorMetadataIS5_T0_XT2_EXT3_EEENS1_16TensorSizeStrideIS8_Lj4EEEiS8_
	.p2align	8
	.type	_ZN2at6native12_GLOBAL__N_135CatArrayBatchedCopy_alignedK_contigINS1_10OpaqueTypeILj8EEEjLi3ELi128ELi1ELi8EEEvPT_NS1_25CatArrInputTensorMetadataIS5_T0_XT2_EXT3_EEENS1_16TensorSizeStrideIS8_Lj4EEEiS8_,@function
_ZN2at6native12_GLOBAL__N_135CatArrayBatchedCopy_alignedK_contigINS1_10OpaqueTypeILj8EEEjLi3ELi128ELi1ELi8EEEvPT_NS1_25CatArrInputTensorMetadataIS5_T0_XT2_EXT3_EEENS1_16TensorSizeStrideIS8_Lj4EEEiS8_: ; @_ZN2at6native12_GLOBAL__N_135CatArrayBatchedCopy_alignedK_contigINS1_10OpaqueTypeILj8EEEjLi3ELi128ELi1ELi8EEEvPT_NS1_25CatArrInputTensorMetadataIS5_T0_XT2_EXT3_EEENS1_16TensorSizeStrideIS8_Lj4EEEiS8_
; %bb.0:
	s_mov_b32 s4, s3
	s_load_dword s3, s[0:1], 0xadc
	s_add_u32 s12, s0, 0xad0
	s_mov_b32 s5, 0
	s_addc_u32 s13, s1, 0
	s_lshl_b64 s[14:15], s[4:5], 2
	s_waitcnt lgkmcnt(0)
	s_and_b32 s18, s3, 0xffff
	s_add_u32 s4, s0, s14
	s_addc_u32 s5, s1, s15
	s_load_dword s16, s[4:5], 0x808
	s_mul_i32 s2, s2, s18
	v_add_u32_e32 v0, s2, v0
	s_add_u32 s17, s4, 8
	s_addc_u32 s19, s5, 0
	s_waitcnt lgkmcnt(0)
	v_cmp_gt_u32_e32 vcc, s16, v0
	s_and_saveexec_b64 s[2:3], vcc
	s_cbranch_execz .LBB72_6
; %bb.1:
	s_add_u32 s20, s17, s14
	s_addc_u32 s21, s19, s15
	s_load_dwordx2 s[8:9], s[0:1], 0xac8
	s_load_dwordx4 s[4:7], s[0:1], 0xab8
	s_load_dwordx2 s[2:3], s[0:1], 0x0
	s_load_dwordx2 s[10:11], s[0:1], 0xaac
	s_sub_u32 s0, 0, s14
	s_subb_u32 s1, 0, s15
	s_add_u32 s14, s20, s0
	s_addc_u32 s15, s21, s1
	s_load_dwordx2 s[0:1], s[20:21], 0x0
	s_waitcnt lgkmcnt(0)
	s_load_dword s7, s[14:15], 0x600
	s_load_dword s22, s[14:15], 0x400
	s_cmp_eq_u32 s8, 2
	s_load_dword s12, s[12:13], 0x0
	s_mov_b32 s14, s5
	s_waitcnt lgkmcnt(0)
	s_cselect_b32 s17, s7, s11
	s_cmp_eq_u32 s8, 1
	s_cselect_b32 s19, s7, s10
	v_cvt_f32_u32_e32 v1, s17
	v_cvt_f32_u32_e32 v2, s19
	s_sub_i32 s20, 0, s17
	s_sub_i32 s21, 0, s19
	v_rcp_iflag_f32_e32 v1, v1
	v_rcp_iflag_f32_e32 v2, v2
	s_mov_b32 s15, s6
	s_mul_i32 s18, s12, s18
	v_mul_f32_e32 v1, 0x4f7ffffe, v1
	v_mul_f32_e32 v2, 0x4f7ffffe, v2
	v_cvt_u32_f32_e32 v1, v1
	v_cvt_u32_f32_e32 v2, v2
	s_mov_b64 s[12:13], 0
	s_mul_i32 s9, s22, s9
	v_mul_lo_u32 v3, s20, v1
	v_mul_lo_u32 v4, s21, v2
	v_mul_hi_u32 v3, v1, v3
	v_mul_hi_u32 v4, v2, v4
	v_add_u32_e32 v1, v1, v3
	v_mov_b32_e32 v3, 0
	v_add_u32_e32 v5, v2, v4
	v_add_u32_e32 v4, 1, v0
.LBB72_2:                               ; =>This Inner Loop Header: Depth=1
	v_add_u32_e32 v2, -1, v4
	v_lshl_add_u64 v[6:7], v[2:3], 3, s[0:1]
	global_load_dwordx2 v[6:7], v[6:7], off
	v_mul_hi_u32 v8, v1, v0
	v_add_u32_e32 v4, s18, v4
	v_mul_lo_u32 v9, s17, v8
	v_not_b32_e32 v8, v8
	v_mul_hi_u32 v10, v2, v1
	v_cmp_lt_u32_e32 vcc, s16, v4
	v_sub_u32_e32 v11, v0, v9
	v_mad_u64_u32 v[8:9], s[22:23], s17, v8, v[0:1]
	v_add_u32_e32 v9, 1, v10
	s_or_b64 s[12:13], vcc, s[12:13]
	v_cmp_le_u32_e32 vcc, s17, v11
	v_add_u32_e32 v0, s18, v0
	s_nop 0
	v_cndmask_b32_e32 v9, v10, v9, vcc
	v_cndmask_b32_e32 v8, v11, v8, vcc
	v_add_u32_e32 v10, 1, v9
	v_cmp_le_u32_e32 vcc, s17, v8
	s_nop 1
	v_cndmask_b32_e32 v10, v9, v10, vcc
	v_mad_u64_u32 v[8:9], s[22:23], s20, v10, v[2:3]
	v_mul_hi_u32 v2, v10, v5
	v_mul_lo_u32 v9, v2, s19
	v_sub_u32_e32 v9, v10, v9
	v_add_u32_e32 v11, 1, v2
	v_cmp_le_u32_e32 vcc, s19, v9
	s_nop 1
	v_cndmask_b32_e32 v2, v2, v11, vcc
	v_subrev_u32_e32 v11, s19, v9
	v_cndmask_b32_e32 v9, v9, v11, vcc
	v_add_u32_e32 v11, 1, v2
	v_cmp_le_u32_e32 vcc, s19, v9
	s_nop 1
	v_cndmask_b32_e32 v2, v2, v11, vcc
	v_mul_lo_u32 v9, v2, s19
	v_mul_lo_u32 v2, v2, s4
	v_sub_u32_e32 v10, v10, v9
	v_mad_u64_u32 v[8:9], s[22:23], v8, s6, v[2:3]
	v_mul_lo_u32 v2, v10, s5
	v_add3_u32 v2, v8, v2, s9
	v_lshl_add_u64 v[8:9], v[2:3], 3, s[2:3]
	s_waitcnt vmcnt(0)
	global_store_dwordx2 v[8:9], v[6:7], off
	s_andn2_b64 exec, exec, s[12:13]
	s_cbranch_execnz .LBB72_2
; %bb.3:
	s_or_b64 exec, exec, s[12:13]
	v_add_u32_e32 v0, -1, v4
	v_cmp_gt_u32_e32 vcc, s16, v0
	s_and_b64 exec, exec, vcc
	s_cbranch_execz .LBB72_6
; %bb.4:
	s_cmp_eq_u32 s8, 2
	s_cselect_b32 s5, s7, s11
	v_cvt_f32_u32_e32 v1, s5
	s_cmp_eq_u32 s8, 1
	s_cselect_b32 s8, s7, s10
	v_cvt_f32_u32_e32 v2, s8
	v_rcp_iflag_f32_e32 v1, v1
	s_sub_i32 s6, 0, s5
	v_mov_b32_e32 v3, 0
	v_rcp_iflag_f32_e32 v2, v2
	v_mul_f32_e32 v1, 0x4f7ffffe, v1
	v_cvt_u32_f32_e32 v1, v1
	v_mov_b32_e32 v5, v3
	v_mul_f32_e32 v2, 0x4f7ffffe, v2
	v_cvt_u32_f32_e32 v2, v2
	v_mul_lo_u32 v4, s6, v1
	v_mul_hi_u32 v4, v1, v4
	s_sub_i32 s6, 0, s8
	v_add_u32_e32 v4, v1, v4
	v_mul_lo_u32 v1, s6, v2
	v_mul_hi_u32 v1, v2, v1
	v_add_u32_e32 v10, v2, v1
	v_mov_b32_e32 v1, v3
	v_mad_u64_u32 v[6:7], s[6:7], v4, v0, 0
	v_lshl_add_u64 v[8:9], v[0:1], 3, s[0:1]
	s_mov_b64 s[6:7], 0
.LBB72_5:                               ; =>This Inner Loop Header: Depth=1
	global_load_dwordx2 v[12:13], v[8:9], off
	v_not_b32_e32 v1, v7
	v_mul_lo_u32 v2, s5, v7
	v_mad_u64_u32 v[14:15], s[0:1], s5, v1, v[0:1]
	v_sub_u32_e32 v1, v0, v2
	v_add_u32_e32 v11, 1, v7
	v_cmp_le_u32_e32 vcc, s5, v1
	v_lshl_add_u64 v[8:9], v[8:9], 0, 8
	s_nop 0
	v_cndmask_b32_e32 v2, v7, v11, vcc
	v_cndmask_b32_e32 v1, v1, v14, vcc
	v_add_u32_e32 v11, 1, v2
	v_cmp_le_u32_e32 vcc, s5, v1
	v_lshl_add_u64 v[6:7], v[6:7], 0, v[4:5]
	s_nop 0
	v_cndmask_b32_e32 v1, v2, v11, vcc
	v_mul_hi_u32 v2, v1, v10
	v_mul_lo_u32 v14, v2, s8
	v_sub_u32_e32 v14, v1, v14
	v_mul_lo_u32 v11, v1, s5
	v_add_u32_e32 v15, 1, v2
	v_cmp_le_u32_e64 s[0:1], s8, v14
	v_sub_u32_e32 v11, v0, v11
	v_add_u32_e32 v0, 1, v0
	v_cndmask_b32_e64 v2, v2, v15, s[0:1]
	v_subrev_u32_e32 v15, s8, v14
	v_cmp_le_u32_e32 vcc, s16, v0
	v_cndmask_b32_e64 v14, v14, v15, s[0:1]
	s_or_b64 s[6:7], vcc, s[6:7]
	v_add_u32_e32 v15, 1, v2
	v_cmp_le_u32_e32 vcc, s8, v14
	v_mul_lo_u32 v11, v11, s15
	s_nop 0
	v_cndmask_b32_e32 v2, v2, v15, vcc
	v_mul_lo_u32 v14, v2, s8
	v_mul_lo_u32 v2, v2, s4
	v_sub_u32_e32 v1, v1, v14
	v_add_u32_e32 v2, s9, v2
	v_mul_lo_u32 v1, v1, s14
	v_add3_u32 v2, v2, v11, v1
	v_lshl_add_u64 v[14:15], v[2:3], 3, s[2:3]
	s_waitcnt vmcnt(0)
	global_store_dwordx2 v[14:15], v[12:13], off
	s_andn2_b64 exec, exec, s[6:7]
	s_cbranch_execnz .LBB72_5
.LBB72_6:
	s_endpgm
	.section	.rodata,"a",@progbits
	.p2align	6, 0x0
	.amdhsa_kernel _ZN2at6native12_GLOBAL__N_135CatArrayBatchedCopy_alignedK_contigINS1_10OpaqueTypeILj8EEEjLi3ELi128ELi1ELi8EEEvPT_NS1_25CatArrInputTensorMetadataIS5_T0_XT2_EXT3_EEENS1_16TensorSizeStrideIS8_Lj4EEEiS8_
		.amdhsa_group_segment_fixed_size 0
		.amdhsa_private_segment_fixed_size 0
		.amdhsa_kernarg_size 3024
		.amdhsa_user_sgpr_count 2
		.amdhsa_user_sgpr_dispatch_ptr 0
		.amdhsa_user_sgpr_queue_ptr 0
		.amdhsa_user_sgpr_kernarg_segment_ptr 1
		.amdhsa_user_sgpr_dispatch_id 0
		.amdhsa_user_sgpr_kernarg_preload_length 0
		.amdhsa_user_sgpr_kernarg_preload_offset 0
		.amdhsa_user_sgpr_private_segment_size 0
		.amdhsa_uses_dynamic_stack 0
		.amdhsa_enable_private_segment 0
		.amdhsa_system_sgpr_workgroup_id_x 1
		.amdhsa_system_sgpr_workgroup_id_y 1
		.amdhsa_system_sgpr_workgroup_id_z 0
		.amdhsa_system_sgpr_workgroup_info 0
		.amdhsa_system_vgpr_workitem_id 0
		.amdhsa_next_free_vgpr 16
		.amdhsa_next_free_sgpr 24
		.amdhsa_accum_offset 16
		.amdhsa_reserve_vcc 1
		.amdhsa_float_round_mode_32 0
		.amdhsa_float_round_mode_16_64 0
		.amdhsa_float_denorm_mode_32 3
		.amdhsa_float_denorm_mode_16_64 3
		.amdhsa_dx10_clamp 1
		.amdhsa_ieee_mode 1
		.amdhsa_fp16_overflow 0
		.amdhsa_tg_split 0
		.amdhsa_exception_fp_ieee_invalid_op 0
		.amdhsa_exception_fp_denorm_src 0
		.amdhsa_exception_fp_ieee_div_zero 0
		.amdhsa_exception_fp_ieee_overflow 0
		.amdhsa_exception_fp_ieee_underflow 0
		.amdhsa_exception_fp_ieee_inexact 0
		.amdhsa_exception_int_div_zero 0
	.end_amdhsa_kernel
	.section	.text._ZN2at6native12_GLOBAL__N_135CatArrayBatchedCopy_alignedK_contigINS1_10OpaqueTypeILj8EEEjLi3ELi128ELi1ELi8EEEvPT_NS1_25CatArrInputTensorMetadataIS5_T0_XT2_EXT3_EEENS1_16TensorSizeStrideIS8_Lj4EEEiS8_,"axG",@progbits,_ZN2at6native12_GLOBAL__N_135CatArrayBatchedCopy_alignedK_contigINS1_10OpaqueTypeILj8EEEjLi3ELi128ELi1ELi8EEEvPT_NS1_25CatArrInputTensorMetadataIS5_T0_XT2_EXT3_EEENS1_16TensorSizeStrideIS8_Lj4EEEiS8_,comdat
.Lfunc_end72:
	.size	_ZN2at6native12_GLOBAL__N_135CatArrayBatchedCopy_alignedK_contigINS1_10OpaqueTypeILj8EEEjLi3ELi128ELi1ELi8EEEvPT_NS1_25CatArrInputTensorMetadataIS5_T0_XT2_EXT3_EEENS1_16TensorSizeStrideIS8_Lj4EEEiS8_, .Lfunc_end72-_ZN2at6native12_GLOBAL__N_135CatArrayBatchedCopy_alignedK_contigINS1_10OpaqueTypeILj8EEEjLi3ELi128ELi1ELi8EEEvPT_NS1_25CatArrInputTensorMetadataIS5_T0_XT2_EXT3_EEENS1_16TensorSizeStrideIS8_Lj4EEEiS8_
                                        ; -- End function
	.set _ZN2at6native12_GLOBAL__N_135CatArrayBatchedCopy_alignedK_contigINS1_10OpaqueTypeILj8EEEjLi3ELi128ELi1ELi8EEEvPT_NS1_25CatArrInputTensorMetadataIS5_T0_XT2_EXT3_EEENS1_16TensorSizeStrideIS8_Lj4EEEiS8_.num_vgpr, 16
	.set _ZN2at6native12_GLOBAL__N_135CatArrayBatchedCopy_alignedK_contigINS1_10OpaqueTypeILj8EEEjLi3ELi128ELi1ELi8EEEvPT_NS1_25CatArrInputTensorMetadataIS5_T0_XT2_EXT3_EEENS1_16TensorSizeStrideIS8_Lj4EEEiS8_.num_agpr, 0
	.set _ZN2at6native12_GLOBAL__N_135CatArrayBatchedCopy_alignedK_contigINS1_10OpaqueTypeILj8EEEjLi3ELi128ELi1ELi8EEEvPT_NS1_25CatArrInputTensorMetadataIS5_T0_XT2_EXT3_EEENS1_16TensorSizeStrideIS8_Lj4EEEiS8_.numbered_sgpr, 24
	.set _ZN2at6native12_GLOBAL__N_135CatArrayBatchedCopy_alignedK_contigINS1_10OpaqueTypeILj8EEEjLi3ELi128ELi1ELi8EEEvPT_NS1_25CatArrInputTensorMetadataIS5_T0_XT2_EXT3_EEENS1_16TensorSizeStrideIS8_Lj4EEEiS8_.num_named_barrier, 0
	.set _ZN2at6native12_GLOBAL__N_135CatArrayBatchedCopy_alignedK_contigINS1_10OpaqueTypeILj8EEEjLi3ELi128ELi1ELi8EEEvPT_NS1_25CatArrInputTensorMetadataIS5_T0_XT2_EXT3_EEENS1_16TensorSizeStrideIS8_Lj4EEEiS8_.private_seg_size, 0
	.set _ZN2at6native12_GLOBAL__N_135CatArrayBatchedCopy_alignedK_contigINS1_10OpaqueTypeILj8EEEjLi3ELi128ELi1ELi8EEEvPT_NS1_25CatArrInputTensorMetadataIS5_T0_XT2_EXT3_EEENS1_16TensorSizeStrideIS8_Lj4EEEiS8_.uses_vcc, 1
	.set _ZN2at6native12_GLOBAL__N_135CatArrayBatchedCopy_alignedK_contigINS1_10OpaqueTypeILj8EEEjLi3ELi128ELi1ELi8EEEvPT_NS1_25CatArrInputTensorMetadataIS5_T0_XT2_EXT3_EEENS1_16TensorSizeStrideIS8_Lj4EEEiS8_.uses_flat_scratch, 0
	.set _ZN2at6native12_GLOBAL__N_135CatArrayBatchedCopy_alignedK_contigINS1_10OpaqueTypeILj8EEEjLi3ELi128ELi1ELi8EEEvPT_NS1_25CatArrInputTensorMetadataIS5_T0_XT2_EXT3_EEENS1_16TensorSizeStrideIS8_Lj4EEEiS8_.has_dyn_sized_stack, 0
	.set _ZN2at6native12_GLOBAL__N_135CatArrayBatchedCopy_alignedK_contigINS1_10OpaqueTypeILj8EEEjLi3ELi128ELi1ELi8EEEvPT_NS1_25CatArrInputTensorMetadataIS5_T0_XT2_EXT3_EEENS1_16TensorSizeStrideIS8_Lj4EEEiS8_.has_recursion, 0
	.set _ZN2at6native12_GLOBAL__N_135CatArrayBatchedCopy_alignedK_contigINS1_10OpaqueTypeILj8EEEjLi3ELi128ELi1ELi8EEEvPT_NS1_25CatArrInputTensorMetadataIS5_T0_XT2_EXT3_EEENS1_16TensorSizeStrideIS8_Lj4EEEiS8_.has_indirect_call, 0
	.section	.AMDGPU.csdata,"",@progbits
; Kernel info:
; codeLenInByte = 984
; TotalNumSgprs: 30
; NumVgprs: 16
; NumAgprs: 0
; TotalNumVgprs: 16
; ScratchSize: 0
; MemoryBound: 0
; FloatMode: 240
; IeeeMode: 1
; LDSByteSize: 0 bytes/workgroup (compile time only)
; SGPRBlocks: 3
; VGPRBlocks: 1
; NumSGPRsForWavesPerEU: 30
; NumVGPRsForWavesPerEU: 16
; AccumOffset: 16
; Occupancy: 8
; WaveLimiterHint : 1
; COMPUTE_PGM_RSRC2:SCRATCH_EN: 0
; COMPUTE_PGM_RSRC2:USER_SGPR: 2
; COMPUTE_PGM_RSRC2:TRAP_HANDLER: 0
; COMPUTE_PGM_RSRC2:TGID_X_EN: 1
; COMPUTE_PGM_RSRC2:TGID_Y_EN: 1
; COMPUTE_PGM_RSRC2:TGID_Z_EN: 0
; COMPUTE_PGM_RSRC2:TIDIG_COMP_CNT: 0
; COMPUTE_PGM_RSRC3_GFX90A:ACCUM_OFFSET: 3
; COMPUTE_PGM_RSRC3_GFX90A:TG_SPLIT: 0
	.section	.text._ZN2at6native12_GLOBAL__N_126CatArrayBatchedCopy_contigINS1_10OpaqueTypeILj8EEEjLi3ELi128ELi1EEEvPT_NS1_25CatArrInputTensorMetadataIS5_T0_XT2_EXT3_EEENS1_16TensorSizeStrideIS8_Lj4EEEiS8_,"axG",@progbits,_ZN2at6native12_GLOBAL__N_126CatArrayBatchedCopy_contigINS1_10OpaqueTypeILj8EEEjLi3ELi128ELi1EEEvPT_NS1_25CatArrInputTensorMetadataIS5_T0_XT2_EXT3_EEENS1_16TensorSizeStrideIS8_Lj4EEEiS8_,comdat
	.globl	_ZN2at6native12_GLOBAL__N_126CatArrayBatchedCopy_contigINS1_10OpaqueTypeILj8EEEjLi3ELi128ELi1EEEvPT_NS1_25CatArrInputTensorMetadataIS5_T0_XT2_EXT3_EEENS1_16TensorSizeStrideIS8_Lj4EEEiS8_ ; -- Begin function _ZN2at6native12_GLOBAL__N_126CatArrayBatchedCopy_contigINS1_10OpaqueTypeILj8EEEjLi3ELi128ELi1EEEvPT_NS1_25CatArrInputTensorMetadataIS5_T0_XT2_EXT3_EEENS1_16TensorSizeStrideIS8_Lj4EEEiS8_
	.p2align	8
	.type	_ZN2at6native12_GLOBAL__N_126CatArrayBatchedCopy_contigINS1_10OpaqueTypeILj8EEEjLi3ELi128ELi1EEEvPT_NS1_25CatArrInputTensorMetadataIS5_T0_XT2_EXT3_EEENS1_16TensorSizeStrideIS8_Lj4EEEiS8_,@function
_ZN2at6native12_GLOBAL__N_126CatArrayBatchedCopy_contigINS1_10OpaqueTypeILj8EEEjLi3ELi128ELi1EEEvPT_NS1_25CatArrInputTensorMetadataIS5_T0_XT2_EXT3_EEENS1_16TensorSizeStrideIS8_Lj4EEEiS8_: ; @_ZN2at6native12_GLOBAL__N_126CatArrayBatchedCopy_contigINS1_10OpaqueTypeILj8EEEjLi3ELi128ELi1EEEvPT_NS1_25CatArrInputTensorMetadataIS5_T0_XT2_EXT3_EEENS1_16TensorSizeStrideIS8_Lj4EEEiS8_
; %bb.0:
	s_mov_b32 s4, s3
	s_load_dword s3, s[0:1], 0xadc
	s_add_u32 s10, s0, 0xad0
	s_mov_b32 s5, 0
	s_addc_u32 s11, s1, 0
	s_lshl_b64 s[8:9], s[4:5], 2
	s_waitcnt lgkmcnt(0)
	s_and_b32 s15, s3, 0xffff
	s_add_u32 s4, s0, s8
	s_addc_u32 s5, s1, s9
	s_load_dword s12, s[4:5], 0x808
	s_mul_i32 s2, s2, s15
	v_add_u32_e32 v0, s2, v0
	s_add_u32 s13, s4, 8
	s_addc_u32 s14, s5, 0
	s_waitcnt lgkmcnt(0)
	v_cmp_gt_u32_e32 vcc, s12, v0
	s_and_saveexec_b64 s[2:3], vcc
	s_cbranch_execz .LBB73_3
; %bb.1:
	s_load_dwordx2 s[16:17], s[0:1], 0xac8
	s_load_dwordx4 s[4:7], s[0:1], 0xab8
	s_load_dwordx2 s[2:3], s[0:1], 0x0
	s_load_dwordx2 s[18:19], s[0:1], 0xaac
	s_add_u32 s0, s13, s8
	s_addc_u32 s1, s14, s9
	s_waitcnt lgkmcnt(0)
	s_sub_u32 s7, 0, s8
	s_subb_u32 s8, 0, s9
	s_add_u32 s20, s0, s7
	s_addc_u32 s21, s1, s8
	s_load_dwordx2 s[8:9], s[0:1], 0x0
	s_load_dword s22, s[20:21], 0x600
	s_load_dword s23, s[20:21], 0x400
	s_cmp_eq_u32 s16, 2
	s_load_dword s0, s[10:11], 0x0
	s_mov_b32 s13, s6
	s_waitcnt lgkmcnt(0)
	s_cselect_b32 s14, s22, s19
	v_cvt_f32_u32_e32 v1, s14
	s_cmp_eq_u32 s16, 1
	s_cselect_b32 s11, s22, s18
	v_cvt_f32_u32_e32 v2, s11
	v_rcp_iflag_f32_e32 v1, v1
	s_mul_i32 s15, s0, s15
	s_sub_i32 s0, 0, s14
	v_rcp_iflag_f32_e32 v2, v2
	v_mul_f32_e32 v1, 0x4f7ffffe, v1
	v_cvt_u32_f32_e32 v1, v1
	s_mov_b64 s[6:7], 0
	v_mul_f32_e32 v2, 0x4f7ffffe, v2
	v_cvt_u32_f32_e32 v4, v2
	v_mul_lo_u32 v3, s0, v1
	v_mul_hi_u32 v3, v1, v3
	s_sub_i32 s0, 0, s11
	v_add_u32_e32 v2, v1, v3
	v_mul_lo_u32 v3, s0, v4
	v_mul_hi_u32 v3, v4, v3
	s_mul_i32 s10, s23, s17
	v_mov_b32_e32 v1, 0
	v_add_u32_e32 v3, v4, v3
.LBB73_2:                               ; =>This Inner Loop Header: Depth=1
	v_lshl_add_u64 v[4:5], v[0:1], 3, s[8:9]
	global_load_dwordx2 v[4:5], v[4:5], off
	v_mul_hi_u32 v6, v2, v0
	v_mul_lo_u32 v8, s14, v6
	v_not_b32_e32 v9, v6
	v_sub_u32_e32 v11, v0, v8
	v_add_u32_e32 v10, 1, v6
	v_mad_u64_u32 v[8:9], s[0:1], s14, v9, v[0:1]
	v_cmp_le_u32_e32 vcc, s14, v11
	v_mov_b32_e32 v7, v1
	s_nop 0
	v_cndmask_b32_e32 v6, v6, v10, vcc
	v_cndmask_b32_e32 v8, v11, v8, vcc
	v_add_u32_e32 v9, 1, v6
	v_cmp_le_u32_e32 vcc, s14, v8
	s_nop 1
	v_cndmask_b32_e32 v6, v6, v9, vcc
	v_mul_hi_u32 v8, v6, v3
	v_mul_lo_u32 v10, v8, s11
	v_sub_u32_e32 v10, v6, v10
	v_mul_lo_u32 v9, v6, s14
	v_add_u32_e32 v11, 1, v8
	v_cmp_le_u32_e64 s[0:1], s11, v10
	v_sub_u32_e32 v9, v0, v9
	v_add_u32_e32 v0, s15, v0
	v_cndmask_b32_e64 v8, v8, v11, s[0:1]
	v_subrev_u32_e32 v11, s11, v10
	v_cmp_le_u32_e32 vcc, s12, v0
	v_cndmask_b32_e64 v10, v10, v11, s[0:1]
	s_or_b64 s[6:7], vcc, s[6:7]
	v_add_u32_e32 v11, 1, v8
	v_cmp_le_u32_e32 vcc, s11, v10
	v_mul_lo_u32 v9, v9, s13
	s_nop 0
	v_cndmask_b32_e32 v8, v8, v11, vcc
	v_mul_lo_u32 v10, v8, s11
	v_mul_lo_u32 v8, v8, s4
	v_sub_u32_e32 v6, v6, v10
	v_add_u32_e32 v8, s10, v8
	v_mul_lo_u32 v6, v6, s5
	v_add3_u32 v6, v8, v9, v6
	v_lshl_add_u64 v[6:7], v[6:7], 3, s[2:3]
	s_waitcnt vmcnt(0)
	global_store_dwordx2 v[6:7], v[4:5], off
	s_andn2_b64 exec, exec, s[6:7]
	s_cbranch_execnz .LBB73_2
.LBB73_3:
	s_endpgm
	.section	.rodata,"a",@progbits
	.p2align	6, 0x0
	.amdhsa_kernel _ZN2at6native12_GLOBAL__N_126CatArrayBatchedCopy_contigINS1_10OpaqueTypeILj8EEEjLi3ELi128ELi1EEEvPT_NS1_25CatArrInputTensorMetadataIS5_T0_XT2_EXT3_EEENS1_16TensorSizeStrideIS8_Lj4EEEiS8_
		.amdhsa_group_segment_fixed_size 0
		.amdhsa_private_segment_fixed_size 0
		.amdhsa_kernarg_size 3024
		.amdhsa_user_sgpr_count 2
		.amdhsa_user_sgpr_dispatch_ptr 0
		.amdhsa_user_sgpr_queue_ptr 0
		.amdhsa_user_sgpr_kernarg_segment_ptr 1
		.amdhsa_user_sgpr_dispatch_id 0
		.amdhsa_user_sgpr_kernarg_preload_length 0
		.amdhsa_user_sgpr_kernarg_preload_offset 0
		.amdhsa_user_sgpr_private_segment_size 0
		.amdhsa_uses_dynamic_stack 0
		.amdhsa_enable_private_segment 0
		.amdhsa_system_sgpr_workgroup_id_x 1
		.amdhsa_system_sgpr_workgroup_id_y 1
		.amdhsa_system_sgpr_workgroup_id_z 0
		.amdhsa_system_sgpr_workgroup_info 0
		.amdhsa_system_vgpr_workitem_id 0
		.amdhsa_next_free_vgpr 12
		.amdhsa_next_free_sgpr 24
		.amdhsa_accum_offset 12
		.amdhsa_reserve_vcc 1
		.amdhsa_float_round_mode_32 0
		.amdhsa_float_round_mode_16_64 0
		.amdhsa_float_denorm_mode_32 3
		.amdhsa_float_denorm_mode_16_64 3
		.amdhsa_dx10_clamp 1
		.amdhsa_ieee_mode 1
		.amdhsa_fp16_overflow 0
		.amdhsa_tg_split 0
		.amdhsa_exception_fp_ieee_invalid_op 0
		.amdhsa_exception_fp_denorm_src 0
		.amdhsa_exception_fp_ieee_div_zero 0
		.amdhsa_exception_fp_ieee_overflow 0
		.amdhsa_exception_fp_ieee_underflow 0
		.amdhsa_exception_fp_ieee_inexact 0
		.amdhsa_exception_int_div_zero 0
	.end_amdhsa_kernel
	.section	.text._ZN2at6native12_GLOBAL__N_126CatArrayBatchedCopy_contigINS1_10OpaqueTypeILj8EEEjLi3ELi128ELi1EEEvPT_NS1_25CatArrInputTensorMetadataIS5_T0_XT2_EXT3_EEENS1_16TensorSizeStrideIS8_Lj4EEEiS8_,"axG",@progbits,_ZN2at6native12_GLOBAL__N_126CatArrayBatchedCopy_contigINS1_10OpaqueTypeILj8EEEjLi3ELi128ELi1EEEvPT_NS1_25CatArrInputTensorMetadataIS5_T0_XT2_EXT3_EEENS1_16TensorSizeStrideIS8_Lj4EEEiS8_,comdat
.Lfunc_end73:
	.size	_ZN2at6native12_GLOBAL__N_126CatArrayBatchedCopy_contigINS1_10OpaqueTypeILj8EEEjLi3ELi128ELi1EEEvPT_NS1_25CatArrInputTensorMetadataIS5_T0_XT2_EXT3_EEENS1_16TensorSizeStrideIS8_Lj4EEEiS8_, .Lfunc_end73-_ZN2at6native12_GLOBAL__N_126CatArrayBatchedCopy_contigINS1_10OpaqueTypeILj8EEEjLi3ELi128ELi1EEEvPT_NS1_25CatArrInputTensorMetadataIS5_T0_XT2_EXT3_EEENS1_16TensorSizeStrideIS8_Lj4EEEiS8_
                                        ; -- End function
	.set _ZN2at6native12_GLOBAL__N_126CatArrayBatchedCopy_contigINS1_10OpaqueTypeILj8EEEjLi3ELi128ELi1EEEvPT_NS1_25CatArrInputTensorMetadataIS5_T0_XT2_EXT3_EEENS1_16TensorSizeStrideIS8_Lj4EEEiS8_.num_vgpr, 12
	.set _ZN2at6native12_GLOBAL__N_126CatArrayBatchedCopy_contigINS1_10OpaqueTypeILj8EEEjLi3ELi128ELi1EEEvPT_NS1_25CatArrInputTensorMetadataIS5_T0_XT2_EXT3_EEENS1_16TensorSizeStrideIS8_Lj4EEEiS8_.num_agpr, 0
	.set _ZN2at6native12_GLOBAL__N_126CatArrayBatchedCopy_contigINS1_10OpaqueTypeILj8EEEjLi3ELi128ELi1EEEvPT_NS1_25CatArrInputTensorMetadataIS5_T0_XT2_EXT3_EEENS1_16TensorSizeStrideIS8_Lj4EEEiS8_.numbered_sgpr, 24
	.set _ZN2at6native12_GLOBAL__N_126CatArrayBatchedCopy_contigINS1_10OpaqueTypeILj8EEEjLi3ELi128ELi1EEEvPT_NS1_25CatArrInputTensorMetadataIS5_T0_XT2_EXT3_EEENS1_16TensorSizeStrideIS8_Lj4EEEiS8_.num_named_barrier, 0
	.set _ZN2at6native12_GLOBAL__N_126CatArrayBatchedCopy_contigINS1_10OpaqueTypeILj8EEEjLi3ELi128ELi1EEEvPT_NS1_25CatArrInputTensorMetadataIS5_T0_XT2_EXT3_EEENS1_16TensorSizeStrideIS8_Lj4EEEiS8_.private_seg_size, 0
	.set _ZN2at6native12_GLOBAL__N_126CatArrayBatchedCopy_contigINS1_10OpaqueTypeILj8EEEjLi3ELi128ELi1EEEvPT_NS1_25CatArrInputTensorMetadataIS5_T0_XT2_EXT3_EEENS1_16TensorSizeStrideIS8_Lj4EEEiS8_.uses_vcc, 1
	.set _ZN2at6native12_GLOBAL__N_126CatArrayBatchedCopy_contigINS1_10OpaqueTypeILj8EEEjLi3ELi128ELi1EEEvPT_NS1_25CatArrInputTensorMetadataIS5_T0_XT2_EXT3_EEENS1_16TensorSizeStrideIS8_Lj4EEEiS8_.uses_flat_scratch, 0
	.set _ZN2at6native12_GLOBAL__N_126CatArrayBatchedCopy_contigINS1_10OpaqueTypeILj8EEEjLi3ELi128ELi1EEEvPT_NS1_25CatArrInputTensorMetadataIS5_T0_XT2_EXT3_EEENS1_16TensorSizeStrideIS8_Lj4EEEiS8_.has_dyn_sized_stack, 0
	.set _ZN2at6native12_GLOBAL__N_126CatArrayBatchedCopy_contigINS1_10OpaqueTypeILj8EEEjLi3ELi128ELi1EEEvPT_NS1_25CatArrInputTensorMetadataIS5_T0_XT2_EXT3_EEENS1_16TensorSizeStrideIS8_Lj4EEEiS8_.has_recursion, 0
	.set _ZN2at6native12_GLOBAL__N_126CatArrayBatchedCopy_contigINS1_10OpaqueTypeILj8EEEjLi3ELi128ELi1EEEvPT_NS1_25CatArrInputTensorMetadataIS5_T0_XT2_EXT3_EEENS1_16TensorSizeStrideIS8_Lj4EEEiS8_.has_indirect_call, 0
	.section	.AMDGPU.csdata,"",@progbits
; Kernel info:
; codeLenInByte = 572
; TotalNumSgprs: 30
; NumVgprs: 12
; NumAgprs: 0
; TotalNumVgprs: 12
; ScratchSize: 0
; MemoryBound: 0
; FloatMode: 240
; IeeeMode: 1
; LDSByteSize: 0 bytes/workgroup (compile time only)
; SGPRBlocks: 3
; VGPRBlocks: 1
; NumSGPRsForWavesPerEU: 30
; NumVGPRsForWavesPerEU: 12
; AccumOffset: 12
; Occupancy: 8
; WaveLimiterHint : 1
; COMPUTE_PGM_RSRC2:SCRATCH_EN: 0
; COMPUTE_PGM_RSRC2:USER_SGPR: 2
; COMPUTE_PGM_RSRC2:TRAP_HANDLER: 0
; COMPUTE_PGM_RSRC2:TGID_X_EN: 1
; COMPUTE_PGM_RSRC2:TGID_Y_EN: 1
; COMPUTE_PGM_RSRC2:TGID_Z_EN: 0
; COMPUTE_PGM_RSRC2:TIDIG_COMP_CNT: 0
; COMPUTE_PGM_RSRC3_GFX90A:ACCUM_OFFSET: 2
; COMPUTE_PGM_RSRC3_GFX90A:TG_SPLIT: 0
	.section	.text._ZN2at6native12_GLOBAL__N_119CatArrayBatchedCopyINS1_10OpaqueTypeILj8EEEjLi3ELi128ELi1EEEvPT_NS1_25CatArrInputTensorMetadataIS5_T0_XT2_EXT3_EEENS1_16TensorSizeStrideIS8_Lj4EEEiS8_,"axG",@progbits,_ZN2at6native12_GLOBAL__N_119CatArrayBatchedCopyINS1_10OpaqueTypeILj8EEEjLi3ELi128ELi1EEEvPT_NS1_25CatArrInputTensorMetadataIS5_T0_XT2_EXT3_EEENS1_16TensorSizeStrideIS8_Lj4EEEiS8_,comdat
	.globl	_ZN2at6native12_GLOBAL__N_119CatArrayBatchedCopyINS1_10OpaqueTypeILj8EEEjLi3ELi128ELi1EEEvPT_NS1_25CatArrInputTensorMetadataIS5_T0_XT2_EXT3_EEENS1_16TensorSizeStrideIS8_Lj4EEEiS8_ ; -- Begin function _ZN2at6native12_GLOBAL__N_119CatArrayBatchedCopyINS1_10OpaqueTypeILj8EEEjLi3ELi128ELi1EEEvPT_NS1_25CatArrInputTensorMetadataIS5_T0_XT2_EXT3_EEENS1_16TensorSizeStrideIS8_Lj4EEEiS8_
	.p2align	8
	.type	_ZN2at6native12_GLOBAL__N_119CatArrayBatchedCopyINS1_10OpaqueTypeILj8EEEjLi3ELi128ELi1EEEvPT_NS1_25CatArrInputTensorMetadataIS5_T0_XT2_EXT3_EEENS1_16TensorSizeStrideIS8_Lj4EEEiS8_,@function
_ZN2at6native12_GLOBAL__N_119CatArrayBatchedCopyINS1_10OpaqueTypeILj8EEEjLi3ELi128ELi1EEEvPT_NS1_25CatArrInputTensorMetadataIS5_T0_XT2_EXT3_EEENS1_16TensorSizeStrideIS8_Lj4EEEiS8_: ; @_ZN2at6native12_GLOBAL__N_119CatArrayBatchedCopyINS1_10OpaqueTypeILj8EEEjLi3ELi128ELi1EEEvPT_NS1_25CatArrInputTensorMetadataIS5_T0_XT2_EXT3_EEENS1_16TensorSizeStrideIS8_Lj4EEEiS8_
; %bb.0:
	s_mov_b32 s12, s3
	s_load_dword s3, s[0:1], 0xadc
	s_or_b32 s18, s0, 8
	s_add_u32 s16, s0, 0xad0
	s_mov_b32 s13, 0
	s_addc_u32 s17, s1, 0
	s_waitcnt lgkmcnt(0)
	s_and_b32 s21, s3, 0xffff
	s_lshl_b64 s[14:15], s[12:13], 2
	s_add_u32 s4, s18, s14
	s_addc_u32 s5, s1, s15
	s_load_dword s20, s[4:5], 0x800
	s_mul_i32 s2, s2, s21
	v_add_u32_e32 v0, s2, v0
	s_waitcnt lgkmcnt(0)
	v_cmp_gt_u32_e32 vcc, s20, v0
	s_and_saveexec_b64 s[2:3], vcc
	s_cbranch_execz .LBB74_5
; %bb.1:
	s_add_u32 s22, s18, s12
	s_addc_u32 s23, s1, 0
	v_mov_b32_e32 v1, 0
	global_load_ubyte v2, v1, s[22:23] offset:2560
	s_mov_b32 s19, s1
	s_load_dwordx2 s[24:25], s[0:1], 0xac8
	s_load_dwordx4 s[4:7], s[0:1], 0xab8
	s_load_dwordx4 s[8:11], s[18:19], 0xa90
	s_waitcnt lgkmcnt(0)
	s_load_dword s7, s[18:19], 0xa94
	s_load_dwordx2 s[2:3], s[0:1], 0x0
	s_load_dwordx2 s[26:27], s[0:1], 0xa8c
	;; [unrolled: 1-line block ×3, first 2 shown]
	s_load_dword s30, s[16:17], 0x0
	s_mul_i32 s16, s12, 7
	s_mul_hi_u32 s11, s12, 7
	s_mov_b64 s[12:13], 0
	s_mov_b32 s9, s10
	s_waitcnt vmcnt(0)
	v_and_b32_e32 v2, 1, v2
	v_cmp_eq_u32_e32 vcc, 1, v2
	s_xor_b64 s[0:1], vcc, -1
	s_add_u32 s16, s22, s16
	s_addc_u32 s17, s23, s11
	s_sub_u32 s10, 0, s14
	s_subb_u32 s11, 0, s15
	s_add_u32 s14, s16, s10
	s_addc_u32 s15, s17, s11
	s_load_dwordx2 s[10:11], s[16:17], 0x0
	s_load_dword s18, s[14:15], 0x400
	s_load_dword s19, s[14:15], 0x600
	s_cmp_eq_u32 s24, 2
	s_waitcnt lgkmcnt(0)
	s_mul_i32 s14, s30, s21
	v_cndmask_b32_e64 v2, 0, 1, s[0:1]
	s_mul_i32 s15, s18, s25
	s_cselect_b32 s16, s19, s29
	s_cselect_b32 s17, s19, s27
	s_cmp_eq_u32 s24, 1
	s_cselect_b32 s18, s19, s28
	s_cselect_b32 s19, s19, s26
	v_cvt_f32_u32_e32 v3, s16
	v_cvt_f32_u32_e32 v4, s17
	;; [unrolled: 1-line block ×4, first 2 shown]
	v_rcp_iflag_f32_e32 v3, v3
	v_rcp_iflag_f32_e32 v4, v4
	;; [unrolled: 1-line block ×4, first 2 shown]
	v_mul_f32_e32 v3, 0x4f7ffffe, v3
	v_mul_f32_e32 v4, 0x4f7ffffe, v4
	v_cvt_u32_f32_e32 v3, v3
	v_mul_f32_e32 v5, 0x4f7ffffe, v5
	v_cvt_u32_f32_e32 v7, v4
	;; [unrolled: 2-line block ×3, first 2 shown]
	v_cvt_u32_f32_e32 v8, v4
	s_sub_i32 s21, 0, s16
	s_sub_i32 s22, 0, s17
	;; [unrolled: 1-line block ×4, first 2 shown]
	v_mul_lo_u32 v4, s21, v3
	v_mul_lo_u32 v5, s22, v7
	v_mul_hi_u32 v4, v3, v4
	v_mul_lo_u32 v9, s0, v6
	v_mul_hi_u32 v5, v7, v5
	v_mul_lo_u32 v10, s1, v8
	v_add_u32_e32 v4, v3, v4
	v_mul_hi_u32 v3, v6, v9
	v_add_u32_e32 v5, v7, v5
	v_mul_hi_u32 v7, v8, v10
	v_add_u32_e32 v6, v6, v3
	v_add_u32_e32 v7, v8, v7
	v_cmp_ne_u32_e64 s[0:1], 1, v2
	s_branch .LBB74_3
.LBB74_2:                               ;   in Loop: Header=BB74_3 Depth=1
	v_lshl_add_u64 v[2:3], v[2:3], 3, s[10:11]
	global_load_dwordx2 v[2:3], v[2:3], off
	v_mul_hi_u32 v10, v4, v0
	v_mad_u64_u32 v[8:9], s[24:25], s21, v10, v[0:1]
	v_not_b32_e32 v11, v10
	v_add_u32_e32 v9, 1, v10
	v_cmp_le_u32_e32 vcc, s16, v8
	s_nop 1
	v_cndmask_b32_e32 v9, v10, v9, vcc
	v_mad_u64_u32 v[10:11], s[24:25], s16, v11, v[0:1]
	v_cndmask_b32_e32 v8, v8, v10, vcc
	v_add_u32_e32 v10, 1, v9
	v_cmp_le_u32_e32 vcc, s16, v8
	s_nop 1
	v_cndmask_b32_e32 v10, v9, v10, vcc
	v_mad_u64_u32 v[8:9], s[24:25], s21, v10, v[0:1]
	v_mul_hi_u32 v9, v10, v6
	v_mul_lo_u32 v11, v9, s18
	v_sub_u32_e32 v11, v10, v11
	v_add_u32_e32 v12, 1, v9
	v_cmp_le_u32_e32 vcc, s18, v11
	v_add_u32_e32 v0, s14, v0
	s_nop 0
	v_cndmask_b32_e32 v9, v9, v12, vcc
	v_subrev_u32_e32 v12, s18, v11
	v_cndmask_b32_e32 v11, v11, v12, vcc
	v_add_u32_e32 v12, 1, v9
	v_cmp_le_u32_e32 vcc, s18, v11
	s_nop 1
	v_cndmask_b32_e32 v9, v9, v12, vcc
	v_mul_lo_u32 v11, v9, s18
	v_sub_u32_e32 v10, v10, v11
	v_mul_lo_u32 v11, v10, s5
	v_mul_lo_u32 v10, v9, s4
	v_mad_u64_u32 v[8:9], s[24:25], v8, s6, v[10:11]
	v_add3_u32 v8, v8, v11, s15
	v_mov_b32_e32 v9, v1
	v_cmp_le_u32_e32 vcc, s20, v0
	v_lshl_add_u64 v[8:9], v[8:9], 3, s[2:3]
	s_or_b64 s[12:13], vcc, s[12:13]
	s_waitcnt vmcnt(0)
	global_store_dwordx2 v[8:9], v[2:3], off
	s_andn2_b64 exec, exec, s[12:13]
	s_cbranch_execz .LBB74_5
.LBB74_3:                               ; =>This Inner Loop Header: Depth=1
	s_and_b64 vcc, exec, s[0:1]
	v_mov_b64_e32 v[2:3], v[0:1]
	s_cbranch_vccnz .LBB74_2
; %bb.4:                                ;   in Loop: Header=BB74_3 Depth=1
	v_mul_hi_u32 v8, v5, v0
	v_mad_u64_u32 v[2:3], s[24:25], s22, v8, v[0:1]
	v_not_b32_e32 v9, v8
	v_add_u32_e32 v3, 1, v8
	v_cmp_le_u32_e32 vcc, s17, v2
	s_nop 1
	v_cndmask_b32_e32 v3, v8, v3, vcc
	v_mad_u64_u32 v[8:9], s[24:25], s17, v9, v[0:1]
	v_cndmask_b32_e32 v2, v2, v8, vcc
	v_add_u32_e32 v8, 1, v3
	v_cmp_le_u32_e32 vcc, s17, v2
	s_nop 1
	v_cndmask_b32_e32 v8, v3, v8, vcc
	v_mad_u64_u32 v[2:3], s[24:25], s22, v8, v[0:1]
	v_mul_hi_u32 v3, v8, v7
	v_mul_lo_u32 v9, v3, s19
	v_sub_u32_e32 v9, v8, v9
	v_add_u32_e32 v10, 1, v3
	v_cmp_le_u32_e32 vcc, s19, v9
	v_mul_lo_u32 v2, v2, s9
	s_nop 0
	v_cndmask_b32_e32 v3, v3, v10, vcc
	v_subrev_u32_e32 v10, s19, v9
	v_cndmask_b32_e32 v9, v9, v10, vcc
	v_add_u32_e32 v10, 1, v3
	v_cmp_le_u32_e32 vcc, s19, v9
	s_nop 1
	v_cndmask_b32_e32 v3, v3, v10, vcc
	v_mul_lo_u32 v9, v3, s19
	v_sub_u32_e32 v8, v8, v9
	v_mul_lo_u32 v8, v8, s7
	v_mul_lo_u32 v3, v3, s8
	v_add3_u32 v2, v2, v3, v8
	v_mov_b32_e32 v3, v1
	s_branch .LBB74_2
.LBB74_5:
	s_endpgm
	.section	.rodata,"a",@progbits
	.p2align	6, 0x0
	.amdhsa_kernel _ZN2at6native12_GLOBAL__N_119CatArrayBatchedCopyINS1_10OpaqueTypeILj8EEEjLi3ELi128ELi1EEEvPT_NS1_25CatArrInputTensorMetadataIS5_T0_XT2_EXT3_EEENS1_16TensorSizeStrideIS8_Lj4EEEiS8_
		.amdhsa_group_segment_fixed_size 0
		.amdhsa_private_segment_fixed_size 0
		.amdhsa_kernarg_size 3024
		.amdhsa_user_sgpr_count 2
		.amdhsa_user_sgpr_dispatch_ptr 0
		.amdhsa_user_sgpr_queue_ptr 0
		.amdhsa_user_sgpr_kernarg_segment_ptr 1
		.amdhsa_user_sgpr_dispatch_id 0
		.amdhsa_user_sgpr_kernarg_preload_length 0
		.amdhsa_user_sgpr_kernarg_preload_offset 0
		.amdhsa_user_sgpr_private_segment_size 0
		.amdhsa_uses_dynamic_stack 0
		.amdhsa_enable_private_segment 0
		.amdhsa_system_sgpr_workgroup_id_x 1
		.amdhsa_system_sgpr_workgroup_id_y 1
		.amdhsa_system_sgpr_workgroup_id_z 0
		.amdhsa_system_sgpr_workgroup_info 0
		.amdhsa_system_vgpr_workitem_id 0
		.amdhsa_next_free_vgpr 13
		.amdhsa_next_free_sgpr 31
		.amdhsa_accum_offset 16
		.amdhsa_reserve_vcc 1
		.amdhsa_float_round_mode_32 0
		.amdhsa_float_round_mode_16_64 0
		.amdhsa_float_denorm_mode_32 3
		.amdhsa_float_denorm_mode_16_64 3
		.amdhsa_dx10_clamp 1
		.amdhsa_ieee_mode 1
		.amdhsa_fp16_overflow 0
		.amdhsa_tg_split 0
		.amdhsa_exception_fp_ieee_invalid_op 0
		.amdhsa_exception_fp_denorm_src 0
		.amdhsa_exception_fp_ieee_div_zero 0
		.amdhsa_exception_fp_ieee_overflow 0
		.amdhsa_exception_fp_ieee_underflow 0
		.amdhsa_exception_fp_ieee_inexact 0
		.amdhsa_exception_int_div_zero 0
	.end_amdhsa_kernel
	.section	.text._ZN2at6native12_GLOBAL__N_119CatArrayBatchedCopyINS1_10OpaqueTypeILj8EEEjLi3ELi128ELi1EEEvPT_NS1_25CatArrInputTensorMetadataIS5_T0_XT2_EXT3_EEENS1_16TensorSizeStrideIS8_Lj4EEEiS8_,"axG",@progbits,_ZN2at6native12_GLOBAL__N_119CatArrayBatchedCopyINS1_10OpaqueTypeILj8EEEjLi3ELi128ELi1EEEvPT_NS1_25CatArrInputTensorMetadataIS5_T0_XT2_EXT3_EEENS1_16TensorSizeStrideIS8_Lj4EEEiS8_,comdat
.Lfunc_end74:
	.size	_ZN2at6native12_GLOBAL__N_119CatArrayBatchedCopyINS1_10OpaqueTypeILj8EEEjLi3ELi128ELi1EEEvPT_NS1_25CatArrInputTensorMetadataIS5_T0_XT2_EXT3_EEENS1_16TensorSizeStrideIS8_Lj4EEEiS8_, .Lfunc_end74-_ZN2at6native12_GLOBAL__N_119CatArrayBatchedCopyINS1_10OpaqueTypeILj8EEEjLi3ELi128ELi1EEEvPT_NS1_25CatArrInputTensorMetadataIS5_T0_XT2_EXT3_EEENS1_16TensorSizeStrideIS8_Lj4EEEiS8_
                                        ; -- End function
	.set _ZN2at6native12_GLOBAL__N_119CatArrayBatchedCopyINS1_10OpaqueTypeILj8EEEjLi3ELi128ELi1EEEvPT_NS1_25CatArrInputTensorMetadataIS5_T0_XT2_EXT3_EEENS1_16TensorSizeStrideIS8_Lj4EEEiS8_.num_vgpr, 13
	.set _ZN2at6native12_GLOBAL__N_119CatArrayBatchedCopyINS1_10OpaqueTypeILj8EEEjLi3ELi128ELi1EEEvPT_NS1_25CatArrInputTensorMetadataIS5_T0_XT2_EXT3_EEENS1_16TensorSizeStrideIS8_Lj4EEEiS8_.num_agpr, 0
	.set _ZN2at6native12_GLOBAL__N_119CatArrayBatchedCopyINS1_10OpaqueTypeILj8EEEjLi3ELi128ELi1EEEvPT_NS1_25CatArrInputTensorMetadataIS5_T0_XT2_EXT3_EEENS1_16TensorSizeStrideIS8_Lj4EEEiS8_.numbered_sgpr, 31
	.set _ZN2at6native12_GLOBAL__N_119CatArrayBatchedCopyINS1_10OpaqueTypeILj8EEEjLi3ELi128ELi1EEEvPT_NS1_25CatArrInputTensorMetadataIS5_T0_XT2_EXT3_EEENS1_16TensorSizeStrideIS8_Lj4EEEiS8_.num_named_barrier, 0
	.set _ZN2at6native12_GLOBAL__N_119CatArrayBatchedCopyINS1_10OpaqueTypeILj8EEEjLi3ELi128ELi1EEEvPT_NS1_25CatArrInputTensorMetadataIS5_T0_XT2_EXT3_EEENS1_16TensorSizeStrideIS8_Lj4EEEiS8_.private_seg_size, 0
	.set _ZN2at6native12_GLOBAL__N_119CatArrayBatchedCopyINS1_10OpaqueTypeILj8EEEjLi3ELi128ELi1EEEvPT_NS1_25CatArrInputTensorMetadataIS5_T0_XT2_EXT3_EEENS1_16TensorSizeStrideIS8_Lj4EEEiS8_.uses_vcc, 1
	.set _ZN2at6native12_GLOBAL__N_119CatArrayBatchedCopyINS1_10OpaqueTypeILj8EEEjLi3ELi128ELi1EEEvPT_NS1_25CatArrInputTensorMetadataIS5_T0_XT2_EXT3_EEENS1_16TensorSizeStrideIS8_Lj4EEEiS8_.uses_flat_scratch, 0
	.set _ZN2at6native12_GLOBAL__N_119CatArrayBatchedCopyINS1_10OpaqueTypeILj8EEEjLi3ELi128ELi1EEEvPT_NS1_25CatArrInputTensorMetadataIS5_T0_XT2_EXT3_EEENS1_16TensorSizeStrideIS8_Lj4EEEiS8_.has_dyn_sized_stack, 0
	.set _ZN2at6native12_GLOBAL__N_119CatArrayBatchedCopyINS1_10OpaqueTypeILj8EEEjLi3ELi128ELi1EEEvPT_NS1_25CatArrInputTensorMetadataIS5_T0_XT2_EXT3_EEENS1_16TensorSizeStrideIS8_Lj4EEEiS8_.has_recursion, 0
	.set _ZN2at6native12_GLOBAL__N_119CatArrayBatchedCopyINS1_10OpaqueTypeILj8EEEjLi3ELi128ELi1EEEvPT_NS1_25CatArrInputTensorMetadataIS5_T0_XT2_EXT3_EEENS1_16TensorSizeStrideIS8_Lj4EEEiS8_.has_indirect_call, 0
	.section	.AMDGPU.csdata,"",@progbits
; Kernel info:
; codeLenInByte = 928
; TotalNumSgprs: 37
; NumVgprs: 13
; NumAgprs: 0
; TotalNumVgprs: 13
; ScratchSize: 0
; MemoryBound: 0
; FloatMode: 240
; IeeeMode: 1
; LDSByteSize: 0 bytes/workgroup (compile time only)
; SGPRBlocks: 4
; VGPRBlocks: 1
; NumSGPRsForWavesPerEU: 37
; NumVGPRsForWavesPerEU: 13
; AccumOffset: 16
; Occupancy: 8
; WaveLimiterHint : 1
; COMPUTE_PGM_RSRC2:SCRATCH_EN: 0
; COMPUTE_PGM_RSRC2:USER_SGPR: 2
; COMPUTE_PGM_RSRC2:TRAP_HANDLER: 0
; COMPUTE_PGM_RSRC2:TGID_X_EN: 1
; COMPUTE_PGM_RSRC2:TGID_Y_EN: 1
; COMPUTE_PGM_RSRC2:TGID_Z_EN: 0
; COMPUTE_PGM_RSRC2:TIDIG_COMP_CNT: 0
; COMPUTE_PGM_RSRC3_GFX90A:ACCUM_OFFSET: 3
; COMPUTE_PGM_RSRC3_GFX90A:TG_SPLIT: 0
	.section	.text._ZN2at6native12_GLOBAL__N_130CatArrayBatchedCopy_vectorizedINS1_10OpaqueTypeILj8EEEjLi4ELi128ELi1ELi16ELi2EEEvPcNS1_25CatArrInputTensorMetadataIT_T0_XT2_EXT3_EEENS1_16TensorSizeStrideIS8_Lj4EEEiS8_,"axG",@progbits,_ZN2at6native12_GLOBAL__N_130CatArrayBatchedCopy_vectorizedINS1_10OpaqueTypeILj8EEEjLi4ELi128ELi1ELi16ELi2EEEvPcNS1_25CatArrInputTensorMetadataIT_T0_XT2_EXT3_EEENS1_16TensorSizeStrideIS8_Lj4EEEiS8_,comdat
	.globl	_ZN2at6native12_GLOBAL__N_130CatArrayBatchedCopy_vectorizedINS1_10OpaqueTypeILj8EEEjLi4ELi128ELi1ELi16ELi2EEEvPcNS1_25CatArrInputTensorMetadataIT_T0_XT2_EXT3_EEENS1_16TensorSizeStrideIS8_Lj4EEEiS8_ ; -- Begin function _ZN2at6native12_GLOBAL__N_130CatArrayBatchedCopy_vectorizedINS1_10OpaqueTypeILj8EEEjLi4ELi128ELi1ELi16ELi2EEEvPcNS1_25CatArrInputTensorMetadataIT_T0_XT2_EXT3_EEENS1_16TensorSizeStrideIS8_Lj4EEEiS8_
	.p2align	8
	.type	_ZN2at6native12_GLOBAL__N_130CatArrayBatchedCopy_vectorizedINS1_10OpaqueTypeILj8EEEjLi4ELi128ELi1ELi16ELi2EEEvPcNS1_25CatArrInputTensorMetadataIT_T0_XT2_EXT3_EEENS1_16TensorSizeStrideIS8_Lj4EEEiS8_,@function
_ZN2at6native12_GLOBAL__N_130CatArrayBatchedCopy_vectorizedINS1_10OpaqueTypeILj8EEEjLi4ELi128ELi1ELi16ELi2EEEvPcNS1_25CatArrInputTensorMetadataIT_T0_XT2_EXT3_EEENS1_16TensorSizeStrideIS8_Lj4EEEiS8_: ; @_ZN2at6native12_GLOBAL__N_130CatArrayBatchedCopy_vectorizedINS1_10OpaqueTypeILj8EEEjLi4ELi128ELi1ELi16ELi2EEEvPcNS1_25CatArrInputTensorMetadataIT_T0_XT2_EXT3_EEENS1_16TensorSizeStrideIS8_Lj4EEEiS8_
; %bb.0:
	s_mov_b32 s12, s3
	s_load_dword s3, s[0:1], 0xadc
	s_add_u32 s14, s0, 0xad0
	s_mov_b32 s13, 0
	s_addc_u32 s15, s1, 0
	s_lshl_b64 s[16:17], s[12:13], 2
	s_waitcnt lgkmcnt(0)
	s_and_b32 s19, s3, 0xffff
	s_add_u32 s4, s0, s16
	s_addc_u32 s5, s1, s17
	s_load_dword s6, s[4:5], 0x808
	s_mul_i32 s2, s2, s19
	v_add_u32_e32 v0, s2, v0
	s_add_u32 s2, s4, 8
	s_addc_u32 s3, s5, 0
	s_waitcnt lgkmcnt(0)
	s_lshr_b32 s18, s6, 1
	v_cmp_gt_u32_e32 vcc, s18, v0
	s_and_saveexec_b64 s[4:5], vcc
	s_cbranch_execz .LBB75_3
; %bb.1:
	s_add_u32 s2, s2, s16
	s_addc_u32 s3, s3, s17
	s_load_dwordx4 s[4:7], s[0:1], 0xab8
	s_load_dwordx2 s[20:21], s[0:1], 0xac8
	s_load_dwordx2 s[22:23], s[0:1], 0x0
	s_load_dwordx4 s[8:11], s[0:1], 0xaac
	s_sub_u32 s0, 0, s16
	s_subb_u32 s1, 0, s17
	s_add_u32 s16, s2, s0
	s_addc_u32 s17, s3, s1
	s_waitcnt lgkmcnt(0)
	s_load_dword s11, s[16:17], 0x400
	s_load_dwordx2 s[0:1], s[2:3], 0x0
	s_load_dword s24, s[16:17], 0x600
	s_load_dword s25, s[14:15], 0x0
	s_mov_b64 s[2:3], 0
	s_waitcnt lgkmcnt(0)
	s_mul_i32 s11, s11, s21
	s_lshr_b32 s12, s11, 1
	s_mul_i32 s24, s24, s21
	s_lshr_b32 s16, s24, 1
	s_lshl_b64 s[14:15], s[12:13], 4
	s_cmp_eq_u32 s20, 3
	s_cselect_b32 s10, s16, s10
	v_cvt_f32_u32_e32 v1, s10
	s_cmp_eq_u32 s20, 2
	s_cselect_b32 s12, s16, s9
	s_cmp_eq_u32 s20, 1
	v_rcp_iflag_f32_e32 v1, v1
	v_cvt_f32_u32_e32 v2, s12
	s_cselect_b32 s13, s16, s8
	s_add_u32 s8, s22, s14
	v_mul_f32_e32 v1, 0x4f7ffffe, v1
	v_cvt_u32_f32_e32 v1, v1
	s_addc_u32 s9, s23, s15
	s_sub_i32 s14, 0, s10
	v_rcp_iflag_f32_e32 v4, v2
	v_mul_lo_u32 v3, s14, v1
	v_mul_hi_u32 v2, v1, v3
	v_cvt_f32_u32_e32 v3, s13
	v_add_u32_e32 v2, v1, v2
	v_mul_f32_e32 v1, 0x4f7ffffe, v4
	v_cvt_u32_f32_e32 v4, v1
	v_rcp_iflag_f32_e32 v3, v3
	s_sub_i32 s15, 0, s12
	s_mul_i32 s11, s25, s19
	v_mul_lo_u32 v5, s15, v4
	v_mul_f32_e32 v3, 0x4f7ffffe, v3
	v_cvt_u32_f32_e32 v6, v3
	v_mul_hi_u32 v3, v4, v5
	s_sub_i32 s15, 0, s13
	v_add_u32_e32 v3, v4, v3
	v_mul_lo_u32 v4, s15, v6
	v_mul_hi_u32 v4, v6, v4
	v_mov_b32_e32 v1, 0
	v_add_u32_e32 v4, v6, v4
.LBB75_2:                               ; =>This Inner Loop Header: Depth=1
	v_lshl_add_u64 v[6:7], v[0:1], 4, s[0:1]
	global_load_dwordx4 v[6:9], v[6:7], off
	v_mul_hi_u32 v5, v2, v0
	v_mul_lo_u32 v10, s10, v5
	v_not_b32_e32 v12, v5
	v_sub_u32_e32 v10, v0, v10
	v_add_u32_e32 v14, 1, v5
	v_mad_u64_u32 v[12:13], s[16:17], s10, v12, v[0:1]
	v_cmp_le_u32_e32 vcc, s10, v10
	v_mov_b32_e32 v11, v1
	s_nop 0
	v_cndmask_b32_e32 v5, v5, v14, vcc
	v_cndmask_b32_e32 v10, v10, v12, vcc
	v_add_u32_e32 v12, 1, v5
	v_cmp_le_u32_e32 vcc, s10, v10
	s_nop 1
	v_cndmask_b32_e32 v5, v5, v12, vcc
	v_mul_hi_u32 v14, v5, v3
	v_mad_u64_u32 v[12:13], s[16:17], s14, v5, v[0:1]
	v_add_u32_e32 v0, s11, v0
	v_mul_lo_u32 v13, v14, s12
	v_mul_lo_u32 v10, v12, s7
	v_cmp_le_u32_e32 vcc, s18, v0
	v_sub_u32_e32 v12, v5, v13
	v_add_u32_e32 v15, 1, v14
	s_or_b64 s[2:3], vcc, s[2:3]
	v_cmp_le_u32_e32 vcc, s12, v12
	s_nop 1
	v_cndmask_b32_e32 v13, v14, v15, vcc
	v_subrev_u32_e32 v14, s12, v12
	v_cndmask_b32_e32 v12, v12, v14, vcc
	v_add_u32_e32 v14, 1, v13
	v_cmp_le_u32_e32 vcc, s12, v12
	s_nop 1
	v_cndmask_b32_e32 v14, v13, v14, vcc
	v_mul_lo_u32 v12, v14, s12
	v_mul_hi_u32 v13, v14, v4
	v_sub_u32_e32 v5, v5, v12
	v_mul_lo_u32 v12, v13, s13
	v_sub_u32_e32 v12, v14, v12
	v_add_u32_e32 v15, 1, v13
	v_cmp_le_u32_e32 vcc, s13, v12
	v_mul_lo_u32 v5, v5, s6
	s_nop 0
	v_cndmask_b32_e32 v13, v13, v15, vcc
	v_subrev_u32_e32 v15, s13, v12
	v_cndmask_b32_e32 v12, v12, v15, vcc
	v_add_u32_e32 v15, 1, v13
	v_cmp_le_u32_e32 vcc, s13, v12
	s_nop 1
	v_cndmask_b32_e32 v12, v13, v15, vcc
	v_mul_lo_u32 v15, v12, s13
	v_mad_u64_u32 v[12:13], s[16:17], v12, s4, v[10:11]
	v_sub_u32_e32 v10, v14, v15
	v_mul_lo_u32 v10, v10, s5
	v_add3_u32 v10, v12, v5, v10
	v_lshl_add_u64 v[10:11], v[10:11], 4, s[8:9]
	s_waitcnt vmcnt(0)
	global_store_dwordx4 v[10:11], v[6:9], off
	s_andn2_b64 exec, exec, s[2:3]
	s_cbranch_execnz .LBB75_2
.LBB75_3:
	s_endpgm
	.section	.rodata,"a",@progbits
	.p2align	6, 0x0
	.amdhsa_kernel _ZN2at6native12_GLOBAL__N_130CatArrayBatchedCopy_vectorizedINS1_10OpaqueTypeILj8EEEjLi4ELi128ELi1ELi16ELi2EEEvPcNS1_25CatArrInputTensorMetadataIT_T0_XT2_EXT3_EEENS1_16TensorSizeStrideIS8_Lj4EEEiS8_
		.amdhsa_group_segment_fixed_size 0
		.amdhsa_private_segment_fixed_size 0
		.amdhsa_kernarg_size 3024
		.amdhsa_user_sgpr_count 2
		.amdhsa_user_sgpr_dispatch_ptr 0
		.amdhsa_user_sgpr_queue_ptr 0
		.amdhsa_user_sgpr_kernarg_segment_ptr 1
		.amdhsa_user_sgpr_dispatch_id 0
		.amdhsa_user_sgpr_kernarg_preload_length 0
		.amdhsa_user_sgpr_kernarg_preload_offset 0
		.amdhsa_user_sgpr_private_segment_size 0
		.amdhsa_uses_dynamic_stack 0
		.amdhsa_enable_private_segment 0
		.amdhsa_system_sgpr_workgroup_id_x 1
		.amdhsa_system_sgpr_workgroup_id_y 1
		.amdhsa_system_sgpr_workgroup_id_z 0
		.amdhsa_system_sgpr_workgroup_info 0
		.amdhsa_system_vgpr_workitem_id 0
		.amdhsa_next_free_vgpr 16
		.amdhsa_next_free_sgpr 26
		.amdhsa_accum_offset 16
		.amdhsa_reserve_vcc 1
		.amdhsa_float_round_mode_32 0
		.amdhsa_float_round_mode_16_64 0
		.amdhsa_float_denorm_mode_32 3
		.amdhsa_float_denorm_mode_16_64 3
		.amdhsa_dx10_clamp 1
		.amdhsa_ieee_mode 1
		.amdhsa_fp16_overflow 0
		.amdhsa_tg_split 0
		.amdhsa_exception_fp_ieee_invalid_op 0
		.amdhsa_exception_fp_denorm_src 0
		.amdhsa_exception_fp_ieee_div_zero 0
		.amdhsa_exception_fp_ieee_overflow 0
		.amdhsa_exception_fp_ieee_underflow 0
		.amdhsa_exception_fp_ieee_inexact 0
		.amdhsa_exception_int_div_zero 0
	.end_amdhsa_kernel
	.section	.text._ZN2at6native12_GLOBAL__N_130CatArrayBatchedCopy_vectorizedINS1_10OpaqueTypeILj8EEEjLi4ELi128ELi1ELi16ELi2EEEvPcNS1_25CatArrInputTensorMetadataIT_T0_XT2_EXT3_EEENS1_16TensorSizeStrideIS8_Lj4EEEiS8_,"axG",@progbits,_ZN2at6native12_GLOBAL__N_130CatArrayBatchedCopy_vectorizedINS1_10OpaqueTypeILj8EEEjLi4ELi128ELi1ELi16ELi2EEEvPcNS1_25CatArrInputTensorMetadataIT_T0_XT2_EXT3_EEENS1_16TensorSizeStrideIS8_Lj4EEEiS8_,comdat
.Lfunc_end75:
	.size	_ZN2at6native12_GLOBAL__N_130CatArrayBatchedCopy_vectorizedINS1_10OpaqueTypeILj8EEEjLi4ELi128ELi1ELi16ELi2EEEvPcNS1_25CatArrInputTensorMetadataIT_T0_XT2_EXT3_EEENS1_16TensorSizeStrideIS8_Lj4EEEiS8_, .Lfunc_end75-_ZN2at6native12_GLOBAL__N_130CatArrayBatchedCopy_vectorizedINS1_10OpaqueTypeILj8EEEjLi4ELi128ELi1ELi16ELi2EEEvPcNS1_25CatArrInputTensorMetadataIT_T0_XT2_EXT3_EEENS1_16TensorSizeStrideIS8_Lj4EEEiS8_
                                        ; -- End function
	.set _ZN2at6native12_GLOBAL__N_130CatArrayBatchedCopy_vectorizedINS1_10OpaqueTypeILj8EEEjLi4ELi128ELi1ELi16ELi2EEEvPcNS1_25CatArrInputTensorMetadataIT_T0_XT2_EXT3_EEENS1_16TensorSizeStrideIS8_Lj4EEEiS8_.num_vgpr, 16
	.set _ZN2at6native12_GLOBAL__N_130CatArrayBatchedCopy_vectorizedINS1_10OpaqueTypeILj8EEEjLi4ELi128ELi1ELi16ELi2EEEvPcNS1_25CatArrInputTensorMetadataIT_T0_XT2_EXT3_EEENS1_16TensorSizeStrideIS8_Lj4EEEiS8_.num_agpr, 0
	.set _ZN2at6native12_GLOBAL__N_130CatArrayBatchedCopy_vectorizedINS1_10OpaqueTypeILj8EEEjLi4ELi128ELi1ELi16ELi2EEEvPcNS1_25CatArrInputTensorMetadataIT_T0_XT2_EXT3_EEENS1_16TensorSizeStrideIS8_Lj4EEEiS8_.numbered_sgpr, 26
	.set _ZN2at6native12_GLOBAL__N_130CatArrayBatchedCopy_vectorizedINS1_10OpaqueTypeILj8EEEjLi4ELi128ELi1ELi16ELi2EEEvPcNS1_25CatArrInputTensorMetadataIT_T0_XT2_EXT3_EEENS1_16TensorSizeStrideIS8_Lj4EEEiS8_.num_named_barrier, 0
	.set _ZN2at6native12_GLOBAL__N_130CatArrayBatchedCopy_vectorizedINS1_10OpaqueTypeILj8EEEjLi4ELi128ELi1ELi16ELi2EEEvPcNS1_25CatArrInputTensorMetadataIT_T0_XT2_EXT3_EEENS1_16TensorSizeStrideIS8_Lj4EEEiS8_.private_seg_size, 0
	.set _ZN2at6native12_GLOBAL__N_130CatArrayBatchedCopy_vectorizedINS1_10OpaqueTypeILj8EEEjLi4ELi128ELi1ELi16ELi2EEEvPcNS1_25CatArrInputTensorMetadataIT_T0_XT2_EXT3_EEENS1_16TensorSizeStrideIS8_Lj4EEEiS8_.uses_vcc, 1
	.set _ZN2at6native12_GLOBAL__N_130CatArrayBatchedCopy_vectorizedINS1_10OpaqueTypeILj8EEEjLi4ELi128ELi1ELi16ELi2EEEvPcNS1_25CatArrInputTensorMetadataIT_T0_XT2_EXT3_EEENS1_16TensorSizeStrideIS8_Lj4EEEiS8_.uses_flat_scratch, 0
	.set _ZN2at6native12_GLOBAL__N_130CatArrayBatchedCopy_vectorizedINS1_10OpaqueTypeILj8EEEjLi4ELi128ELi1ELi16ELi2EEEvPcNS1_25CatArrInputTensorMetadataIT_T0_XT2_EXT3_EEENS1_16TensorSizeStrideIS8_Lj4EEEiS8_.has_dyn_sized_stack, 0
	.set _ZN2at6native12_GLOBAL__N_130CatArrayBatchedCopy_vectorizedINS1_10OpaqueTypeILj8EEEjLi4ELi128ELi1ELi16ELi2EEEvPcNS1_25CatArrInputTensorMetadataIT_T0_XT2_EXT3_EEENS1_16TensorSizeStrideIS8_Lj4EEEiS8_.has_recursion, 0
	.set _ZN2at6native12_GLOBAL__N_130CatArrayBatchedCopy_vectorizedINS1_10OpaqueTypeILj8EEEjLi4ELi128ELi1ELi16ELi2EEEvPcNS1_25CatArrInputTensorMetadataIT_T0_XT2_EXT3_EEENS1_16TensorSizeStrideIS8_Lj4EEEiS8_.has_indirect_call, 0
	.section	.AMDGPU.csdata,"",@progbits
; Kernel info:
; codeLenInByte = 712
; TotalNumSgprs: 32
; NumVgprs: 16
; NumAgprs: 0
; TotalNumVgprs: 16
; ScratchSize: 0
; MemoryBound: 0
; FloatMode: 240
; IeeeMode: 1
; LDSByteSize: 0 bytes/workgroup (compile time only)
; SGPRBlocks: 3
; VGPRBlocks: 1
; NumSGPRsForWavesPerEU: 32
; NumVGPRsForWavesPerEU: 16
; AccumOffset: 16
; Occupancy: 8
; WaveLimiterHint : 1
; COMPUTE_PGM_RSRC2:SCRATCH_EN: 0
; COMPUTE_PGM_RSRC2:USER_SGPR: 2
; COMPUTE_PGM_RSRC2:TRAP_HANDLER: 0
; COMPUTE_PGM_RSRC2:TGID_X_EN: 1
; COMPUTE_PGM_RSRC2:TGID_Y_EN: 1
; COMPUTE_PGM_RSRC2:TGID_Z_EN: 0
; COMPUTE_PGM_RSRC2:TIDIG_COMP_CNT: 0
; COMPUTE_PGM_RSRC3_GFX90A:ACCUM_OFFSET: 3
; COMPUTE_PGM_RSRC3_GFX90A:TG_SPLIT: 0
	.section	.text._ZN2at6native12_GLOBAL__N_135CatArrayBatchedCopy_alignedK_contigINS1_10OpaqueTypeILj8EEEjLi4ELi128ELi1ELi16EEEvPT_NS1_25CatArrInputTensorMetadataIS5_T0_XT2_EXT3_EEENS1_16TensorSizeStrideIS8_Lj4EEEiS8_,"axG",@progbits,_ZN2at6native12_GLOBAL__N_135CatArrayBatchedCopy_alignedK_contigINS1_10OpaqueTypeILj8EEEjLi4ELi128ELi1ELi16EEEvPT_NS1_25CatArrInputTensorMetadataIS5_T0_XT2_EXT3_EEENS1_16TensorSizeStrideIS8_Lj4EEEiS8_,comdat
	.globl	_ZN2at6native12_GLOBAL__N_135CatArrayBatchedCopy_alignedK_contigINS1_10OpaqueTypeILj8EEEjLi4ELi128ELi1ELi16EEEvPT_NS1_25CatArrInputTensorMetadataIS5_T0_XT2_EXT3_EEENS1_16TensorSizeStrideIS8_Lj4EEEiS8_ ; -- Begin function _ZN2at6native12_GLOBAL__N_135CatArrayBatchedCopy_alignedK_contigINS1_10OpaqueTypeILj8EEEjLi4ELi128ELi1ELi16EEEvPT_NS1_25CatArrInputTensorMetadataIS5_T0_XT2_EXT3_EEENS1_16TensorSizeStrideIS8_Lj4EEEiS8_
	.p2align	8
	.type	_ZN2at6native12_GLOBAL__N_135CatArrayBatchedCopy_alignedK_contigINS1_10OpaqueTypeILj8EEEjLi4ELi128ELi1ELi16EEEvPT_NS1_25CatArrInputTensorMetadataIS5_T0_XT2_EXT3_EEENS1_16TensorSizeStrideIS8_Lj4EEEiS8_,@function
_ZN2at6native12_GLOBAL__N_135CatArrayBatchedCopy_alignedK_contigINS1_10OpaqueTypeILj8EEEjLi4ELi128ELi1ELi16EEEvPT_NS1_25CatArrInputTensorMetadataIS5_T0_XT2_EXT3_EEENS1_16TensorSizeStrideIS8_Lj4EEEiS8_: ; @_ZN2at6native12_GLOBAL__N_135CatArrayBatchedCopy_alignedK_contigINS1_10OpaqueTypeILj8EEEjLi4ELi128ELi1ELi16EEEvPT_NS1_25CatArrInputTensorMetadataIS5_T0_XT2_EXT3_EEENS1_16TensorSizeStrideIS8_Lj4EEEiS8_
; %bb.0:
	s_mov_b32 s4, s3
	s_load_dword s3, s[0:1], 0xadc
	s_add_u32 s18, s0, 0xad0
	s_mov_b32 s5, 0
	s_addc_u32 s19, s1, 0
	s_lshl_b64 s[4:5], s[4:5], 2
	s_waitcnt lgkmcnt(0)
	s_and_b32 s23, s3, 0xffff
	s_add_u32 s6, s0, s4
	s_addc_u32 s7, s1, s5
	s_load_dword s20, s[6:7], 0x808
	s_mul_i32 s2, s2, s23
	v_add_lshl_u32 v0, s2, v0, 1
	s_add_u32 s6, s6, 8
	s_addc_u32 s7, s7, 0
	s_waitcnt lgkmcnt(0)
	v_cmp_gt_u32_e32 vcc, s20, v0
	s_and_saveexec_b64 s[2:3], vcc
	s_cbranch_execz .LBB76_8
; %bb.1:
	s_add_u32 s14, s6, s4
	s_addc_u32 s15, s7, s5
	s_sub_u32 s4, 0, s4
	s_load_dwordx2 s[2:3], s[0:1], 0x0
	s_subb_u32 s5, 0, s5
	s_add_u32 s16, s14, s4
	s_addc_u32 s17, s15, s5
	s_load_dword s21, s[0:1], 0xacc
	s_load_dword s24, s[16:17], 0x400
	s_load_dwordx8 s[4:11], s[0:1], 0xaac
	s_load_dwordx2 s[12:13], s[14:15], 0x0
	s_load_dword s22, s[16:17], 0x600
	v_add_u32_e32 v1, 2, v0
	s_mov_b64 s[14:15], 0
	s_waitcnt lgkmcnt(0)
	s_mul_i32 s21, s24, s21
	v_cmp_ge_u32_e32 vcc, s20, v1
	s_and_saveexec_b64 s[16:17], vcc
	s_cbranch_execz .LBB76_5
; %bb.2:
	s_load_dword s0, s[18:19], 0x0
	v_mov_b32_e32 v1, 0
	s_waitcnt lgkmcnt(0)
	s_mul_i32 s0, s0, s23
	s_lshl_b32 s18, s0, 1
	s_cmp_eq_u32 s11, 3
	s_cselect_b32 s19, s22, s6
	s_cmp_eq_u32 s11, 2
	v_cvt_f32_u32_e32 v2, s19
	s_cselect_b32 s23, s22, s5
	s_cmp_eq_u32 s11, 1
	v_cvt_f32_u32_e32 v3, s23
	s_cselect_b32 s24, s22, s4
	v_rcp_iflag_f32_e32 v2, v2
	v_cvt_f32_u32_e32 v4, s24
	v_rcp_iflag_f32_e32 v3, v3
	s_sub_i32 s25, 0, s19
	v_mul_f32_e32 v2, 0x4f7ffffe, v2
	v_rcp_iflag_f32_e32 v4, v4
	v_cvt_u32_f32_e32 v2, v2
	v_mul_f32_e32 v3, 0x4f7ffffe, v3
	v_cvt_u32_f32_e32 v3, v3
	v_mul_f32_e32 v4, 0x4f7ffffe, v4
	v_mul_lo_u32 v5, s25, v2
	v_cvt_u32_f32_e32 v4, v4
	s_sub_i32 s0, 0, s23
	v_mul_hi_u32 v5, v2, v5
	v_add_u32_e32 v2, v2, v5
	v_mul_lo_u32 v5, s0, v3
	v_mul_hi_u32 v5, v3, v5
	s_sub_i32 s0, 0, s24
	v_add_u32_e32 v3, v3, v5
	v_mul_lo_u32 v5, s0, v4
	v_mul_hi_u32 v5, v4, v5
	v_add_u32_e32 v4, v4, v5
	v_add_u32_e32 v5, 1, v0
.LBB76_3:                               ; =>This Inner Loop Header: Depth=1
	v_mul_hi_u32 v8, v2, v5
	v_add_u32_e32 v10, 1, v0
	v_lshl_add_u64 v[6:7], v[0:1], 3, s[12:13]
	v_mov_b32_e32 v11, v1
	v_not_b32_e32 v20, v8
	v_mad_u64_u32 v[16:17], s[0:1], s25, v8, v[10:11]
	global_load_dwordx4 v[6:9], v[6:7], off
	v_mul_hi_u32 v12, v2, v0
	v_not_b32_e32 v18, v12
	v_mad_u64_u32 v[14:15], s[0:1], s25, v12, v[0:1]
	v_add_u32_e32 v15, 1, v12
	v_mul_hi_u32 v22, v10, v2
	v_cmp_le_u32_e32 vcc, s19, v14
	v_mad_u64_u32 v[18:19], s[0:1], s19, v18, v[0:1]
	s_nop 0
	v_cndmask_b32_e32 v12, v12, v15, vcc
	v_add_u32_e32 v15, 1, v22
	v_cmp_le_u32_e64 s[0:1], s19, v16
	v_mad_u64_u32 v[20:21], s[26:27], s19, v20, v[10:11]
	v_cndmask_b32_e32 v10, v14, v18, vcc
	v_add_u32_e32 v14, 1, v12
	v_cndmask_b32_e64 v17, v22, v15, s[0:1]
	v_cndmask_b32_e64 v15, v16, v20, s[0:1]
	v_cmp_le_u32_e32 vcc, s19, v10
	v_mov_b32_e32 v13, v1
	v_add_u32_e32 v5, s18, v5
	v_cndmask_b32_e32 v10, v12, v14, vcc
	v_add_u32_e32 v12, 1, v17
	v_cmp_le_u32_e32 vcc, s19, v15
	v_mul_hi_u32 v16, v10, v3
	v_mad_u64_u32 v[14:15], s[0:1], s25, v10, v[0:1]
	v_cndmask_b32_e32 v12, v17, v12, vcc
	v_mul_lo_u32 v17, v16, s23
	v_mul_lo_u32 v19, v14, s10
	v_mad_u64_u32 v[14:15], s[0:1], s25, v12, v[0:1]
	v_mul_hi_u32 v20, v12, v3
	v_sub_u32_e32 v15, v10, v17
	v_add_u32_e32 v18, 1, v16
	v_add_u32_e32 v0, s18, v0
	v_mul_lo_u32 v17, v20, s23
	v_cmp_le_u32_e32 vcc, s23, v15
	v_add_u32_e32 v22, 2, v0
	v_sub_u32_e32 v17, v12, v17
	v_cndmask_b32_e32 v16, v16, v18, vcc
	v_subrev_u32_e32 v18, s23, v15
	v_add_u32_e32 v21, 1, v20
	v_cmp_lt_u32_e64 s[0:1], s20, v22
	v_cndmask_b32_e32 v15, v15, v18, vcc
	v_cmp_le_u32_e32 vcc, s23, v17
	v_add_u32_e32 v18, 1, v16
	s_or_b64 s[14:15], s[0:1], s[14:15]
	v_cndmask_b32_e32 v20, v20, v21, vcc
	v_subrev_u32_e32 v21, s23, v17
	v_cmp_le_u32_e64 s[0:1], s23, v15
	v_mul_lo_u32 v14, s10, v14
	v_add_u32_e32 v14, s10, v14
	v_cndmask_b32_e64 v15, v16, v18, s[0:1]
	v_cndmask_b32_e32 v16, v17, v21, vcc
	v_add_u32_e32 v17, 1, v20
	v_mul_hi_u32 v21, v15, v4
	v_cmp_le_u32_e32 vcc, s23, v16
	v_mul_lo_u32 v18, v15, s23
	v_sub_u32_e32 v10, v10, v18
	v_cndmask_b32_e32 v16, v20, v17, vcc
	v_mul_lo_u32 v17, v21, s24
	v_mul_lo_u32 v20, v16, s23
	v_mul_hi_u32 v22, v16, v4
	v_sub_u32_e32 v17, v15, v17
	v_add_u32_e32 v18, 1, v21
	v_sub_u32_e32 v12, v12, v20
	v_mul_lo_u32 v20, v22, s24
	v_cmp_le_u32_e32 vcc, s24, v17
	v_sub_u32_e32 v20, v16, v20
	v_add_u32_e32 v23, 1, v22
	v_cndmask_b32_e32 v18, v21, v18, vcc
	v_subrev_u32_e32 v21, s24, v17
	v_cndmask_b32_e32 v17, v17, v21, vcc
	v_cmp_le_u32_e32 vcc, s24, v20
	v_add_u32_e32 v21, 1, v18
	v_cmp_le_u32_e64 s[0:1], s24, v17
	v_cndmask_b32_e32 v22, v22, v23, vcc
	v_subrev_u32_e32 v23, s24, v20
	v_cndmask_b32_e64 v17, v18, v21, s[0:1]
	v_cndmask_b32_e32 v18, v20, v23, vcc
	v_add_u32_e32 v20, 1, v22
	v_cmp_le_u32_e32 vcc, s24, v18
	v_mul_lo_u32 v10, v10, s9
	v_mul_lo_u32 v21, v17, s24
	;; [unrolled: 1-line block ×3, first 2 shown]
	v_cndmask_b32_e32 v18, v22, v20, vcc
	v_sub_u32_e32 v15, v15, v21
	v_add3_u32 v10, v17, v19, v10
	v_mul_lo_u32 v17, v18, s24
	v_mul_lo_u32 v12, v12, s9
	;; [unrolled: 1-line block ×4, first 2 shown]
	v_sub_u32_e32 v16, v16, v17
	v_add3_u32 v12, v18, v14, v12
	v_mul_lo_u32 v14, v16, s8
	v_add3_u32 v10, v10, v15, s21
	v_lshl_add_u64 v[10:11], v[10:11], 3, s[2:3]
	v_add3_u32 v12, v12, v14, s21
	v_lshl_add_u64 v[12:13], v[12:13], 3, s[2:3]
	s_waitcnt vmcnt(0)
	global_store_dwordx2 v[10:11], v[6:7], off
	global_store_dwordx2 v[12:13], v[8:9], off
	s_andn2_b64 exec, exec, s[14:15]
	s_cbranch_execnz .LBB76_3
; %bb.4:
	s_or_b64 exec, exec, s[14:15]
.LBB76_5:
	s_or_b64 exec, exec, s[16:17]
	v_cmp_gt_u32_e32 vcc, s20, v0
	s_and_b64 exec, exec, vcc
	s_cbranch_execz .LBB76_8
; %bb.6:
	s_cmp_eq_u32 s11, 3
	s_cselect_b32 s6, s22, s6
	v_cvt_f32_u32_e32 v1, s6
	s_cmp_eq_u32 s11, 2
	s_cselect_b32 s5, s22, s5
	v_cvt_f32_u32_e32 v2, s5
	v_rcp_iflag_f32_e32 v1, v1
	s_cmp_eq_u32 s11, 1
	s_cselect_b32 s4, s22, s4
	v_cvt_f32_u32_e32 v5, s4
	v_mul_f32_e32 v1, 0x4f7ffffe, v1
	v_cvt_u32_f32_e32 v1, v1
	v_rcp_iflag_f32_e32 v2, v2
	s_sub_i32 s11, 0, s6
	s_sub_i32 s0, 0, s5
	v_mul_lo_u32 v4, s11, v1
	v_mul_hi_u32 v4, v1, v4
	v_add_u32_e32 v4, v1, v4
	v_mul_f32_e32 v1, 0x4f7ffffe, v2
	v_rcp_iflag_f32_e32 v2, v5
	v_cvt_u32_f32_e32 v1, v1
	v_mov_b32_e32 v3, 0
	v_mov_b32_e32 v5, v3
	v_mul_f32_e32 v2, 0x4f7ffffe, v2
	v_cvt_u32_f32_e32 v2, v2
	v_mul_lo_u32 v6, s0, v1
	v_mul_hi_u32 v6, v1, v6
	s_sub_i32 s0, 0, s4
	v_add_u32_e32 v10, v1, v6
	v_mul_lo_u32 v1, s0, v2
	v_mul_hi_u32 v1, v2, v1
	v_add_u32_e32 v11, v2, v1
	v_mov_b32_e32 v1, v3
	v_mad_u64_u32 v[6:7], s[0:1], v0, v4, 0
	v_lshl_add_u64 v[8:9], v[0:1], 3, s[12:13]
	s_mov_b64 s[0:1], 0
.LBB76_7:                               ; =>This Inner Loop Header: Depth=1
	global_load_dwordx2 v[12:13], v[8:9], off
	v_mul_lo_u32 v1, s6, v7
	v_not_b32_e32 v2, v7
	v_sub_u32_e32 v1, v0, v1
	v_add_u32_e32 v16, 1, v7
	v_mad_u64_u32 v[14:15], s[12:13], s6, v2, v[0:1]
	v_cmp_le_u32_e32 vcc, s6, v1
	v_lshl_add_u64 v[8:9], v[8:9], 0, 8
	s_nop 0
	v_cndmask_b32_e32 v2, v7, v16, vcc
	v_cndmask_b32_e32 v1, v1, v14, vcc
	v_add_u32_e32 v14, 1, v2
	v_cmp_le_u32_e32 vcc, s6, v1
	v_lshl_add_u64 v[6:7], v[6:7], 0, v[4:5]
	s_nop 0
	v_cndmask_b32_e32 v1, v2, v14, vcc
	v_mul_hi_u32 v2, v1, v10
	v_mad_u64_u32 v[14:15], s[12:13], s11, v1, v[0:1]
	v_add_u32_e32 v0, 1, v0
	v_mul_lo_u32 v15, v2, s5
	v_cmp_le_u32_e32 vcc, s20, v0
	v_sub_u32_e32 v15, v1, v15
	v_add_u32_e32 v16, 1, v2
	s_or_b64 s[0:1], vcc, s[0:1]
	v_cmp_le_u32_e32 vcc, s5, v15
	v_mul_lo_u32 v14, v14, s10
	s_nop 0
	v_cndmask_b32_e32 v2, v2, v16, vcc
	v_subrev_u32_e32 v16, s5, v15
	v_cndmask_b32_e32 v15, v15, v16, vcc
	v_add_u32_e32 v16, 1, v2
	v_cmp_le_u32_e32 vcc, s5, v15
	s_nop 1
	v_cndmask_b32_e32 v2, v2, v16, vcc
	v_mul_hi_u32 v15, v2, v11
	v_mul_lo_u32 v16, v2, s5
	v_mul_lo_u32 v17, v15, s4
	v_sub_u32_e32 v1, v1, v16
	v_sub_u32_e32 v16, v2, v17
	v_add_u32_e32 v18, 1, v15
	v_cmp_le_u32_e32 vcc, s4, v16
	v_subrev_u32_e32 v17, s4, v16
	v_mul_lo_u32 v1, v1, s9
	v_cndmask_b32_e32 v15, v15, v18, vcc
	v_cndmask_b32_e32 v16, v16, v17, vcc
	v_add_u32_e32 v17, 1, v15
	v_cmp_le_u32_e32 vcc, s4, v16
	s_nop 1
	v_cndmask_b32_e32 v15, v15, v17, vcc
	v_mul_lo_u32 v16, v15, s4
	v_mul_lo_u32 v15, v15, s7
	v_sub_u32_e32 v2, v2, v16
	v_add3_u32 v1, v15, v14, v1
	v_mul_lo_u32 v2, v2, s8
	v_add3_u32 v2, v1, v2, s21
	v_lshl_add_u64 v[14:15], v[2:3], 3, s[2:3]
	s_waitcnt vmcnt(0)
	global_store_dwordx2 v[14:15], v[12:13], off
	s_andn2_b64 exec, exec, s[0:1]
	s_cbranch_execnz .LBB76_7
.LBB76_8:
	s_endpgm
	.section	.rodata,"a",@progbits
	.p2align	6, 0x0
	.amdhsa_kernel _ZN2at6native12_GLOBAL__N_135CatArrayBatchedCopy_alignedK_contigINS1_10OpaqueTypeILj8EEEjLi4ELi128ELi1ELi16EEEvPT_NS1_25CatArrInputTensorMetadataIS5_T0_XT2_EXT3_EEENS1_16TensorSizeStrideIS8_Lj4EEEiS8_
		.amdhsa_group_segment_fixed_size 0
		.amdhsa_private_segment_fixed_size 0
		.amdhsa_kernarg_size 3024
		.amdhsa_user_sgpr_count 2
		.amdhsa_user_sgpr_dispatch_ptr 0
		.amdhsa_user_sgpr_queue_ptr 0
		.amdhsa_user_sgpr_kernarg_segment_ptr 1
		.amdhsa_user_sgpr_dispatch_id 0
		.amdhsa_user_sgpr_kernarg_preload_length 0
		.amdhsa_user_sgpr_kernarg_preload_offset 0
		.amdhsa_user_sgpr_private_segment_size 0
		.amdhsa_uses_dynamic_stack 0
		.amdhsa_enable_private_segment 0
		.amdhsa_system_sgpr_workgroup_id_x 1
		.amdhsa_system_sgpr_workgroup_id_y 1
		.amdhsa_system_sgpr_workgroup_id_z 0
		.amdhsa_system_sgpr_workgroup_info 0
		.amdhsa_system_vgpr_workitem_id 0
		.amdhsa_next_free_vgpr 24
		.amdhsa_next_free_sgpr 28
		.amdhsa_accum_offset 24
		.amdhsa_reserve_vcc 1
		.amdhsa_float_round_mode_32 0
		.amdhsa_float_round_mode_16_64 0
		.amdhsa_float_denorm_mode_32 3
		.amdhsa_float_denorm_mode_16_64 3
		.amdhsa_dx10_clamp 1
		.amdhsa_ieee_mode 1
		.amdhsa_fp16_overflow 0
		.amdhsa_tg_split 0
		.amdhsa_exception_fp_ieee_invalid_op 0
		.amdhsa_exception_fp_denorm_src 0
		.amdhsa_exception_fp_ieee_div_zero 0
		.amdhsa_exception_fp_ieee_overflow 0
		.amdhsa_exception_fp_ieee_underflow 0
		.amdhsa_exception_fp_ieee_inexact 0
		.amdhsa_exception_int_div_zero 0
	.end_amdhsa_kernel
	.section	.text._ZN2at6native12_GLOBAL__N_135CatArrayBatchedCopy_alignedK_contigINS1_10OpaqueTypeILj8EEEjLi4ELi128ELi1ELi16EEEvPT_NS1_25CatArrInputTensorMetadataIS5_T0_XT2_EXT3_EEENS1_16TensorSizeStrideIS8_Lj4EEEiS8_,"axG",@progbits,_ZN2at6native12_GLOBAL__N_135CatArrayBatchedCopy_alignedK_contigINS1_10OpaqueTypeILj8EEEjLi4ELi128ELi1ELi16EEEvPT_NS1_25CatArrInputTensorMetadataIS5_T0_XT2_EXT3_EEENS1_16TensorSizeStrideIS8_Lj4EEEiS8_,comdat
.Lfunc_end76:
	.size	_ZN2at6native12_GLOBAL__N_135CatArrayBatchedCopy_alignedK_contigINS1_10OpaqueTypeILj8EEEjLi4ELi128ELi1ELi16EEEvPT_NS1_25CatArrInputTensorMetadataIS5_T0_XT2_EXT3_EEENS1_16TensorSizeStrideIS8_Lj4EEEiS8_, .Lfunc_end76-_ZN2at6native12_GLOBAL__N_135CatArrayBatchedCopy_alignedK_contigINS1_10OpaqueTypeILj8EEEjLi4ELi128ELi1ELi16EEEvPT_NS1_25CatArrInputTensorMetadataIS5_T0_XT2_EXT3_EEENS1_16TensorSizeStrideIS8_Lj4EEEiS8_
                                        ; -- End function
	.set _ZN2at6native12_GLOBAL__N_135CatArrayBatchedCopy_alignedK_contigINS1_10OpaqueTypeILj8EEEjLi4ELi128ELi1ELi16EEEvPT_NS1_25CatArrInputTensorMetadataIS5_T0_XT2_EXT3_EEENS1_16TensorSizeStrideIS8_Lj4EEEiS8_.num_vgpr, 24
	.set _ZN2at6native12_GLOBAL__N_135CatArrayBatchedCopy_alignedK_contigINS1_10OpaqueTypeILj8EEEjLi4ELi128ELi1ELi16EEEvPT_NS1_25CatArrInputTensorMetadataIS5_T0_XT2_EXT3_EEENS1_16TensorSizeStrideIS8_Lj4EEEiS8_.num_agpr, 0
	.set _ZN2at6native12_GLOBAL__N_135CatArrayBatchedCopy_alignedK_contigINS1_10OpaqueTypeILj8EEEjLi4ELi128ELi1ELi16EEEvPT_NS1_25CatArrInputTensorMetadataIS5_T0_XT2_EXT3_EEENS1_16TensorSizeStrideIS8_Lj4EEEiS8_.numbered_sgpr, 28
	.set _ZN2at6native12_GLOBAL__N_135CatArrayBatchedCopy_alignedK_contigINS1_10OpaqueTypeILj8EEEjLi4ELi128ELi1ELi16EEEvPT_NS1_25CatArrInputTensorMetadataIS5_T0_XT2_EXT3_EEENS1_16TensorSizeStrideIS8_Lj4EEEiS8_.num_named_barrier, 0
	.set _ZN2at6native12_GLOBAL__N_135CatArrayBatchedCopy_alignedK_contigINS1_10OpaqueTypeILj8EEEjLi4ELi128ELi1ELi16EEEvPT_NS1_25CatArrInputTensorMetadataIS5_T0_XT2_EXT3_EEENS1_16TensorSizeStrideIS8_Lj4EEEiS8_.private_seg_size, 0
	.set _ZN2at6native12_GLOBAL__N_135CatArrayBatchedCopy_alignedK_contigINS1_10OpaqueTypeILj8EEEjLi4ELi128ELi1ELi16EEEvPT_NS1_25CatArrInputTensorMetadataIS5_T0_XT2_EXT3_EEENS1_16TensorSizeStrideIS8_Lj4EEEiS8_.uses_vcc, 1
	.set _ZN2at6native12_GLOBAL__N_135CatArrayBatchedCopy_alignedK_contigINS1_10OpaqueTypeILj8EEEjLi4ELi128ELi1ELi16EEEvPT_NS1_25CatArrInputTensorMetadataIS5_T0_XT2_EXT3_EEENS1_16TensorSizeStrideIS8_Lj4EEEiS8_.uses_flat_scratch, 0
	.set _ZN2at6native12_GLOBAL__N_135CatArrayBatchedCopy_alignedK_contigINS1_10OpaqueTypeILj8EEEjLi4ELi128ELi1ELi16EEEvPT_NS1_25CatArrInputTensorMetadataIS5_T0_XT2_EXT3_EEENS1_16TensorSizeStrideIS8_Lj4EEEiS8_.has_dyn_sized_stack, 0
	.set _ZN2at6native12_GLOBAL__N_135CatArrayBatchedCopy_alignedK_contigINS1_10OpaqueTypeILj8EEEjLi4ELi128ELi1ELi16EEEvPT_NS1_25CatArrInputTensorMetadataIS5_T0_XT2_EXT3_EEENS1_16TensorSizeStrideIS8_Lj4EEEiS8_.has_recursion, 0
	.set _ZN2at6native12_GLOBAL__N_135CatArrayBatchedCopy_alignedK_contigINS1_10OpaqueTypeILj8EEEjLi4ELi128ELi1ELi16EEEvPT_NS1_25CatArrInputTensorMetadataIS5_T0_XT2_EXT3_EEENS1_16TensorSizeStrideIS8_Lj4EEEiS8_.has_indirect_call, 0
	.section	.AMDGPU.csdata,"",@progbits
; Kernel info:
; codeLenInByte = 1532
; TotalNumSgprs: 34
; NumVgprs: 24
; NumAgprs: 0
; TotalNumVgprs: 24
; ScratchSize: 0
; MemoryBound: 0
; FloatMode: 240
; IeeeMode: 1
; LDSByteSize: 0 bytes/workgroup (compile time only)
; SGPRBlocks: 4
; VGPRBlocks: 2
; NumSGPRsForWavesPerEU: 34
; NumVGPRsForWavesPerEU: 24
; AccumOffset: 24
; Occupancy: 8
; WaveLimiterHint : 1
; COMPUTE_PGM_RSRC2:SCRATCH_EN: 0
; COMPUTE_PGM_RSRC2:USER_SGPR: 2
; COMPUTE_PGM_RSRC2:TRAP_HANDLER: 0
; COMPUTE_PGM_RSRC2:TGID_X_EN: 1
; COMPUTE_PGM_RSRC2:TGID_Y_EN: 1
; COMPUTE_PGM_RSRC2:TGID_Z_EN: 0
; COMPUTE_PGM_RSRC2:TIDIG_COMP_CNT: 0
; COMPUTE_PGM_RSRC3_GFX90A:ACCUM_OFFSET: 5
; COMPUTE_PGM_RSRC3_GFX90A:TG_SPLIT: 0
	.section	.text._ZN2at6native12_GLOBAL__N_135CatArrayBatchedCopy_alignedK_contigINS1_10OpaqueTypeILj8EEEjLi4ELi128ELi1ELi8EEEvPT_NS1_25CatArrInputTensorMetadataIS5_T0_XT2_EXT3_EEENS1_16TensorSizeStrideIS8_Lj4EEEiS8_,"axG",@progbits,_ZN2at6native12_GLOBAL__N_135CatArrayBatchedCopy_alignedK_contigINS1_10OpaqueTypeILj8EEEjLi4ELi128ELi1ELi8EEEvPT_NS1_25CatArrInputTensorMetadataIS5_T0_XT2_EXT3_EEENS1_16TensorSizeStrideIS8_Lj4EEEiS8_,comdat
	.globl	_ZN2at6native12_GLOBAL__N_135CatArrayBatchedCopy_alignedK_contigINS1_10OpaqueTypeILj8EEEjLi4ELi128ELi1ELi8EEEvPT_NS1_25CatArrInputTensorMetadataIS5_T0_XT2_EXT3_EEENS1_16TensorSizeStrideIS8_Lj4EEEiS8_ ; -- Begin function _ZN2at6native12_GLOBAL__N_135CatArrayBatchedCopy_alignedK_contigINS1_10OpaqueTypeILj8EEEjLi4ELi128ELi1ELi8EEEvPT_NS1_25CatArrInputTensorMetadataIS5_T0_XT2_EXT3_EEENS1_16TensorSizeStrideIS8_Lj4EEEiS8_
	.p2align	8
	.type	_ZN2at6native12_GLOBAL__N_135CatArrayBatchedCopy_alignedK_contigINS1_10OpaqueTypeILj8EEEjLi4ELi128ELi1ELi8EEEvPT_NS1_25CatArrInputTensorMetadataIS5_T0_XT2_EXT3_EEENS1_16TensorSizeStrideIS8_Lj4EEEiS8_,@function
_ZN2at6native12_GLOBAL__N_135CatArrayBatchedCopy_alignedK_contigINS1_10OpaqueTypeILj8EEEjLi4ELi128ELi1ELi8EEEvPT_NS1_25CatArrInputTensorMetadataIS5_T0_XT2_EXT3_EEENS1_16TensorSizeStrideIS8_Lj4EEEiS8_: ; @_ZN2at6native12_GLOBAL__N_135CatArrayBatchedCopy_alignedK_contigINS1_10OpaqueTypeILj8EEEjLi4ELi128ELi1ELi8EEEvPT_NS1_25CatArrInputTensorMetadataIS5_T0_XT2_EXT3_EEENS1_16TensorSizeStrideIS8_Lj4EEEiS8_
; %bb.0:
	s_mov_b32 s4, s3
	s_load_dword s3, s[0:1], 0xadc
	s_add_u32 s14, s0, 0xad0
	s_mov_b32 s5, 0
	s_addc_u32 s15, s1, 0
	s_lshl_b64 s[12:13], s[4:5], 2
	s_waitcnt lgkmcnt(0)
	s_and_b32 s18, s3, 0xffff
	s_add_u32 s4, s0, s12
	s_addc_u32 s5, s1, s13
	s_load_dword s16, s[4:5], 0x808
	s_mul_i32 s2, s2, s18
	v_add_u32_e32 v2, s2, v0
	s_add_u32 s2, s4, 8
	s_addc_u32 s3, s5, 0
	s_waitcnt lgkmcnt(0)
	v_cmp_gt_u32_e32 vcc, s16, v2
	s_and_saveexec_b64 s[4:5], vcc
	s_cbranch_execz .LBB77_6
; %bb.1:
	s_add_u32 s20, s2, s12
	s_load_dwordx8 s[4:11], s[0:1], 0xaac
	s_addc_u32 s21, s3, s13
	s_sub_u32 s2, 0, s12
	s_subb_u32 s3, 0, s13
	s_add_u32 s22, s20, s2
	s_addc_u32 s23, s21, s3
	s_load_dword s19, s[0:1], 0xacc
	s_load_dwordx2 s[12:13], s[20:21], 0x0
	s_load_dword s17, s[22:23], 0x600
	s_load_dword s24, s[22:23], 0x400
	s_load_dword s25, s[14:15], 0x0
	s_load_dwordx2 s[2:3], s[0:1], 0x0
	s_waitcnt lgkmcnt(0)
	s_cmp_eq_u32 s11, 3
	s_cselect_b32 s6, s17, s6
	v_cvt_f32_u32_e32 v0, s6
	s_cmp_eq_u32 s11, 2
	s_mul_i32 s14, s24, s19
	s_cselect_b32 s19, s17, s5
	v_rcp_iflag_f32_e32 v0, v0
	s_cmp_eq_u32 s11, 1
	s_cselect_b32 s20, s17, s4
	s_sub_i32 s15, 0, s6
	v_mul_f32_e32 v0, 0x4f7ffffe, v0
	v_cvt_u32_f32_e32 v0, v0
	v_cvt_f32_u32_e32 v1, s19
	s_sub_i32 s21, 0, s19
	v_mov_b32_e32 v5, 0
	v_mul_lo_u32 v3, s15, v0
	v_mul_hi_u32 v3, v0, v3
	v_add_u32_e32 v0, v0, v3
	v_cvt_f32_u32_e32 v3, s20
	v_rcp_iflag_f32_e32 v1, v1
	s_mul_i32 s18, s25, s18
	s_mov_b64 s[0:1], 0
	v_rcp_iflag_f32_e32 v3, v3
	v_mul_f32_e32 v1, 0x4f7ffffe, v1
	v_cvt_u32_f32_e32 v4, v1
	v_mov_b32_e32 v1, v5
	v_mul_f32_e32 v3, 0x4f7ffffe, v3
	v_cvt_u32_f32_e32 v7, v3
	v_mul_lo_u32 v6, s21, v4
	v_mul_hi_u32 v3, v4, v6
	s_sub_i32 s21, 0, s20
	v_add_u32_e32 v3, v4, v3
	v_mul_lo_u32 v4, s21, v7
	v_mul_hi_u32 v4, v7, v4
	v_add_u32_e32 v7, v7, v4
	v_add_u32_e32 v6, 1, v2
.LBB77_2:                               ; =>This Inner Loop Header: Depth=1
	v_add_u32_e32 v4, -1, v6
	v_lshl_add_u64 v[8:9], v[4:5], 3, s[12:13]
	global_load_dwordx2 v[8:9], v[8:9], off
	v_mul_hi_u32 v10, v0, v2
	v_add_u32_e32 v6, s18, v6
	v_mul_lo_u32 v11, s6, v10
	v_not_b32_e32 v10, v10
	v_mul_hi_u32 v12, v4, v0
	v_cmp_lt_u32_e32 vcc, s16, v6
	v_sub_u32_e32 v13, v2, v11
	v_mad_u64_u32 v[10:11], s[22:23], s6, v10, v[2:3]
	v_add_u32_e32 v11, 1, v12
	s_or_b64 s[0:1], vcc, s[0:1]
	v_cmp_le_u32_e32 vcc, s6, v13
	v_add_u32_e32 v2, s18, v2
	s_nop 0
	v_cndmask_b32_e32 v11, v12, v11, vcc
	v_cndmask_b32_e32 v10, v13, v10, vcc
	v_add_u32_e32 v12, 1, v11
	v_cmp_le_u32_e32 vcc, s6, v10
	s_nop 1
	v_cndmask_b32_e32 v12, v11, v12, vcc
	v_mul_hi_u32 v13, v12, v3
	v_mad_u64_u32 v[10:11], s[22:23], s15, v12, v[4:5]
	v_mul_lo_u32 v4, v13, s19
	v_sub_u32_e32 v4, v12, v4
	v_add_u32_e32 v11, 1, v13
	v_cmp_le_u32_e32 vcc, s19, v4
	v_mul_lo_u32 v10, v10, s10
	s_nop 0
	v_cndmask_b32_e32 v11, v13, v11, vcc
	v_subrev_u32_e32 v13, s19, v4
	v_cndmask_b32_e32 v4, v4, v13, vcc
	v_add_u32_e32 v13, 1, v11
	v_cmp_le_u32_e32 vcc, s19, v4
	s_nop 1
	v_cndmask_b32_e32 v4, v11, v13, vcc
	v_mul_lo_u32 v11, v4, s19
	v_mul_hi_u32 v13, v4, v7
	v_sub_u32_e32 v11, v12, v11
	v_mul_lo_u32 v12, v13, s20
	v_sub_u32_e32 v12, v4, v12
	v_add_u32_e32 v14, 1, v13
	v_cmp_le_u32_e32 vcc, s20, v12
	v_mul_lo_u32 v11, v11, s9
	s_nop 0
	v_cndmask_b32_e32 v13, v13, v14, vcc
	v_subrev_u32_e32 v14, s20, v12
	v_cndmask_b32_e32 v12, v12, v14, vcc
	v_add_u32_e32 v14, 1, v13
	v_cmp_le_u32_e32 vcc, s20, v12
	s_nop 1
	v_cndmask_b32_e32 v12, v13, v14, vcc
	v_mul_lo_u32 v13, v12, s20
	v_mul_lo_u32 v12, v12, s7
	v_sub_u32_e32 v4, v4, v13
	v_add3_u32 v10, v12, v10, v11
	v_mul_lo_u32 v4, v4, s8
	v_add3_u32 v4, v10, v4, s14
	v_lshl_add_u64 v[10:11], v[4:5], 3, s[2:3]
	s_waitcnt vmcnt(0)
	global_store_dwordx2 v[10:11], v[8:9], off
	s_andn2_b64 exec, exec, s[0:1]
	s_cbranch_execnz .LBB77_2
; %bb.3:
	s_or_b64 exec, exec, s[0:1]
	v_add_u32_e32 v2, -1, v6
	v_cmp_gt_u32_e32 vcc, s16, v2
	s_and_b64 exec, exec, vcc
	s_cbranch_execz .LBB77_6
; %bb.4:
	s_cmp_eq_u32 s11, 2
	s_cselect_b32 s5, s17, s5
	v_cvt_f32_u32_e32 v3, s5
	s_cmp_eq_u32 s11, 1
	s_cselect_b32 s4, s17, s4
	v_cvt_f32_u32_e32 v4, s4
	v_rcp_iflag_f32_e32 v3, v3
	s_sub_i32 s0, 0, s5
	s_sub_i32 s1, 0, s4
	v_rcp_iflag_f32_e32 v4, v4
	v_mul_f32_e32 v3, 0x4f7ffffe, v3
	v_cvt_u32_f32_e32 v3, v3
	v_mov_b32_e32 v5, 0
	v_mul_f32_e32 v4, 0x4f7ffffe, v4
	v_cvt_u32_f32_e32 v4, v4
	v_mul_lo_u32 v6, s0, v3
	v_mul_hi_u32 v6, v3, v6
	v_add_u32_e32 v10, v3, v6
	v_mul_lo_u32 v3, s1, v4
	v_mul_hi_u32 v3, v4, v3
	v_add_u32_e32 v11, v4, v3
	v_mov_b32_e32 v3, v5
	v_mad_u64_u32 v[6:7], s[0:1], v0, v2, 0
	v_lshl_add_u64 v[8:9], v[2:3], 3, s[12:13]
	s_mov_b64 s[0:1], 0
.LBB77_5:                               ; =>This Inner Loop Header: Depth=1
	global_load_dwordx2 v[12:13], v[8:9], off
	v_not_b32_e32 v3, v7
	v_mul_lo_u32 v4, s6, v7
	v_mad_u64_u32 v[14:15], s[12:13], s6, v3, v[2:3]
	v_sub_u32_e32 v3, v2, v4
	v_add_u32_e32 v16, 1, v7
	v_cmp_le_u32_e32 vcc, s6, v3
	v_lshl_add_u64 v[8:9], v[8:9], 0, 8
	s_nop 0
	v_cndmask_b32_e32 v4, v7, v16, vcc
	v_cndmask_b32_e32 v3, v3, v14, vcc
	v_add_u32_e32 v14, 1, v4
	v_cmp_le_u32_e32 vcc, s6, v3
	v_lshl_add_u64 v[6:7], v[6:7], 0, v[0:1]
	s_nop 0
	v_cndmask_b32_e32 v3, v4, v14, vcc
	v_mul_hi_u32 v4, v3, v10
	v_mad_u64_u32 v[14:15], s[12:13], s15, v3, v[2:3]
	v_add_u32_e32 v2, 1, v2
	v_mul_lo_u32 v15, v4, s5
	v_cmp_le_u32_e32 vcc, s16, v2
	v_sub_u32_e32 v15, v3, v15
	v_add_u32_e32 v16, 1, v4
	s_or_b64 s[0:1], vcc, s[0:1]
	v_cmp_le_u32_e32 vcc, s5, v15
	v_mul_lo_u32 v14, v14, s10
	s_nop 0
	v_cndmask_b32_e32 v4, v4, v16, vcc
	v_subrev_u32_e32 v16, s5, v15
	v_cndmask_b32_e32 v15, v15, v16, vcc
	v_add_u32_e32 v16, 1, v4
	v_cmp_le_u32_e32 vcc, s5, v15
	s_nop 1
	v_cndmask_b32_e32 v4, v4, v16, vcc
	v_mul_hi_u32 v15, v4, v11
	v_mul_lo_u32 v16, v4, s5
	v_mul_lo_u32 v17, v15, s4
	v_sub_u32_e32 v3, v3, v16
	v_sub_u32_e32 v16, v4, v17
	v_add_u32_e32 v18, 1, v15
	v_cmp_le_u32_e32 vcc, s4, v16
	v_subrev_u32_e32 v17, s4, v16
	v_mul_lo_u32 v3, v3, s9
	v_cndmask_b32_e32 v15, v15, v18, vcc
	v_cndmask_b32_e32 v16, v16, v17, vcc
	v_add_u32_e32 v17, 1, v15
	v_cmp_le_u32_e32 vcc, s4, v16
	s_nop 1
	v_cndmask_b32_e32 v15, v15, v17, vcc
	v_mul_lo_u32 v16, v15, s4
	v_mul_lo_u32 v15, v15, s7
	v_sub_u32_e32 v4, v4, v16
	v_add3_u32 v14, v14, s14, v15
	v_mul_lo_u32 v4, v4, s8
	v_add3_u32 v4, v14, v3, v4
	v_lshl_add_u64 v[14:15], v[4:5], 3, s[2:3]
	s_waitcnt vmcnt(0)
	global_store_dwordx2 v[14:15], v[12:13], off
	s_andn2_b64 exec, exec, s[0:1]
	s_cbranch_execnz .LBB77_5
.LBB77_6:
	s_endpgm
	.section	.rodata,"a",@progbits
	.p2align	6, 0x0
	.amdhsa_kernel _ZN2at6native12_GLOBAL__N_135CatArrayBatchedCopy_alignedK_contigINS1_10OpaqueTypeILj8EEEjLi4ELi128ELi1ELi8EEEvPT_NS1_25CatArrInputTensorMetadataIS5_T0_XT2_EXT3_EEENS1_16TensorSizeStrideIS8_Lj4EEEiS8_
		.amdhsa_group_segment_fixed_size 0
		.amdhsa_private_segment_fixed_size 0
		.amdhsa_kernarg_size 3024
		.amdhsa_user_sgpr_count 2
		.amdhsa_user_sgpr_dispatch_ptr 0
		.amdhsa_user_sgpr_queue_ptr 0
		.amdhsa_user_sgpr_kernarg_segment_ptr 1
		.amdhsa_user_sgpr_dispatch_id 0
		.amdhsa_user_sgpr_kernarg_preload_length 0
		.amdhsa_user_sgpr_kernarg_preload_offset 0
		.amdhsa_user_sgpr_private_segment_size 0
		.amdhsa_uses_dynamic_stack 0
		.amdhsa_enable_private_segment 0
		.amdhsa_system_sgpr_workgroup_id_x 1
		.amdhsa_system_sgpr_workgroup_id_y 1
		.amdhsa_system_sgpr_workgroup_id_z 0
		.amdhsa_system_sgpr_workgroup_info 0
		.amdhsa_system_vgpr_workitem_id 0
		.amdhsa_next_free_vgpr 19
		.amdhsa_next_free_sgpr 26
		.amdhsa_accum_offset 20
		.amdhsa_reserve_vcc 1
		.amdhsa_float_round_mode_32 0
		.amdhsa_float_round_mode_16_64 0
		.amdhsa_float_denorm_mode_32 3
		.amdhsa_float_denorm_mode_16_64 3
		.amdhsa_dx10_clamp 1
		.amdhsa_ieee_mode 1
		.amdhsa_fp16_overflow 0
		.amdhsa_tg_split 0
		.amdhsa_exception_fp_ieee_invalid_op 0
		.amdhsa_exception_fp_denorm_src 0
		.amdhsa_exception_fp_ieee_div_zero 0
		.amdhsa_exception_fp_ieee_overflow 0
		.amdhsa_exception_fp_ieee_underflow 0
		.amdhsa_exception_fp_ieee_inexact 0
		.amdhsa_exception_int_div_zero 0
	.end_amdhsa_kernel
	.section	.text._ZN2at6native12_GLOBAL__N_135CatArrayBatchedCopy_alignedK_contigINS1_10OpaqueTypeILj8EEEjLi4ELi128ELi1ELi8EEEvPT_NS1_25CatArrInputTensorMetadataIS5_T0_XT2_EXT3_EEENS1_16TensorSizeStrideIS8_Lj4EEEiS8_,"axG",@progbits,_ZN2at6native12_GLOBAL__N_135CatArrayBatchedCopy_alignedK_contigINS1_10OpaqueTypeILj8EEEjLi4ELi128ELi1ELi8EEEvPT_NS1_25CatArrInputTensorMetadataIS5_T0_XT2_EXT3_EEENS1_16TensorSizeStrideIS8_Lj4EEEiS8_,comdat
.Lfunc_end77:
	.size	_ZN2at6native12_GLOBAL__N_135CatArrayBatchedCopy_alignedK_contigINS1_10OpaqueTypeILj8EEEjLi4ELi128ELi1ELi8EEEvPT_NS1_25CatArrInputTensorMetadataIS5_T0_XT2_EXT3_EEENS1_16TensorSizeStrideIS8_Lj4EEEiS8_, .Lfunc_end77-_ZN2at6native12_GLOBAL__N_135CatArrayBatchedCopy_alignedK_contigINS1_10OpaqueTypeILj8EEEjLi4ELi128ELi1ELi8EEEvPT_NS1_25CatArrInputTensorMetadataIS5_T0_XT2_EXT3_EEENS1_16TensorSizeStrideIS8_Lj4EEEiS8_
                                        ; -- End function
	.set _ZN2at6native12_GLOBAL__N_135CatArrayBatchedCopy_alignedK_contigINS1_10OpaqueTypeILj8EEEjLi4ELi128ELi1ELi8EEEvPT_NS1_25CatArrInputTensorMetadataIS5_T0_XT2_EXT3_EEENS1_16TensorSizeStrideIS8_Lj4EEEiS8_.num_vgpr, 19
	.set _ZN2at6native12_GLOBAL__N_135CatArrayBatchedCopy_alignedK_contigINS1_10OpaqueTypeILj8EEEjLi4ELi128ELi1ELi8EEEvPT_NS1_25CatArrInputTensorMetadataIS5_T0_XT2_EXT3_EEENS1_16TensorSizeStrideIS8_Lj4EEEiS8_.num_agpr, 0
	.set _ZN2at6native12_GLOBAL__N_135CatArrayBatchedCopy_alignedK_contigINS1_10OpaqueTypeILj8EEEjLi4ELi128ELi1ELi8EEEvPT_NS1_25CatArrInputTensorMetadataIS5_T0_XT2_EXT3_EEENS1_16TensorSizeStrideIS8_Lj4EEEiS8_.numbered_sgpr, 26
	.set _ZN2at6native12_GLOBAL__N_135CatArrayBatchedCopy_alignedK_contigINS1_10OpaqueTypeILj8EEEjLi4ELi128ELi1ELi8EEEvPT_NS1_25CatArrInputTensorMetadataIS5_T0_XT2_EXT3_EEENS1_16TensorSizeStrideIS8_Lj4EEEiS8_.num_named_barrier, 0
	.set _ZN2at6native12_GLOBAL__N_135CatArrayBatchedCopy_alignedK_contigINS1_10OpaqueTypeILj8EEEjLi4ELi128ELi1ELi8EEEvPT_NS1_25CatArrInputTensorMetadataIS5_T0_XT2_EXT3_EEENS1_16TensorSizeStrideIS8_Lj4EEEiS8_.private_seg_size, 0
	.set _ZN2at6native12_GLOBAL__N_135CatArrayBatchedCopy_alignedK_contigINS1_10OpaqueTypeILj8EEEjLi4ELi128ELi1ELi8EEEvPT_NS1_25CatArrInputTensorMetadataIS5_T0_XT2_EXT3_EEENS1_16TensorSizeStrideIS8_Lj4EEEiS8_.uses_vcc, 1
	.set _ZN2at6native12_GLOBAL__N_135CatArrayBatchedCopy_alignedK_contigINS1_10OpaqueTypeILj8EEEjLi4ELi128ELi1ELi8EEEvPT_NS1_25CatArrInputTensorMetadataIS5_T0_XT2_EXT3_EEENS1_16TensorSizeStrideIS8_Lj4EEEiS8_.uses_flat_scratch, 0
	.set _ZN2at6native12_GLOBAL__N_135CatArrayBatchedCopy_alignedK_contigINS1_10OpaqueTypeILj8EEEjLi4ELi128ELi1ELi8EEEvPT_NS1_25CatArrInputTensorMetadataIS5_T0_XT2_EXT3_EEENS1_16TensorSizeStrideIS8_Lj4EEEiS8_.has_dyn_sized_stack, 0
	.set _ZN2at6native12_GLOBAL__N_135CatArrayBatchedCopy_alignedK_contigINS1_10OpaqueTypeILj8EEEjLi4ELi128ELi1ELi8EEEvPT_NS1_25CatArrInputTensorMetadataIS5_T0_XT2_EXT3_EEENS1_16TensorSizeStrideIS8_Lj4EEEiS8_.has_recursion, 0
	.set _ZN2at6native12_GLOBAL__N_135CatArrayBatchedCopy_alignedK_contigINS1_10OpaqueTypeILj8EEEjLi4ELi128ELi1ELi8EEEvPT_NS1_25CatArrInputTensorMetadataIS5_T0_XT2_EXT3_EEENS1_16TensorSizeStrideIS8_Lj4EEEiS8_.has_indirect_call, 0
	.section	.AMDGPU.csdata,"",@progbits
; Kernel info:
; codeLenInByte = 1172
; TotalNumSgprs: 32
; NumVgprs: 19
; NumAgprs: 0
; TotalNumVgprs: 19
; ScratchSize: 0
; MemoryBound: 0
; FloatMode: 240
; IeeeMode: 1
; LDSByteSize: 0 bytes/workgroup (compile time only)
; SGPRBlocks: 3
; VGPRBlocks: 2
; NumSGPRsForWavesPerEU: 32
; NumVGPRsForWavesPerEU: 19
; AccumOffset: 20
; Occupancy: 8
; WaveLimiterHint : 1
; COMPUTE_PGM_RSRC2:SCRATCH_EN: 0
; COMPUTE_PGM_RSRC2:USER_SGPR: 2
; COMPUTE_PGM_RSRC2:TRAP_HANDLER: 0
; COMPUTE_PGM_RSRC2:TGID_X_EN: 1
; COMPUTE_PGM_RSRC2:TGID_Y_EN: 1
; COMPUTE_PGM_RSRC2:TGID_Z_EN: 0
; COMPUTE_PGM_RSRC2:TIDIG_COMP_CNT: 0
; COMPUTE_PGM_RSRC3_GFX90A:ACCUM_OFFSET: 4
; COMPUTE_PGM_RSRC3_GFX90A:TG_SPLIT: 0
	.section	.text._ZN2at6native12_GLOBAL__N_126CatArrayBatchedCopy_contigINS1_10OpaqueTypeILj8EEEjLi4ELi128ELi1EEEvPT_NS1_25CatArrInputTensorMetadataIS5_T0_XT2_EXT3_EEENS1_16TensorSizeStrideIS8_Lj4EEEiS8_,"axG",@progbits,_ZN2at6native12_GLOBAL__N_126CatArrayBatchedCopy_contigINS1_10OpaqueTypeILj8EEEjLi4ELi128ELi1EEEvPT_NS1_25CatArrInputTensorMetadataIS5_T0_XT2_EXT3_EEENS1_16TensorSizeStrideIS8_Lj4EEEiS8_,comdat
	.globl	_ZN2at6native12_GLOBAL__N_126CatArrayBatchedCopy_contigINS1_10OpaqueTypeILj8EEEjLi4ELi128ELi1EEEvPT_NS1_25CatArrInputTensorMetadataIS5_T0_XT2_EXT3_EEENS1_16TensorSizeStrideIS8_Lj4EEEiS8_ ; -- Begin function _ZN2at6native12_GLOBAL__N_126CatArrayBatchedCopy_contigINS1_10OpaqueTypeILj8EEEjLi4ELi128ELi1EEEvPT_NS1_25CatArrInputTensorMetadataIS5_T0_XT2_EXT3_EEENS1_16TensorSizeStrideIS8_Lj4EEEiS8_
	.p2align	8
	.type	_ZN2at6native12_GLOBAL__N_126CatArrayBatchedCopy_contigINS1_10OpaqueTypeILj8EEEjLi4ELi128ELi1EEEvPT_NS1_25CatArrInputTensorMetadataIS5_T0_XT2_EXT3_EEENS1_16TensorSizeStrideIS8_Lj4EEEiS8_,@function
_ZN2at6native12_GLOBAL__N_126CatArrayBatchedCopy_contigINS1_10OpaqueTypeILj8EEEjLi4ELi128ELi1EEEvPT_NS1_25CatArrInputTensorMetadataIS5_T0_XT2_EXT3_EEENS1_16TensorSizeStrideIS8_Lj4EEEiS8_: ; @_ZN2at6native12_GLOBAL__N_126CatArrayBatchedCopy_contigINS1_10OpaqueTypeILj8EEEjLi4ELi128ELi1EEEvPT_NS1_25CatArrInputTensorMetadataIS5_T0_XT2_EXT3_EEENS1_16TensorSizeStrideIS8_Lj4EEEiS8_
; %bb.0:
	s_mov_b32 s4, s3
	s_load_dword s3, s[0:1], 0xadc
	s_add_u32 s16, s0, 0xad0
	s_mov_b32 s5, 0
	s_addc_u32 s17, s1, 0
	s_lshl_b64 s[14:15], s[4:5], 2
	s_waitcnt lgkmcnt(0)
	s_and_b32 s19, s3, 0xffff
	s_add_u32 s4, s0, s14
	s_addc_u32 s5, s1, s15
	s_load_dword s18, s[4:5], 0x808
	s_mul_i32 s2, s2, s19
	v_add_u32_e32 v0, s2, v0
	s_add_u32 s20, s4, 8
	s_addc_u32 s21, s5, 0
	s_waitcnt lgkmcnt(0)
	v_cmp_gt_u32_e32 vcc, s18, v0
	s_and_saveexec_b64 s[2:3], vcc
	s_cbranch_execz .LBB78_3
; %bb.1:
	s_add_u32 s20, s20, s14
	s_load_dwordx2 s[2:3], s[0:1], 0xabc
	s_load_dwordx4 s[4:7], s[0:1], 0xab8
	s_load_dwordx2 s[12:13], s[0:1], 0x0
	s_load_dwordx4 s[8:11], s[0:1], 0xaac
	s_addc_u32 s21, s21, s15
	s_waitcnt lgkmcnt(0)
	s_sub_u32 s5, 0, s14
	s_subb_u32 s6, 0, s15
	s_add_u32 s22, s20, s5
	s_addc_u32 s23, s21, s6
	s_load_dwordx2 s[24:25], s[0:1], 0xac8
	s_load_dwordx2 s[14:15], s[20:21], 0x0
	s_load_dword s11, s[22:23], 0x600
	s_load_dword s26, s[22:23], 0x400
	s_mov_b32 s5, s7
	s_waitcnt lgkmcnt(0)
	s_cmp_eq_u32 s24, 3
	s_load_dword s16, s[16:17], 0x0
	s_cselect_b32 s6, s11, s10
	v_cvt_f32_u32_e32 v1, s6
	s_cmp_eq_u32 s24, 2
	s_cselect_b32 s9, s11, s9
	v_cvt_f32_u32_e32 v2, s9
	v_rcp_iflag_f32_e32 v1, v1
	s_cmp_eq_u32 s24, 1
	s_cselect_b32 s8, s11, s8
	s_sub_i32 s11, 0, s6
	v_mul_f32_e32 v1, 0x4f7ffffe, v1
	v_cvt_u32_f32_e32 v1, v1
	v_rcp_iflag_f32_e32 v4, v2
	s_waitcnt lgkmcnt(0)
	s_mul_i32 s10, s16, s19
	s_sub_i32 s16, 0, s9
	v_mul_lo_u32 v3, s11, v1
	v_mul_hi_u32 v2, v1, v3
	v_cvt_f32_u32_e32 v3, s8
	v_add_u32_e32 v2, v1, v2
	v_mul_f32_e32 v1, 0x4f7ffffe, v4
	v_cvt_u32_f32_e32 v4, v1
	v_rcp_iflag_f32_e32 v3, v3
	s_mov_b64 s[0:1], 0
	s_mul_i32 s7, s26, s25
	v_mul_lo_u32 v5, s16, v4
	v_mul_f32_e32 v3, 0x4f7ffffe, v3
	v_cvt_u32_f32_e32 v6, v3
	v_mul_hi_u32 v3, v4, v5
	s_sub_i32 s16, 0, s8
	v_add_u32_e32 v3, v4, v3
	v_mul_lo_u32 v4, s16, v6
	v_mul_hi_u32 v4, v6, v4
	v_mov_b32_e32 v1, 0
	v_add_u32_e32 v4, v6, v4
.LBB78_2:                               ; =>This Inner Loop Header: Depth=1
	v_lshl_add_u64 v[6:7], v[0:1], 3, s[14:15]
	global_load_dwordx2 v[6:7], v[6:7], off
	v_mul_hi_u32 v5, v2, v0
	v_mul_lo_u32 v8, s6, v5
	v_not_b32_e32 v10, v5
	v_sub_u32_e32 v8, v0, v8
	v_add_u32_e32 v12, 1, v5
	v_mad_u64_u32 v[10:11], s[16:17], s6, v10, v[0:1]
	v_cmp_le_u32_e32 vcc, s6, v8
	v_mov_b32_e32 v9, v1
	s_nop 0
	v_cndmask_b32_e32 v5, v5, v12, vcc
	v_cndmask_b32_e32 v8, v8, v10, vcc
	v_add_u32_e32 v10, 1, v5
	v_cmp_le_u32_e32 vcc, s6, v8
	s_nop 1
	v_cndmask_b32_e32 v5, v5, v10, vcc
	v_mul_hi_u32 v8, v5, v3
	v_mad_u64_u32 v[10:11], s[16:17], s11, v5, v[0:1]
	v_add_u32_e32 v0, s10, v0
	v_mul_lo_u32 v11, v8, s9
	v_cmp_le_u32_e32 vcc, s18, v0
	v_sub_u32_e32 v11, v5, v11
	v_add_u32_e32 v12, 1, v8
	s_or_b64 s[0:1], vcc, s[0:1]
	v_cmp_le_u32_e32 vcc, s9, v11
	v_mul_lo_u32 v10, v10, s5
	s_nop 0
	v_cndmask_b32_e32 v8, v8, v12, vcc
	v_subrev_u32_e32 v12, s9, v11
	v_cndmask_b32_e32 v11, v11, v12, vcc
	v_add_u32_e32 v12, 1, v8
	v_cmp_le_u32_e32 vcc, s9, v11
	s_nop 1
	v_cndmask_b32_e32 v8, v8, v12, vcc
	v_mul_hi_u32 v11, v8, v4
	v_mul_lo_u32 v12, v8, s9
	v_mul_lo_u32 v13, v11, s8
	v_sub_u32_e32 v5, v5, v12
	v_sub_u32_e32 v12, v8, v13
	v_add_u32_e32 v14, 1, v11
	v_cmp_le_u32_e32 vcc, s8, v12
	v_subrev_u32_e32 v13, s8, v12
	v_mul_lo_u32 v5, v5, s3
	v_cndmask_b32_e32 v11, v11, v14, vcc
	v_cndmask_b32_e32 v12, v12, v13, vcc
	v_add_u32_e32 v13, 1, v11
	v_cmp_le_u32_e32 vcc, s8, v12
	s_nop 1
	v_cndmask_b32_e32 v11, v11, v13, vcc
	v_mul_lo_u32 v12, v11, s8
	v_mul_lo_u32 v11, v11, s4
	v_sub_u32_e32 v8, v8, v12
	v_add3_u32 v10, v10, s7, v11
	v_mul_lo_u32 v8, v8, s2
	v_add3_u32 v8, v10, v5, v8
	v_lshl_add_u64 v[8:9], v[8:9], 3, s[12:13]
	s_waitcnt vmcnt(0)
	global_store_dwordx2 v[8:9], v[6:7], off
	s_andn2_b64 exec, exec, s[0:1]
	s_cbranch_execnz .LBB78_2
.LBB78_3:
	s_endpgm
	.section	.rodata,"a",@progbits
	.p2align	6, 0x0
	.amdhsa_kernel _ZN2at6native12_GLOBAL__N_126CatArrayBatchedCopy_contigINS1_10OpaqueTypeILj8EEEjLi4ELi128ELi1EEEvPT_NS1_25CatArrInputTensorMetadataIS5_T0_XT2_EXT3_EEENS1_16TensorSizeStrideIS8_Lj4EEEiS8_
		.amdhsa_group_segment_fixed_size 0
		.amdhsa_private_segment_fixed_size 0
		.amdhsa_kernarg_size 3024
		.amdhsa_user_sgpr_count 2
		.amdhsa_user_sgpr_dispatch_ptr 0
		.amdhsa_user_sgpr_queue_ptr 0
		.amdhsa_user_sgpr_kernarg_segment_ptr 1
		.amdhsa_user_sgpr_dispatch_id 0
		.amdhsa_user_sgpr_kernarg_preload_length 0
		.amdhsa_user_sgpr_kernarg_preload_offset 0
		.amdhsa_user_sgpr_private_segment_size 0
		.amdhsa_uses_dynamic_stack 0
		.amdhsa_enable_private_segment 0
		.amdhsa_system_sgpr_workgroup_id_x 1
		.amdhsa_system_sgpr_workgroup_id_y 1
		.amdhsa_system_sgpr_workgroup_id_z 0
		.amdhsa_system_sgpr_workgroup_info 0
		.amdhsa_system_vgpr_workitem_id 0
		.amdhsa_next_free_vgpr 15
		.amdhsa_next_free_sgpr 27
		.amdhsa_accum_offset 16
		.amdhsa_reserve_vcc 1
		.amdhsa_float_round_mode_32 0
		.amdhsa_float_round_mode_16_64 0
		.amdhsa_float_denorm_mode_32 3
		.amdhsa_float_denorm_mode_16_64 3
		.amdhsa_dx10_clamp 1
		.amdhsa_ieee_mode 1
		.amdhsa_fp16_overflow 0
		.amdhsa_tg_split 0
		.amdhsa_exception_fp_ieee_invalid_op 0
		.amdhsa_exception_fp_denorm_src 0
		.amdhsa_exception_fp_ieee_div_zero 0
		.amdhsa_exception_fp_ieee_overflow 0
		.amdhsa_exception_fp_ieee_underflow 0
		.amdhsa_exception_fp_ieee_inexact 0
		.amdhsa_exception_int_div_zero 0
	.end_amdhsa_kernel
	.section	.text._ZN2at6native12_GLOBAL__N_126CatArrayBatchedCopy_contigINS1_10OpaqueTypeILj8EEEjLi4ELi128ELi1EEEvPT_NS1_25CatArrInputTensorMetadataIS5_T0_XT2_EXT3_EEENS1_16TensorSizeStrideIS8_Lj4EEEiS8_,"axG",@progbits,_ZN2at6native12_GLOBAL__N_126CatArrayBatchedCopy_contigINS1_10OpaqueTypeILj8EEEjLi4ELi128ELi1EEEvPT_NS1_25CatArrInputTensorMetadataIS5_T0_XT2_EXT3_EEENS1_16TensorSizeStrideIS8_Lj4EEEiS8_,comdat
.Lfunc_end78:
	.size	_ZN2at6native12_GLOBAL__N_126CatArrayBatchedCopy_contigINS1_10OpaqueTypeILj8EEEjLi4ELi128ELi1EEEvPT_NS1_25CatArrInputTensorMetadataIS5_T0_XT2_EXT3_EEENS1_16TensorSizeStrideIS8_Lj4EEEiS8_, .Lfunc_end78-_ZN2at6native12_GLOBAL__N_126CatArrayBatchedCopy_contigINS1_10OpaqueTypeILj8EEEjLi4ELi128ELi1EEEvPT_NS1_25CatArrInputTensorMetadataIS5_T0_XT2_EXT3_EEENS1_16TensorSizeStrideIS8_Lj4EEEiS8_
                                        ; -- End function
	.set _ZN2at6native12_GLOBAL__N_126CatArrayBatchedCopy_contigINS1_10OpaqueTypeILj8EEEjLi4ELi128ELi1EEEvPT_NS1_25CatArrInputTensorMetadataIS5_T0_XT2_EXT3_EEENS1_16TensorSizeStrideIS8_Lj4EEEiS8_.num_vgpr, 15
	.set _ZN2at6native12_GLOBAL__N_126CatArrayBatchedCopy_contigINS1_10OpaqueTypeILj8EEEjLi4ELi128ELi1EEEvPT_NS1_25CatArrInputTensorMetadataIS5_T0_XT2_EXT3_EEENS1_16TensorSizeStrideIS8_Lj4EEEiS8_.num_agpr, 0
	.set _ZN2at6native12_GLOBAL__N_126CatArrayBatchedCopy_contigINS1_10OpaqueTypeILj8EEEjLi4ELi128ELi1EEEvPT_NS1_25CatArrInputTensorMetadataIS5_T0_XT2_EXT3_EEENS1_16TensorSizeStrideIS8_Lj4EEEiS8_.numbered_sgpr, 27
	.set _ZN2at6native12_GLOBAL__N_126CatArrayBatchedCopy_contigINS1_10OpaqueTypeILj8EEEjLi4ELi128ELi1EEEvPT_NS1_25CatArrInputTensorMetadataIS5_T0_XT2_EXT3_EEENS1_16TensorSizeStrideIS8_Lj4EEEiS8_.num_named_barrier, 0
	.set _ZN2at6native12_GLOBAL__N_126CatArrayBatchedCopy_contigINS1_10OpaqueTypeILj8EEEjLi4ELi128ELi1EEEvPT_NS1_25CatArrInputTensorMetadataIS5_T0_XT2_EXT3_EEENS1_16TensorSizeStrideIS8_Lj4EEEiS8_.private_seg_size, 0
	.set _ZN2at6native12_GLOBAL__N_126CatArrayBatchedCopy_contigINS1_10OpaqueTypeILj8EEEjLi4ELi128ELi1EEEvPT_NS1_25CatArrInputTensorMetadataIS5_T0_XT2_EXT3_EEENS1_16TensorSizeStrideIS8_Lj4EEEiS8_.uses_vcc, 1
	.set _ZN2at6native12_GLOBAL__N_126CatArrayBatchedCopy_contigINS1_10OpaqueTypeILj8EEEjLi4ELi128ELi1EEEvPT_NS1_25CatArrInputTensorMetadataIS5_T0_XT2_EXT3_EEENS1_16TensorSizeStrideIS8_Lj4EEEiS8_.uses_flat_scratch, 0
	.set _ZN2at6native12_GLOBAL__N_126CatArrayBatchedCopy_contigINS1_10OpaqueTypeILj8EEEjLi4ELi128ELi1EEEvPT_NS1_25CatArrInputTensorMetadataIS5_T0_XT2_EXT3_EEENS1_16TensorSizeStrideIS8_Lj4EEEiS8_.has_dyn_sized_stack, 0
	.set _ZN2at6native12_GLOBAL__N_126CatArrayBatchedCopy_contigINS1_10OpaqueTypeILj8EEEjLi4ELi128ELi1EEEvPT_NS1_25CatArrInputTensorMetadataIS5_T0_XT2_EXT3_EEENS1_16TensorSizeStrideIS8_Lj4EEEiS8_.has_recursion, 0
	.set _ZN2at6native12_GLOBAL__N_126CatArrayBatchedCopy_contigINS1_10OpaqueTypeILj8EEEjLi4ELi128ELi1EEEvPT_NS1_25CatArrInputTensorMetadataIS5_T0_XT2_EXT3_EEENS1_16TensorSizeStrideIS8_Lj4EEEiS8_.has_indirect_call, 0
	.section	.AMDGPU.csdata,"",@progbits
; Kernel info:
; codeLenInByte = 704
; TotalNumSgprs: 33
; NumVgprs: 15
; NumAgprs: 0
; TotalNumVgprs: 15
; ScratchSize: 0
; MemoryBound: 0
; FloatMode: 240
; IeeeMode: 1
; LDSByteSize: 0 bytes/workgroup (compile time only)
; SGPRBlocks: 4
; VGPRBlocks: 1
; NumSGPRsForWavesPerEU: 33
; NumVGPRsForWavesPerEU: 15
; AccumOffset: 16
; Occupancy: 8
; WaveLimiterHint : 1
; COMPUTE_PGM_RSRC2:SCRATCH_EN: 0
; COMPUTE_PGM_RSRC2:USER_SGPR: 2
; COMPUTE_PGM_RSRC2:TRAP_HANDLER: 0
; COMPUTE_PGM_RSRC2:TGID_X_EN: 1
; COMPUTE_PGM_RSRC2:TGID_Y_EN: 1
; COMPUTE_PGM_RSRC2:TGID_Z_EN: 0
; COMPUTE_PGM_RSRC2:TIDIG_COMP_CNT: 0
; COMPUTE_PGM_RSRC3_GFX90A:ACCUM_OFFSET: 3
; COMPUTE_PGM_RSRC3_GFX90A:TG_SPLIT: 0
	.section	.text._ZN2at6native12_GLOBAL__N_119CatArrayBatchedCopyINS1_10OpaqueTypeILj8EEEjLi4ELi128ELi1EEEvPT_NS1_25CatArrInputTensorMetadataIS5_T0_XT2_EXT3_EEENS1_16TensorSizeStrideIS8_Lj4EEEiS8_,"axG",@progbits,_ZN2at6native12_GLOBAL__N_119CatArrayBatchedCopyINS1_10OpaqueTypeILj8EEEjLi4ELi128ELi1EEEvPT_NS1_25CatArrInputTensorMetadataIS5_T0_XT2_EXT3_EEENS1_16TensorSizeStrideIS8_Lj4EEEiS8_,comdat
	.globl	_ZN2at6native12_GLOBAL__N_119CatArrayBatchedCopyINS1_10OpaqueTypeILj8EEEjLi4ELi128ELi1EEEvPT_NS1_25CatArrInputTensorMetadataIS5_T0_XT2_EXT3_EEENS1_16TensorSizeStrideIS8_Lj4EEEiS8_ ; -- Begin function _ZN2at6native12_GLOBAL__N_119CatArrayBatchedCopyINS1_10OpaqueTypeILj8EEEjLi4ELi128ELi1EEEvPT_NS1_25CatArrInputTensorMetadataIS5_T0_XT2_EXT3_EEENS1_16TensorSizeStrideIS8_Lj4EEEiS8_
	.p2align	8
	.type	_ZN2at6native12_GLOBAL__N_119CatArrayBatchedCopyINS1_10OpaqueTypeILj8EEEjLi4ELi128ELi1EEEvPT_NS1_25CatArrInputTensorMetadataIS5_T0_XT2_EXT3_EEENS1_16TensorSizeStrideIS8_Lj4EEEiS8_,@function
_ZN2at6native12_GLOBAL__N_119CatArrayBatchedCopyINS1_10OpaqueTypeILj8EEEjLi4ELi128ELi1EEEvPT_NS1_25CatArrInputTensorMetadataIS5_T0_XT2_EXT3_EEENS1_16TensorSizeStrideIS8_Lj4EEEiS8_: ; @_ZN2at6native12_GLOBAL__N_119CatArrayBatchedCopyINS1_10OpaqueTypeILj8EEEjLi4ELi128ELi1EEEvPT_NS1_25CatArrInputTensorMetadataIS5_T0_XT2_EXT3_EEENS1_16TensorSizeStrideIS8_Lj4EEEiS8_
; %bb.0:
	s_mov_b32 s20, s3
	s_load_dword s3, s[0:1], 0xadc
	s_or_b32 s26, s0, 8
	s_add_u32 s28, s0, 0xad0
	s_mov_b32 s21, 0
	s_addc_u32 s29, s1, 0
	s_waitcnt lgkmcnt(0)
	s_and_b32 s31, s3, 0xffff
	s_lshl_b64 s[22:23], s[20:21], 2
	s_add_u32 s4, s26, s22
	s_addc_u32 s5, s1, s23
	s_load_dword s30, s[4:5], 0x800
	s_mul_i32 s2, s2, s31
	v_add_u32_e32 v0, s2, v0
	s_waitcnt lgkmcnt(0)
	v_cmp_gt_u32_e32 vcc, s30, v0
	s_and_saveexec_b64 s[2:3], vcc
	s_cbranch_execz .LBB79_5
; %bb.1:
	s_add_u32 s34, s26, s20
	s_addc_u32 s35, s1, 0
	v_mov_b32_e32 v1, 0
	global_load_ubyte v2, v1, s[34:35] offset:2560
	s_mov_b32 s27, s1
	s_load_dwordx2 s[24:25], s[0:1], 0xac8
	s_load_dwordx4 s[4:7], s[26:27], 0xa90
	s_load_dwordx2 s[2:3], s[0:1], 0x0
	s_load_dwordx4 s[12:15], s[0:1], 0xa8c
	s_load_dwordx4 s[8:11], s[0:1], 0xab8
	;; [unrolled: 1-line block ×3, first 2 shown]
                                        ; kill: killed $sgpr0 killed $sgpr1
	s_waitcnt lgkmcnt(0)
	s_mul_i32 s19, s20, 7
	s_load_dword s15, s[28:29], 0x0
                                        ; kill: killed $sgpr28 killed $sgpr29
	s_mul_hi_u32 s6, s20, 7
	s_mov_b32 s5, s7
	s_mov_b64 s[20:21], 0
	s_waitcnt lgkmcnt(0)
	s_mul_i32 s15, s15, s31
	s_waitcnt vmcnt(0)
	v_and_b32_e32 v2, 1, v2
	v_cmp_eq_u32_e32 vcc, 1, v2
	s_xor_b64 s[0:1], vcc, -1
	s_add_u32 s28, s34, s19
	s_addc_u32 s29, s35, s6
	s_sub_u32 s6, 0, s22
	s_subb_u32 s7, 0, s23
	s_add_u32 s34, s28, s6
	s_addc_u32 s35, s29, s7
	s_load_dwordx2 s[6:7], s[26:27], 0xa94
	s_load_dwordx2 s[22:23], s[28:29], 0x0
	s_load_dword s19, s[34:35], 0x400
	s_load_dword s33, s[34:35], 0x600
	s_cmp_eq_u32 s24, 3
	v_cndmask_b32_e64 v2, 0, 1, s[0:1]
	s_waitcnt lgkmcnt(0)
	s_mul_i32 s19, s19, s25
	s_cselect_b32 s18, s33, s18
	s_cselect_b32 s14, s33, s14
	s_cmp_eq_u32 s24, 2
	s_cselect_b32 s17, s33, s17
	s_cselect_b32 s13, s33, s13
	s_cmp_eq_u32 s24, 1
	v_cvt_f32_u32_e32 v3, s18
	v_cvt_f32_u32_e32 v4, s14
	s_cselect_b32 s16, s33, s16
	s_cselect_b32 s12, s33, s12
	v_cvt_f32_u32_e32 v5, s17
	v_cvt_f32_u32_e32 v6, s13
	;; [unrolled: 1-line block ×4, first 2 shown]
	v_rcp_iflag_f32_e32 v3, v3
	v_rcp_iflag_f32_e32 v4, v4
	;; [unrolled: 1-line block ×6, first 2 shown]
	v_mul_f32_e32 v3, 0x4f7ffffe, v3
	v_mul_f32_e32 v4, 0x4f7ffffe, v4
	v_cvt_u32_f32_e32 v3, v3
	v_mul_f32_e32 v5, 0x4f7ffffe, v5
	v_cvt_u32_f32_e32 v9, v4
	;; [unrolled: 2-line block ×5, first 2 shown]
	v_cvt_u32_f32_e32 v10, v4
	s_sub_i32 s24, 0, s18
	s_sub_i32 s25, 0, s14
	;; [unrolled: 1-line block ×4, first 2 shown]
	v_mul_lo_u32 v4, s24, v3
	v_mul_lo_u32 v5, s25, v9
	s_sub_i32 s26, 0, s16
	s_sub_i32 s27, 0, s12
	v_mul_hi_u32 v4, v3, v4
	v_mul_lo_u32 v11, s0, v6
	v_mul_hi_u32 v5, v9, v5
	v_mul_lo_u32 v12, s1, v7
	v_add_u32_e32 v4, v3, v4
	v_mul_hi_u32 v3, v6, v11
	v_mul_lo_u32 v11, s26, v8
	v_add_u32_e32 v5, v9, v5
	;; [unrolled: 3-line block ×3, first 2 shown]
	v_mul_hi_u32 v3, v8, v11
	v_add_u32_e32 v7, v7, v9
	v_mul_hi_u32 v9, v10, v12
	v_add_u32_e32 v8, v8, v3
	v_add_u32_e32 v9, v10, v9
	v_cmp_ne_u32_e64 s[0:1], 1, v2
	s_branch .LBB79_3
.LBB79_2:                               ;   in Loop: Header=BB79_3 Depth=1
	v_lshl_add_u64 v[2:3], v[2:3], 3, s[22:23]
	global_load_dwordx2 v[2:3], v[2:3], off
	v_mul_hi_u32 v12, v4, v0
	v_mad_u64_u32 v[10:11], s[26:27], s24, v12, v[0:1]
	v_not_b32_e32 v13, v12
	v_add_u32_e32 v11, 1, v12
	v_cmp_le_u32_e32 vcc, s18, v10
	s_nop 1
	v_cndmask_b32_e32 v11, v12, v11, vcc
	v_mad_u64_u32 v[12:13], s[26:27], s18, v13, v[0:1]
	v_cndmask_b32_e32 v10, v10, v12, vcc
	v_add_u32_e32 v12, 1, v11
	v_cmp_le_u32_e32 vcc, s18, v10
	s_nop 1
	v_cndmask_b32_e32 v10, v11, v12, vcc
	v_mul_hi_u32 v11, v10, v6
	v_mul_lo_u32 v12, v11, s17
	v_sub_u32_e32 v12, v10, v12
	v_add_u32_e32 v13, 1, v11
	v_cmp_le_u32_e32 vcc, s17, v12
	s_nop 1
	v_cndmask_b32_e32 v11, v11, v13, vcc
	v_subrev_u32_e32 v13, s17, v12
	v_cndmask_b32_e32 v12, v12, v13, vcc
	v_add_u32_e32 v13, 1, v11
	v_cmp_le_u32_e32 vcc, s17, v12
	s_nop 1
	v_cndmask_b32_e32 v12, v11, v13, vcc
	v_mul_lo_u32 v11, v12, s17
	v_sub_u32_e32 v11, v10, v11
	v_mul_lo_u32 v13, v11, s10
	v_mad_u64_u32 v[10:11], s[26:27], s24, v10, v[0:1]
	v_mul_hi_u32 v11, v12, v8
	v_mul_lo_u32 v14, v11, s16
	v_sub_u32_e32 v14, v12, v14
	v_add_u32_e32 v15, 1, v11
	v_cmp_le_u32_e32 vcc, s16, v14
	v_mul_lo_u32 v10, v10, s11
	v_add_u32_e32 v0, s15, v0
	v_cndmask_b32_e32 v11, v11, v15, vcc
	v_subrev_u32_e32 v15, s16, v14
	v_cndmask_b32_e32 v14, v14, v15, vcc
	v_add_u32_e32 v15, 1, v11
	v_cmp_le_u32_e32 vcc, s16, v14
	s_nop 1
	v_cndmask_b32_e32 v11, v11, v15, vcc
	v_mul_lo_u32 v14, v11, s16
	v_sub_u32_e32 v12, v12, v14
	v_mul_lo_u32 v11, v11, s8
	v_mul_lo_u32 v12, v12, s9
	v_add3_u32 v10, v11, v10, v13
	v_add3_u32 v10, v10, v12, s19
	v_mov_b32_e32 v11, v1
	v_cmp_le_u32_e32 vcc, s30, v0
	v_lshl_add_u64 v[10:11], v[10:11], 3, s[2:3]
	s_or_b64 s[20:21], vcc, s[20:21]
	s_waitcnt vmcnt(0)
	global_store_dwordx2 v[10:11], v[2:3], off
	s_andn2_b64 exec, exec, s[20:21]
	s_cbranch_execz .LBB79_5
.LBB79_3:                               ; =>This Inner Loop Header: Depth=1
	s_and_b64 vcc, exec, s[0:1]
	v_mov_b64_e32 v[2:3], v[0:1]
	s_cbranch_vccnz .LBB79_2
; %bb.4:                                ;   in Loop: Header=BB79_3 Depth=1
	v_mul_hi_u32 v10, v5, v0
	v_mad_u64_u32 v[2:3], s[26:27], s25, v10, v[0:1]
	v_not_b32_e32 v11, v10
	v_add_u32_e32 v3, 1, v10
	v_cmp_le_u32_e32 vcc, s14, v2
	s_nop 1
	v_cndmask_b32_e32 v3, v10, v3, vcc
	v_mad_u64_u32 v[10:11], s[26:27], s14, v11, v[0:1]
	v_cndmask_b32_e32 v2, v2, v10, vcc
	v_add_u32_e32 v10, 1, v3
	v_cmp_le_u32_e32 vcc, s14, v2
	s_nop 1
	v_cndmask_b32_e32 v2, v3, v10, vcc
	v_mul_hi_u32 v3, v2, v7
	v_mul_lo_u32 v10, v3, s13
	v_sub_u32_e32 v10, v2, v10
	v_add_u32_e32 v11, 1, v3
	v_cmp_le_u32_e32 vcc, s13, v10
	s_nop 1
	v_cndmask_b32_e32 v3, v3, v11, vcc
	v_subrev_u32_e32 v11, s13, v10
	v_cndmask_b32_e32 v10, v10, v11, vcc
	v_add_u32_e32 v11, 1, v3
	v_cmp_le_u32_e32 vcc, s13, v10
	s_nop 1
	v_cndmask_b32_e32 v10, v3, v11, vcc
	v_mul_lo_u32 v3, v10, s13
	v_sub_u32_e32 v3, v2, v3
	v_mul_lo_u32 v11, v3, s7
	v_mad_u64_u32 v[2:3], s[26:27], s25, v2, v[0:1]
	v_mul_hi_u32 v3, v10, v9
	v_mul_lo_u32 v12, v3, s12
	v_sub_u32_e32 v12, v10, v12
	v_add_u32_e32 v13, 1, v3
	v_cmp_le_u32_e32 vcc, s12, v12
	v_mul_lo_u32 v2, v2, s5
	s_nop 0
	v_cndmask_b32_e32 v3, v3, v13, vcc
	v_subrev_u32_e32 v13, s12, v12
	v_cndmask_b32_e32 v12, v12, v13, vcc
	v_add_u32_e32 v13, 1, v3
	v_cmp_le_u32_e32 vcc, s12, v12
	s_nop 1
	v_cndmask_b32_e32 v3, v3, v13, vcc
	v_mul_lo_u32 v12, v3, s12
	v_sub_u32_e32 v10, v10, v12
	v_mul_lo_u32 v10, v10, s6
	v_mad_u64_u32 v[2:3], s[26:27], v3, s4, v[2:3]
	v_add3_u32 v2, v2, v11, v10
	v_mov_b32_e32 v3, v1
	s_branch .LBB79_2
.LBB79_5:
	s_endpgm
	.section	.rodata,"a",@progbits
	.p2align	6, 0x0
	.amdhsa_kernel _ZN2at6native12_GLOBAL__N_119CatArrayBatchedCopyINS1_10OpaqueTypeILj8EEEjLi4ELi128ELi1EEEvPT_NS1_25CatArrInputTensorMetadataIS5_T0_XT2_EXT3_EEENS1_16TensorSizeStrideIS8_Lj4EEEiS8_
		.amdhsa_group_segment_fixed_size 0
		.amdhsa_private_segment_fixed_size 0
		.amdhsa_kernarg_size 3024
		.amdhsa_user_sgpr_count 2
		.amdhsa_user_sgpr_dispatch_ptr 0
		.amdhsa_user_sgpr_queue_ptr 0
		.amdhsa_user_sgpr_kernarg_segment_ptr 1
		.amdhsa_user_sgpr_dispatch_id 0
		.amdhsa_user_sgpr_kernarg_preload_length 0
		.amdhsa_user_sgpr_kernarg_preload_offset 0
		.amdhsa_user_sgpr_private_segment_size 0
		.amdhsa_uses_dynamic_stack 0
		.amdhsa_enable_private_segment 0
		.amdhsa_system_sgpr_workgroup_id_x 1
		.amdhsa_system_sgpr_workgroup_id_y 1
		.amdhsa_system_sgpr_workgroup_id_z 0
		.amdhsa_system_sgpr_workgroup_info 0
		.amdhsa_system_vgpr_workitem_id 0
		.amdhsa_next_free_vgpr 16
		.amdhsa_next_free_sgpr 36
		.amdhsa_accum_offset 16
		.amdhsa_reserve_vcc 1
		.amdhsa_float_round_mode_32 0
		.amdhsa_float_round_mode_16_64 0
		.amdhsa_float_denorm_mode_32 3
		.amdhsa_float_denorm_mode_16_64 3
		.amdhsa_dx10_clamp 1
		.amdhsa_ieee_mode 1
		.amdhsa_fp16_overflow 0
		.amdhsa_tg_split 0
		.amdhsa_exception_fp_ieee_invalid_op 0
		.amdhsa_exception_fp_denorm_src 0
		.amdhsa_exception_fp_ieee_div_zero 0
		.amdhsa_exception_fp_ieee_overflow 0
		.amdhsa_exception_fp_ieee_underflow 0
		.amdhsa_exception_fp_ieee_inexact 0
		.amdhsa_exception_int_div_zero 0
	.end_amdhsa_kernel
	.section	.text._ZN2at6native12_GLOBAL__N_119CatArrayBatchedCopyINS1_10OpaqueTypeILj8EEEjLi4ELi128ELi1EEEvPT_NS1_25CatArrInputTensorMetadataIS5_T0_XT2_EXT3_EEENS1_16TensorSizeStrideIS8_Lj4EEEiS8_,"axG",@progbits,_ZN2at6native12_GLOBAL__N_119CatArrayBatchedCopyINS1_10OpaqueTypeILj8EEEjLi4ELi128ELi1EEEvPT_NS1_25CatArrInputTensorMetadataIS5_T0_XT2_EXT3_EEENS1_16TensorSizeStrideIS8_Lj4EEEiS8_,comdat
.Lfunc_end79:
	.size	_ZN2at6native12_GLOBAL__N_119CatArrayBatchedCopyINS1_10OpaqueTypeILj8EEEjLi4ELi128ELi1EEEvPT_NS1_25CatArrInputTensorMetadataIS5_T0_XT2_EXT3_EEENS1_16TensorSizeStrideIS8_Lj4EEEiS8_, .Lfunc_end79-_ZN2at6native12_GLOBAL__N_119CatArrayBatchedCopyINS1_10OpaqueTypeILj8EEEjLi4ELi128ELi1EEEvPT_NS1_25CatArrInputTensorMetadataIS5_T0_XT2_EXT3_EEENS1_16TensorSizeStrideIS8_Lj4EEEiS8_
                                        ; -- End function
	.set _ZN2at6native12_GLOBAL__N_119CatArrayBatchedCopyINS1_10OpaqueTypeILj8EEEjLi4ELi128ELi1EEEvPT_NS1_25CatArrInputTensorMetadataIS5_T0_XT2_EXT3_EEENS1_16TensorSizeStrideIS8_Lj4EEEiS8_.num_vgpr, 16
	.set _ZN2at6native12_GLOBAL__N_119CatArrayBatchedCopyINS1_10OpaqueTypeILj8EEEjLi4ELi128ELi1EEEvPT_NS1_25CatArrInputTensorMetadataIS5_T0_XT2_EXT3_EEENS1_16TensorSizeStrideIS8_Lj4EEEiS8_.num_agpr, 0
	.set _ZN2at6native12_GLOBAL__N_119CatArrayBatchedCopyINS1_10OpaqueTypeILj8EEEjLi4ELi128ELi1EEEvPT_NS1_25CatArrInputTensorMetadataIS5_T0_XT2_EXT3_EEENS1_16TensorSizeStrideIS8_Lj4EEEiS8_.numbered_sgpr, 36
	.set _ZN2at6native12_GLOBAL__N_119CatArrayBatchedCopyINS1_10OpaqueTypeILj8EEEjLi4ELi128ELi1EEEvPT_NS1_25CatArrInputTensorMetadataIS5_T0_XT2_EXT3_EEENS1_16TensorSizeStrideIS8_Lj4EEEiS8_.num_named_barrier, 0
	.set _ZN2at6native12_GLOBAL__N_119CatArrayBatchedCopyINS1_10OpaqueTypeILj8EEEjLi4ELi128ELi1EEEvPT_NS1_25CatArrInputTensorMetadataIS5_T0_XT2_EXT3_EEENS1_16TensorSizeStrideIS8_Lj4EEEiS8_.private_seg_size, 0
	.set _ZN2at6native12_GLOBAL__N_119CatArrayBatchedCopyINS1_10OpaqueTypeILj8EEEjLi4ELi128ELi1EEEvPT_NS1_25CatArrInputTensorMetadataIS5_T0_XT2_EXT3_EEENS1_16TensorSizeStrideIS8_Lj4EEEiS8_.uses_vcc, 1
	.set _ZN2at6native12_GLOBAL__N_119CatArrayBatchedCopyINS1_10OpaqueTypeILj8EEEjLi4ELi128ELi1EEEvPT_NS1_25CatArrInputTensorMetadataIS5_T0_XT2_EXT3_EEENS1_16TensorSizeStrideIS8_Lj4EEEiS8_.uses_flat_scratch, 0
	.set _ZN2at6native12_GLOBAL__N_119CatArrayBatchedCopyINS1_10OpaqueTypeILj8EEEjLi4ELi128ELi1EEEvPT_NS1_25CatArrInputTensorMetadataIS5_T0_XT2_EXT3_EEENS1_16TensorSizeStrideIS8_Lj4EEEiS8_.has_dyn_sized_stack, 0
	.set _ZN2at6native12_GLOBAL__N_119CatArrayBatchedCopyINS1_10OpaqueTypeILj8EEEjLi4ELi128ELi1EEEvPT_NS1_25CatArrInputTensorMetadataIS5_T0_XT2_EXT3_EEENS1_16TensorSizeStrideIS8_Lj4EEEiS8_.has_recursion, 0
	.set _ZN2at6native12_GLOBAL__N_119CatArrayBatchedCopyINS1_10OpaqueTypeILj8EEEjLi4ELi128ELi1EEEvPT_NS1_25CatArrInputTensorMetadataIS5_T0_XT2_EXT3_EEENS1_16TensorSizeStrideIS8_Lj4EEEiS8_.has_indirect_call, 0
	.section	.AMDGPU.csdata,"",@progbits
; Kernel info:
; codeLenInByte = 1196
; TotalNumSgprs: 42
; NumVgprs: 16
; NumAgprs: 0
; TotalNumVgprs: 16
; ScratchSize: 0
; MemoryBound: 0
; FloatMode: 240
; IeeeMode: 1
; LDSByteSize: 0 bytes/workgroup (compile time only)
; SGPRBlocks: 5
; VGPRBlocks: 1
; NumSGPRsForWavesPerEU: 42
; NumVGPRsForWavesPerEU: 16
; AccumOffset: 16
; Occupancy: 8
; WaveLimiterHint : 1
; COMPUTE_PGM_RSRC2:SCRATCH_EN: 0
; COMPUTE_PGM_RSRC2:USER_SGPR: 2
; COMPUTE_PGM_RSRC2:TRAP_HANDLER: 0
; COMPUTE_PGM_RSRC2:TGID_X_EN: 1
; COMPUTE_PGM_RSRC2:TGID_Y_EN: 1
; COMPUTE_PGM_RSRC2:TGID_Z_EN: 0
; COMPUTE_PGM_RSRC2:TIDIG_COMP_CNT: 0
; COMPUTE_PGM_RSRC3_GFX90A:ACCUM_OFFSET: 3
; COMPUTE_PGM_RSRC3_GFX90A:TG_SPLIT: 0
	.section	.text._ZN2at6native12_GLOBAL__N_130CatArrayBatchedCopy_vectorizedINS1_10OpaqueTypeILj16EEEjLi1ELi128ELi1ELi16ELi1EEEvPcNS1_25CatArrInputTensorMetadataIT_T0_XT2_EXT3_EEENS1_16TensorSizeStrideIS8_Lj4EEEiS8_,"axG",@progbits,_ZN2at6native12_GLOBAL__N_130CatArrayBatchedCopy_vectorizedINS1_10OpaqueTypeILj16EEEjLi1ELi128ELi1ELi16ELi1EEEvPcNS1_25CatArrInputTensorMetadataIT_T0_XT2_EXT3_EEENS1_16TensorSizeStrideIS8_Lj4EEEiS8_,comdat
	.globl	_ZN2at6native12_GLOBAL__N_130CatArrayBatchedCopy_vectorizedINS1_10OpaqueTypeILj16EEEjLi1ELi128ELi1ELi16ELi1EEEvPcNS1_25CatArrInputTensorMetadataIT_T0_XT2_EXT3_EEENS1_16TensorSizeStrideIS8_Lj4EEEiS8_ ; -- Begin function _ZN2at6native12_GLOBAL__N_130CatArrayBatchedCopy_vectorizedINS1_10OpaqueTypeILj16EEEjLi1ELi128ELi1ELi16ELi1EEEvPcNS1_25CatArrInputTensorMetadataIT_T0_XT2_EXT3_EEENS1_16TensorSizeStrideIS8_Lj4EEEiS8_
	.p2align	8
	.type	_ZN2at6native12_GLOBAL__N_130CatArrayBatchedCopy_vectorizedINS1_10OpaqueTypeILj16EEEjLi1ELi128ELi1ELi16ELi1EEEvPcNS1_25CatArrInputTensorMetadataIT_T0_XT2_EXT3_EEENS1_16TensorSizeStrideIS8_Lj4EEEiS8_,@function
_ZN2at6native12_GLOBAL__N_130CatArrayBatchedCopy_vectorizedINS1_10OpaqueTypeILj16EEEjLi1ELi128ELi1ELi16ELi1EEEvPcNS1_25CatArrInputTensorMetadataIT_T0_XT2_EXT3_EEENS1_16TensorSizeStrideIS8_Lj4EEEiS8_: ; @_ZN2at6native12_GLOBAL__N_130CatArrayBatchedCopy_vectorizedINS1_10OpaqueTypeILj16EEEjLi1ELi128ELi1ELi16ELi1EEEvPcNS1_25CatArrInputTensorMetadataIT_T0_XT2_EXT3_EEENS1_16TensorSizeStrideIS8_Lj4EEEiS8_
; %bb.0:
	s_mov_b32 s4, s3
	s_load_dword s3, s[0:1], 0xadc
	s_add_u32 s6, s0, 0xad0
	s_mov_b32 s5, 0
	s_addc_u32 s7, s1, 0
	s_lshl_b64 s[8:9], s[4:5], 2
	s_waitcnt lgkmcnt(0)
	s_and_b32 s11, s3, 0xffff
	s_add_u32 s12, s0, s8
	s_addc_u32 s13, s1, s9
	s_load_dword s10, s[12:13], 0x808
	s_mul_i32 s2, s2, s11
	v_add_u32_e32 v0, s2, v0
	s_add_u32 s2, s12, 8
	s_addc_u32 s3, s13, 0
	s_waitcnt lgkmcnt(0)
	v_cmp_gt_u32_e32 vcc, s10, v0
	s_and_saveexec_b64 s[12:13], vcc
	s_cbranch_execz .LBB80_3
; %bb.1:
	s_load_dword s14, s[6:7], 0x0
	s_add_u32 s6, s2, s8
	s_addc_u32 s7, s3, s9
	s_sub_u32 s2, 0, s8
	s_subb_u32 s3, 0, s9
	s_add_u32 s8, s6, s2
	s_addc_u32 s9, s7, s3
	s_load_dword s4, s[8:9], 0x400
	s_load_dword s15, s[0:1], 0xacc
	s_load_dwordx2 s[12:13], s[0:1], 0x0
	s_load_dwordx2 s[2:3], s[6:7], 0x0
	s_load_dword s16, s[0:1], 0xab8
	s_waitcnt lgkmcnt(0)
	s_mul_i32 s6, s14, s11
	s_mul_i32 s4, s4, s15
	s_lshl_b64 s[4:5], s[4:5], 4
	s_add_u32 s4, s12, s4
	s_mov_b64 s[0:1], 0
	s_addc_u32 s5, s13, s5
	v_mul_lo_u32 v2, s16, v0
	s_mul_i32 s7, s6, s16
	v_mov_b32_e32 v3, 0
.LBB80_2:                               ; =>This Inner Loop Header: Depth=1
	v_mov_b32_e32 v1, v3
	v_lshl_add_u64 v[4:5], v[0:1], 4, s[2:3]
	global_load_dwordx4 v[4:7], v[4:5], off
	v_add_u32_e32 v0, s6, v0
	v_cmp_le_u32_e32 vcc, s10, v0
	v_lshl_add_u64 v[8:9], v[2:3], 4, s[4:5]
	v_add_u32_e32 v2, s7, v2
	s_or_b64 s[0:1], vcc, s[0:1]
	s_waitcnt vmcnt(0)
	global_store_dwordx4 v[8:9], v[4:7], off
	s_andn2_b64 exec, exec, s[0:1]
	s_cbranch_execnz .LBB80_2
.LBB80_3:
	s_endpgm
	.section	.rodata,"a",@progbits
	.p2align	6, 0x0
	.amdhsa_kernel _ZN2at6native12_GLOBAL__N_130CatArrayBatchedCopy_vectorizedINS1_10OpaqueTypeILj16EEEjLi1ELi128ELi1ELi16ELi1EEEvPcNS1_25CatArrInputTensorMetadataIT_T0_XT2_EXT3_EEENS1_16TensorSizeStrideIS8_Lj4EEEiS8_
		.amdhsa_group_segment_fixed_size 0
		.amdhsa_private_segment_fixed_size 0
		.amdhsa_kernarg_size 3024
		.amdhsa_user_sgpr_count 2
		.amdhsa_user_sgpr_dispatch_ptr 0
		.amdhsa_user_sgpr_queue_ptr 0
		.amdhsa_user_sgpr_kernarg_segment_ptr 1
		.amdhsa_user_sgpr_dispatch_id 0
		.amdhsa_user_sgpr_kernarg_preload_length 0
		.amdhsa_user_sgpr_kernarg_preload_offset 0
		.amdhsa_user_sgpr_private_segment_size 0
		.amdhsa_uses_dynamic_stack 0
		.amdhsa_enable_private_segment 0
		.amdhsa_system_sgpr_workgroup_id_x 1
		.amdhsa_system_sgpr_workgroup_id_y 1
		.amdhsa_system_sgpr_workgroup_id_z 0
		.amdhsa_system_sgpr_workgroup_info 0
		.amdhsa_system_vgpr_workitem_id 0
		.amdhsa_next_free_vgpr 10
		.amdhsa_next_free_sgpr 17
		.amdhsa_accum_offset 12
		.amdhsa_reserve_vcc 1
		.amdhsa_float_round_mode_32 0
		.amdhsa_float_round_mode_16_64 0
		.amdhsa_float_denorm_mode_32 3
		.amdhsa_float_denorm_mode_16_64 3
		.amdhsa_dx10_clamp 1
		.amdhsa_ieee_mode 1
		.amdhsa_fp16_overflow 0
		.amdhsa_tg_split 0
		.amdhsa_exception_fp_ieee_invalid_op 0
		.amdhsa_exception_fp_denorm_src 0
		.amdhsa_exception_fp_ieee_div_zero 0
		.amdhsa_exception_fp_ieee_overflow 0
		.amdhsa_exception_fp_ieee_underflow 0
		.amdhsa_exception_fp_ieee_inexact 0
		.amdhsa_exception_int_div_zero 0
	.end_amdhsa_kernel
	.section	.text._ZN2at6native12_GLOBAL__N_130CatArrayBatchedCopy_vectorizedINS1_10OpaqueTypeILj16EEEjLi1ELi128ELi1ELi16ELi1EEEvPcNS1_25CatArrInputTensorMetadataIT_T0_XT2_EXT3_EEENS1_16TensorSizeStrideIS8_Lj4EEEiS8_,"axG",@progbits,_ZN2at6native12_GLOBAL__N_130CatArrayBatchedCopy_vectorizedINS1_10OpaqueTypeILj16EEEjLi1ELi128ELi1ELi16ELi1EEEvPcNS1_25CatArrInputTensorMetadataIT_T0_XT2_EXT3_EEENS1_16TensorSizeStrideIS8_Lj4EEEiS8_,comdat
.Lfunc_end80:
	.size	_ZN2at6native12_GLOBAL__N_130CatArrayBatchedCopy_vectorizedINS1_10OpaqueTypeILj16EEEjLi1ELi128ELi1ELi16ELi1EEEvPcNS1_25CatArrInputTensorMetadataIT_T0_XT2_EXT3_EEENS1_16TensorSizeStrideIS8_Lj4EEEiS8_, .Lfunc_end80-_ZN2at6native12_GLOBAL__N_130CatArrayBatchedCopy_vectorizedINS1_10OpaqueTypeILj16EEEjLi1ELi128ELi1ELi16ELi1EEEvPcNS1_25CatArrInputTensorMetadataIT_T0_XT2_EXT3_EEENS1_16TensorSizeStrideIS8_Lj4EEEiS8_
                                        ; -- End function
	.set _ZN2at6native12_GLOBAL__N_130CatArrayBatchedCopy_vectorizedINS1_10OpaqueTypeILj16EEEjLi1ELi128ELi1ELi16ELi1EEEvPcNS1_25CatArrInputTensorMetadataIT_T0_XT2_EXT3_EEENS1_16TensorSizeStrideIS8_Lj4EEEiS8_.num_vgpr, 10
	.set _ZN2at6native12_GLOBAL__N_130CatArrayBatchedCopy_vectorizedINS1_10OpaqueTypeILj16EEEjLi1ELi128ELi1ELi16ELi1EEEvPcNS1_25CatArrInputTensorMetadataIT_T0_XT2_EXT3_EEENS1_16TensorSizeStrideIS8_Lj4EEEiS8_.num_agpr, 0
	.set _ZN2at6native12_GLOBAL__N_130CatArrayBatchedCopy_vectorizedINS1_10OpaqueTypeILj16EEEjLi1ELi128ELi1ELi16ELi1EEEvPcNS1_25CatArrInputTensorMetadataIT_T0_XT2_EXT3_EEENS1_16TensorSizeStrideIS8_Lj4EEEiS8_.numbered_sgpr, 17
	.set _ZN2at6native12_GLOBAL__N_130CatArrayBatchedCopy_vectorizedINS1_10OpaqueTypeILj16EEEjLi1ELi128ELi1ELi16ELi1EEEvPcNS1_25CatArrInputTensorMetadataIT_T0_XT2_EXT3_EEENS1_16TensorSizeStrideIS8_Lj4EEEiS8_.num_named_barrier, 0
	.set _ZN2at6native12_GLOBAL__N_130CatArrayBatchedCopy_vectorizedINS1_10OpaqueTypeILj16EEEjLi1ELi128ELi1ELi16ELi1EEEvPcNS1_25CatArrInputTensorMetadataIT_T0_XT2_EXT3_EEENS1_16TensorSizeStrideIS8_Lj4EEEiS8_.private_seg_size, 0
	.set _ZN2at6native12_GLOBAL__N_130CatArrayBatchedCopy_vectorizedINS1_10OpaqueTypeILj16EEEjLi1ELi128ELi1ELi16ELi1EEEvPcNS1_25CatArrInputTensorMetadataIT_T0_XT2_EXT3_EEENS1_16TensorSizeStrideIS8_Lj4EEEiS8_.uses_vcc, 1
	.set _ZN2at6native12_GLOBAL__N_130CatArrayBatchedCopy_vectorizedINS1_10OpaqueTypeILj16EEEjLi1ELi128ELi1ELi16ELi1EEEvPcNS1_25CatArrInputTensorMetadataIT_T0_XT2_EXT3_EEENS1_16TensorSizeStrideIS8_Lj4EEEiS8_.uses_flat_scratch, 0
	.set _ZN2at6native12_GLOBAL__N_130CatArrayBatchedCopy_vectorizedINS1_10OpaqueTypeILj16EEEjLi1ELi128ELi1ELi16ELi1EEEvPcNS1_25CatArrInputTensorMetadataIT_T0_XT2_EXT3_EEENS1_16TensorSizeStrideIS8_Lj4EEEiS8_.has_dyn_sized_stack, 0
	.set _ZN2at6native12_GLOBAL__N_130CatArrayBatchedCopy_vectorizedINS1_10OpaqueTypeILj16EEEjLi1ELi128ELi1ELi16ELi1EEEvPcNS1_25CatArrInputTensorMetadataIT_T0_XT2_EXT3_EEENS1_16TensorSizeStrideIS8_Lj4EEEiS8_.has_recursion, 0
	.set _ZN2at6native12_GLOBAL__N_130CatArrayBatchedCopy_vectorizedINS1_10OpaqueTypeILj16EEEjLi1ELi128ELi1ELi16ELi1EEEvPcNS1_25CatArrInputTensorMetadataIT_T0_XT2_EXT3_EEENS1_16TensorSizeStrideIS8_Lj4EEEiS8_.has_indirect_call, 0
	.section	.AMDGPU.csdata,"",@progbits
; Kernel info:
; codeLenInByte = 276
; TotalNumSgprs: 23
; NumVgprs: 10
; NumAgprs: 0
; TotalNumVgprs: 10
; ScratchSize: 0
; MemoryBound: 0
; FloatMode: 240
; IeeeMode: 1
; LDSByteSize: 0 bytes/workgroup (compile time only)
; SGPRBlocks: 2
; VGPRBlocks: 1
; NumSGPRsForWavesPerEU: 23
; NumVGPRsForWavesPerEU: 10
; AccumOffset: 12
; Occupancy: 8
; WaveLimiterHint : 1
; COMPUTE_PGM_RSRC2:SCRATCH_EN: 0
; COMPUTE_PGM_RSRC2:USER_SGPR: 2
; COMPUTE_PGM_RSRC2:TRAP_HANDLER: 0
; COMPUTE_PGM_RSRC2:TGID_X_EN: 1
; COMPUTE_PGM_RSRC2:TGID_Y_EN: 1
; COMPUTE_PGM_RSRC2:TGID_Z_EN: 0
; COMPUTE_PGM_RSRC2:TIDIG_COMP_CNT: 0
; COMPUTE_PGM_RSRC3_GFX90A:ACCUM_OFFSET: 2
; COMPUTE_PGM_RSRC3_GFX90A:TG_SPLIT: 0
	.section	.text._ZN2at6native12_GLOBAL__N_135CatArrayBatchedCopy_alignedK_contigINS1_10OpaqueTypeILj16EEEjLi1ELi128ELi1ELi16EEEvPT_NS1_25CatArrInputTensorMetadataIS5_T0_XT2_EXT3_EEENS1_16TensorSizeStrideIS8_Lj4EEEiS8_,"axG",@progbits,_ZN2at6native12_GLOBAL__N_135CatArrayBatchedCopy_alignedK_contigINS1_10OpaqueTypeILj16EEEjLi1ELi128ELi1ELi16EEEvPT_NS1_25CatArrInputTensorMetadataIS5_T0_XT2_EXT3_EEENS1_16TensorSizeStrideIS8_Lj4EEEiS8_,comdat
	.globl	_ZN2at6native12_GLOBAL__N_135CatArrayBatchedCopy_alignedK_contigINS1_10OpaqueTypeILj16EEEjLi1ELi128ELi1ELi16EEEvPT_NS1_25CatArrInputTensorMetadataIS5_T0_XT2_EXT3_EEENS1_16TensorSizeStrideIS8_Lj4EEEiS8_ ; -- Begin function _ZN2at6native12_GLOBAL__N_135CatArrayBatchedCopy_alignedK_contigINS1_10OpaqueTypeILj16EEEjLi1ELi128ELi1ELi16EEEvPT_NS1_25CatArrInputTensorMetadataIS5_T0_XT2_EXT3_EEENS1_16TensorSizeStrideIS8_Lj4EEEiS8_
	.p2align	8
	.type	_ZN2at6native12_GLOBAL__N_135CatArrayBatchedCopy_alignedK_contigINS1_10OpaqueTypeILj16EEEjLi1ELi128ELi1ELi16EEEvPT_NS1_25CatArrInputTensorMetadataIS5_T0_XT2_EXT3_EEENS1_16TensorSizeStrideIS8_Lj4EEEiS8_,@function
_ZN2at6native12_GLOBAL__N_135CatArrayBatchedCopy_alignedK_contigINS1_10OpaqueTypeILj16EEEjLi1ELi128ELi1ELi16EEEvPT_NS1_25CatArrInputTensorMetadataIS5_T0_XT2_EXT3_EEENS1_16TensorSizeStrideIS8_Lj4EEEiS8_: ; @_ZN2at6native12_GLOBAL__N_135CatArrayBatchedCopy_alignedK_contigINS1_10OpaqueTypeILj16EEEjLi1ELi128ELi1ELi16EEEvPT_NS1_25CatArrInputTensorMetadataIS5_T0_XT2_EXT3_EEENS1_16TensorSizeStrideIS8_Lj4EEEiS8_
; %bb.0:
	s_mov_b32 s4, s3
	s_load_dword s3, s[0:1], 0xadc
	s_add_u32 s6, s0, 0xad0
	s_mov_b32 s5, 0
	s_addc_u32 s7, s1, 0
	s_lshl_b64 s[4:5], s[4:5], 2
	s_waitcnt lgkmcnt(0)
	s_and_b32 s9, s3, 0xffff
	s_add_u32 s10, s0, s4
	s_addc_u32 s11, s1, s5
	s_load_dword s8, s[10:11], 0x808
	s_mul_i32 s2, s2, s9
	v_add_u32_e32 v0, s2, v0
	s_add_u32 s2, s10, 8
	s_addc_u32 s3, s11, 0
	s_waitcnt lgkmcnt(0)
	v_cmp_gt_u32_e32 vcc, s8, v0
	s_and_saveexec_b64 s[10:11], vcc
	s_cbranch_execz .LBB81_6
; %bb.1:
	s_add_u32 s10, s2, s4
	s_addc_u32 s11, s3, s5
	s_sub_u32 s2, 0, s4
	s_subb_u32 s3, 0, s5
	s_add_u32 s12, s10, s2
	s_load_dword s7, s[6:7], 0x0
	s_addc_u32 s13, s11, s3
	s_load_dword s14, s[12:13], 0x400
	s_load_dword s15, s[0:1], 0xacc
	s_load_dwordx2 s[4:5], s[10:11], 0x0
	s_load_dword s6, s[0:1], 0xab8
	s_load_dwordx2 s[2:3], s[0:1], 0x0
	s_mov_b64 s[0:1], 0
	s_waitcnt lgkmcnt(0)
	s_mul_i32 s14, s14, s15
	s_mul_i32 s7, s7, s9
	v_mul_lo_u32 v1, s6, v0
	s_mul_i32 s9, s7, s6
	v_add_u32_e32 v2, s14, v1
	v_mov_b32_e32 v1, 0
.LBB81_2:                               ; =>This Inner Loop Header: Depth=1
	v_lshl_add_u64 v[4:5], v[0:1], 4, s[4:5]
	global_load_dwordx4 v[4:7], v[4:5], off
	v_mov_b32_e32 v3, v1
	v_add_u32_e32 v0, s7, v0
	v_lshl_add_u64 v[8:9], v[2:3], 4, s[2:3]
	v_add_u32_e32 v3, 1, v0
	v_cmp_lt_u32_e32 vcc, s8, v3
	v_add_u32_e32 v2, s9, v2
	s_or_b64 s[0:1], vcc, s[0:1]
	s_waitcnt vmcnt(0)
	global_store_dwordx4 v[8:9], v[4:7], off
	s_andn2_b64 exec, exec, s[0:1]
	s_cbranch_execnz .LBB81_2
; %bb.3:
	s_or_b64 exec, exec, s[0:1]
	v_cmp_gt_u32_e32 vcc, s8, v0
	s_and_b64 exec, exec, vcc
	s_cbranch_execz .LBB81_6
; %bb.4:
	v_mov_b32_e32 v3, 0
	v_mov_b32_e32 v1, v3
	v_lshl_add_u64 v[4:5], v[0:1], 4, s[4:5]
	s_mov_b64 s[0:1], 0
.LBB81_5:                               ; =>This Inner Loop Header: Depth=1
	global_load_dwordx4 v[6:9], v[4:5], off
	v_add_u32_e32 v0, 1, v0
	v_cmp_le_u32_e32 vcc, s8, v0
	v_lshl_add_u64 v[10:11], v[2:3], 4, s[2:3]
	v_lshl_add_u64 v[4:5], v[4:5], 0, 16
	v_add_u32_e32 v2, s6, v2
	s_or_b64 s[0:1], vcc, s[0:1]
	s_waitcnt vmcnt(0)
	global_store_dwordx4 v[10:11], v[6:9], off
	s_andn2_b64 exec, exec, s[0:1]
	s_cbranch_execnz .LBB81_5
.LBB81_6:
	s_endpgm
	.section	.rodata,"a",@progbits
	.p2align	6, 0x0
	.amdhsa_kernel _ZN2at6native12_GLOBAL__N_135CatArrayBatchedCopy_alignedK_contigINS1_10OpaqueTypeILj16EEEjLi1ELi128ELi1ELi16EEEvPT_NS1_25CatArrInputTensorMetadataIS5_T0_XT2_EXT3_EEENS1_16TensorSizeStrideIS8_Lj4EEEiS8_
		.amdhsa_group_segment_fixed_size 0
		.amdhsa_private_segment_fixed_size 0
		.amdhsa_kernarg_size 3024
		.amdhsa_user_sgpr_count 2
		.amdhsa_user_sgpr_dispatch_ptr 0
		.amdhsa_user_sgpr_queue_ptr 0
		.amdhsa_user_sgpr_kernarg_segment_ptr 1
		.amdhsa_user_sgpr_dispatch_id 0
		.amdhsa_user_sgpr_kernarg_preload_length 0
		.amdhsa_user_sgpr_kernarg_preload_offset 0
		.amdhsa_user_sgpr_private_segment_size 0
		.amdhsa_uses_dynamic_stack 0
		.amdhsa_enable_private_segment 0
		.amdhsa_system_sgpr_workgroup_id_x 1
		.amdhsa_system_sgpr_workgroup_id_y 1
		.amdhsa_system_sgpr_workgroup_id_z 0
		.amdhsa_system_sgpr_workgroup_info 0
		.amdhsa_system_vgpr_workitem_id 0
		.amdhsa_next_free_vgpr 12
		.amdhsa_next_free_sgpr 16
		.amdhsa_accum_offset 12
		.amdhsa_reserve_vcc 1
		.amdhsa_float_round_mode_32 0
		.amdhsa_float_round_mode_16_64 0
		.amdhsa_float_denorm_mode_32 3
		.amdhsa_float_denorm_mode_16_64 3
		.amdhsa_dx10_clamp 1
		.amdhsa_ieee_mode 1
		.amdhsa_fp16_overflow 0
		.amdhsa_tg_split 0
		.amdhsa_exception_fp_ieee_invalid_op 0
		.amdhsa_exception_fp_denorm_src 0
		.amdhsa_exception_fp_ieee_div_zero 0
		.amdhsa_exception_fp_ieee_overflow 0
		.amdhsa_exception_fp_ieee_underflow 0
		.amdhsa_exception_fp_ieee_inexact 0
		.amdhsa_exception_int_div_zero 0
	.end_amdhsa_kernel
	.section	.text._ZN2at6native12_GLOBAL__N_135CatArrayBatchedCopy_alignedK_contigINS1_10OpaqueTypeILj16EEEjLi1ELi128ELi1ELi16EEEvPT_NS1_25CatArrInputTensorMetadataIS5_T0_XT2_EXT3_EEENS1_16TensorSizeStrideIS8_Lj4EEEiS8_,"axG",@progbits,_ZN2at6native12_GLOBAL__N_135CatArrayBatchedCopy_alignedK_contigINS1_10OpaqueTypeILj16EEEjLi1ELi128ELi1ELi16EEEvPT_NS1_25CatArrInputTensorMetadataIS5_T0_XT2_EXT3_EEENS1_16TensorSizeStrideIS8_Lj4EEEiS8_,comdat
.Lfunc_end81:
	.size	_ZN2at6native12_GLOBAL__N_135CatArrayBatchedCopy_alignedK_contigINS1_10OpaqueTypeILj16EEEjLi1ELi128ELi1ELi16EEEvPT_NS1_25CatArrInputTensorMetadataIS5_T0_XT2_EXT3_EEENS1_16TensorSizeStrideIS8_Lj4EEEiS8_, .Lfunc_end81-_ZN2at6native12_GLOBAL__N_135CatArrayBatchedCopy_alignedK_contigINS1_10OpaqueTypeILj16EEEjLi1ELi128ELi1ELi16EEEvPT_NS1_25CatArrInputTensorMetadataIS5_T0_XT2_EXT3_EEENS1_16TensorSizeStrideIS8_Lj4EEEiS8_
                                        ; -- End function
	.set _ZN2at6native12_GLOBAL__N_135CatArrayBatchedCopy_alignedK_contigINS1_10OpaqueTypeILj16EEEjLi1ELi128ELi1ELi16EEEvPT_NS1_25CatArrInputTensorMetadataIS5_T0_XT2_EXT3_EEENS1_16TensorSizeStrideIS8_Lj4EEEiS8_.num_vgpr, 12
	.set _ZN2at6native12_GLOBAL__N_135CatArrayBatchedCopy_alignedK_contigINS1_10OpaqueTypeILj16EEEjLi1ELi128ELi1ELi16EEEvPT_NS1_25CatArrInputTensorMetadataIS5_T0_XT2_EXT3_EEENS1_16TensorSizeStrideIS8_Lj4EEEiS8_.num_agpr, 0
	.set _ZN2at6native12_GLOBAL__N_135CatArrayBatchedCopy_alignedK_contigINS1_10OpaqueTypeILj16EEEjLi1ELi128ELi1ELi16EEEvPT_NS1_25CatArrInputTensorMetadataIS5_T0_XT2_EXT3_EEENS1_16TensorSizeStrideIS8_Lj4EEEiS8_.numbered_sgpr, 16
	.set _ZN2at6native12_GLOBAL__N_135CatArrayBatchedCopy_alignedK_contigINS1_10OpaqueTypeILj16EEEjLi1ELi128ELi1ELi16EEEvPT_NS1_25CatArrInputTensorMetadataIS5_T0_XT2_EXT3_EEENS1_16TensorSizeStrideIS8_Lj4EEEiS8_.num_named_barrier, 0
	.set _ZN2at6native12_GLOBAL__N_135CatArrayBatchedCopy_alignedK_contigINS1_10OpaqueTypeILj16EEEjLi1ELi128ELi1ELi16EEEvPT_NS1_25CatArrInputTensorMetadataIS5_T0_XT2_EXT3_EEENS1_16TensorSizeStrideIS8_Lj4EEEiS8_.private_seg_size, 0
	.set _ZN2at6native12_GLOBAL__N_135CatArrayBatchedCopy_alignedK_contigINS1_10OpaqueTypeILj16EEEjLi1ELi128ELi1ELi16EEEvPT_NS1_25CatArrInputTensorMetadataIS5_T0_XT2_EXT3_EEENS1_16TensorSizeStrideIS8_Lj4EEEiS8_.uses_vcc, 1
	.set _ZN2at6native12_GLOBAL__N_135CatArrayBatchedCopy_alignedK_contigINS1_10OpaqueTypeILj16EEEjLi1ELi128ELi1ELi16EEEvPT_NS1_25CatArrInputTensorMetadataIS5_T0_XT2_EXT3_EEENS1_16TensorSizeStrideIS8_Lj4EEEiS8_.uses_flat_scratch, 0
	.set _ZN2at6native12_GLOBAL__N_135CatArrayBatchedCopy_alignedK_contigINS1_10OpaqueTypeILj16EEEjLi1ELi128ELi1ELi16EEEvPT_NS1_25CatArrInputTensorMetadataIS5_T0_XT2_EXT3_EEENS1_16TensorSizeStrideIS8_Lj4EEEiS8_.has_dyn_sized_stack, 0
	.set _ZN2at6native12_GLOBAL__N_135CatArrayBatchedCopy_alignedK_contigINS1_10OpaqueTypeILj16EEEjLi1ELi128ELi1ELi16EEEvPT_NS1_25CatArrInputTensorMetadataIS5_T0_XT2_EXT3_EEENS1_16TensorSizeStrideIS8_Lj4EEEiS8_.has_recursion, 0
	.set _ZN2at6native12_GLOBAL__N_135CatArrayBatchedCopy_alignedK_contigINS1_10OpaqueTypeILj16EEEjLi1ELi128ELi1ELi16EEEvPT_NS1_25CatArrInputTensorMetadataIS5_T0_XT2_EXT3_EEENS1_16TensorSizeStrideIS8_Lj4EEEiS8_.has_indirect_call, 0
	.section	.AMDGPU.csdata,"",@progbits
; Kernel info:
; codeLenInByte = 368
; TotalNumSgprs: 22
; NumVgprs: 12
; NumAgprs: 0
; TotalNumVgprs: 12
; ScratchSize: 0
; MemoryBound: 0
; FloatMode: 240
; IeeeMode: 1
; LDSByteSize: 0 bytes/workgroup (compile time only)
; SGPRBlocks: 2
; VGPRBlocks: 1
; NumSGPRsForWavesPerEU: 22
; NumVGPRsForWavesPerEU: 12
; AccumOffset: 12
; Occupancy: 8
; WaveLimiterHint : 1
; COMPUTE_PGM_RSRC2:SCRATCH_EN: 0
; COMPUTE_PGM_RSRC2:USER_SGPR: 2
; COMPUTE_PGM_RSRC2:TRAP_HANDLER: 0
; COMPUTE_PGM_RSRC2:TGID_X_EN: 1
; COMPUTE_PGM_RSRC2:TGID_Y_EN: 1
; COMPUTE_PGM_RSRC2:TGID_Z_EN: 0
; COMPUTE_PGM_RSRC2:TIDIG_COMP_CNT: 0
; COMPUTE_PGM_RSRC3_GFX90A:ACCUM_OFFSET: 2
; COMPUTE_PGM_RSRC3_GFX90A:TG_SPLIT: 0
	.section	.text._ZN2at6native12_GLOBAL__N_135CatArrayBatchedCopy_alignedK_contigINS1_10OpaqueTypeILj16EEEjLi1ELi128ELi1ELi8EEEvPT_NS1_25CatArrInputTensorMetadataIS5_T0_XT2_EXT3_EEENS1_16TensorSizeStrideIS8_Lj4EEEiS8_,"axG",@progbits,_ZN2at6native12_GLOBAL__N_135CatArrayBatchedCopy_alignedK_contigINS1_10OpaqueTypeILj16EEEjLi1ELi128ELi1ELi8EEEvPT_NS1_25CatArrInputTensorMetadataIS5_T0_XT2_EXT3_EEENS1_16TensorSizeStrideIS8_Lj4EEEiS8_,comdat
	.globl	_ZN2at6native12_GLOBAL__N_135CatArrayBatchedCopy_alignedK_contigINS1_10OpaqueTypeILj16EEEjLi1ELi128ELi1ELi8EEEvPT_NS1_25CatArrInputTensorMetadataIS5_T0_XT2_EXT3_EEENS1_16TensorSizeStrideIS8_Lj4EEEiS8_ ; -- Begin function _ZN2at6native12_GLOBAL__N_135CatArrayBatchedCopy_alignedK_contigINS1_10OpaqueTypeILj16EEEjLi1ELi128ELi1ELi8EEEvPT_NS1_25CatArrInputTensorMetadataIS5_T0_XT2_EXT3_EEENS1_16TensorSizeStrideIS8_Lj4EEEiS8_
	.p2align	8
	.type	_ZN2at6native12_GLOBAL__N_135CatArrayBatchedCopy_alignedK_contigINS1_10OpaqueTypeILj16EEEjLi1ELi128ELi1ELi8EEEvPT_NS1_25CatArrInputTensorMetadataIS5_T0_XT2_EXT3_EEENS1_16TensorSizeStrideIS8_Lj4EEEiS8_,@function
_ZN2at6native12_GLOBAL__N_135CatArrayBatchedCopy_alignedK_contigINS1_10OpaqueTypeILj16EEEjLi1ELi128ELi1ELi8EEEvPT_NS1_25CatArrInputTensorMetadataIS5_T0_XT2_EXT3_EEENS1_16TensorSizeStrideIS8_Lj4EEEiS8_: ; @_ZN2at6native12_GLOBAL__N_135CatArrayBatchedCopy_alignedK_contigINS1_10OpaqueTypeILj16EEEjLi1ELi128ELi1ELi8EEEvPT_NS1_25CatArrInputTensorMetadataIS5_T0_XT2_EXT3_EEENS1_16TensorSizeStrideIS8_Lj4EEEiS8_
; %bb.0:
	s_mov_b32 s4, s3
	s_load_dword s3, s[0:1], 0xadc
	s_add_u32 s6, s0, 0xad0
	s_mov_b32 s5, 0
	s_addc_u32 s7, s1, 0
	s_lshl_b64 s[4:5], s[4:5], 2
	s_waitcnt lgkmcnt(0)
	s_and_b32 s9, s3, 0xffff
	s_add_u32 s10, s0, s4
	s_addc_u32 s11, s1, s5
	s_load_dword s8, s[10:11], 0x808
	s_mul_i32 s2, s2, s9
	v_add_u32_e32 v0, s2, v0
	s_add_u32 s2, s10, 8
	s_addc_u32 s3, s11, 0
	s_waitcnt lgkmcnt(0)
	v_cmp_gt_u32_e32 vcc, s8, v0
	s_and_saveexec_b64 s[10:11], vcc
	s_cbranch_execz .LBB82_6
; %bb.1:
	s_add_u32 s10, s2, s4
	s_addc_u32 s11, s3, s5
	s_sub_u32 s2, 0, s4
	s_subb_u32 s3, 0, s5
	s_add_u32 s12, s10, s2
	s_load_dword s7, s[6:7], 0x0
	s_addc_u32 s13, s11, s3
	s_load_dword s14, s[12:13], 0x400
	s_load_dword s15, s[0:1], 0xacc
	s_load_dwordx2 s[4:5], s[10:11], 0x0
	s_load_dword s6, s[0:1], 0xab8
	s_load_dwordx2 s[2:3], s[0:1], 0x0
	s_mov_b64 s[0:1], 0
	s_waitcnt lgkmcnt(0)
	s_mul_i32 s14, s14, s15
	s_mul_i32 s7, s7, s9
	v_mul_lo_u32 v1, s6, v0
	s_mul_i32 s9, s7, s6
	v_add_u32_e32 v2, s14, v1
	v_mov_b32_e32 v1, 0
.LBB82_2:                               ; =>This Inner Loop Header: Depth=1
	v_lshl_add_u64 v[4:5], v[0:1], 4, s[4:5]
	global_load_dwordx4 v[4:7], v[4:5], off
	v_mov_b32_e32 v3, v1
	v_add_u32_e32 v0, s7, v0
	v_lshl_add_u64 v[8:9], v[2:3], 4, s[2:3]
	v_add_u32_e32 v3, 1, v0
	v_cmp_lt_u32_e32 vcc, s8, v3
	v_add_u32_e32 v2, s9, v2
	s_or_b64 s[0:1], vcc, s[0:1]
	s_waitcnt vmcnt(0)
	global_store_dwordx4 v[8:9], v[4:7], off
	s_andn2_b64 exec, exec, s[0:1]
	s_cbranch_execnz .LBB82_2
; %bb.3:
	s_or_b64 exec, exec, s[0:1]
	v_cmp_gt_u32_e32 vcc, s8, v0
	s_and_b64 exec, exec, vcc
	s_cbranch_execz .LBB82_6
; %bb.4:
	v_mov_b32_e32 v3, 0
	v_mov_b32_e32 v1, v3
	v_lshl_add_u64 v[4:5], v[0:1], 4, s[4:5]
	s_mov_b64 s[0:1], 0
.LBB82_5:                               ; =>This Inner Loop Header: Depth=1
	global_load_dwordx4 v[6:9], v[4:5], off
	v_add_u32_e32 v0, 1, v0
	v_cmp_le_u32_e32 vcc, s8, v0
	v_lshl_add_u64 v[10:11], v[2:3], 4, s[2:3]
	v_lshl_add_u64 v[4:5], v[4:5], 0, 16
	v_add_u32_e32 v2, s6, v2
	s_or_b64 s[0:1], vcc, s[0:1]
	s_waitcnt vmcnt(0)
	global_store_dwordx4 v[10:11], v[6:9], off
	s_andn2_b64 exec, exec, s[0:1]
	s_cbranch_execnz .LBB82_5
.LBB82_6:
	s_endpgm
	.section	.rodata,"a",@progbits
	.p2align	6, 0x0
	.amdhsa_kernel _ZN2at6native12_GLOBAL__N_135CatArrayBatchedCopy_alignedK_contigINS1_10OpaqueTypeILj16EEEjLi1ELi128ELi1ELi8EEEvPT_NS1_25CatArrInputTensorMetadataIS5_T0_XT2_EXT3_EEENS1_16TensorSizeStrideIS8_Lj4EEEiS8_
		.amdhsa_group_segment_fixed_size 0
		.amdhsa_private_segment_fixed_size 0
		.amdhsa_kernarg_size 3024
		.amdhsa_user_sgpr_count 2
		.amdhsa_user_sgpr_dispatch_ptr 0
		.amdhsa_user_sgpr_queue_ptr 0
		.amdhsa_user_sgpr_kernarg_segment_ptr 1
		.amdhsa_user_sgpr_dispatch_id 0
		.amdhsa_user_sgpr_kernarg_preload_length 0
		.amdhsa_user_sgpr_kernarg_preload_offset 0
		.amdhsa_user_sgpr_private_segment_size 0
		.amdhsa_uses_dynamic_stack 0
		.amdhsa_enable_private_segment 0
		.amdhsa_system_sgpr_workgroup_id_x 1
		.amdhsa_system_sgpr_workgroup_id_y 1
		.amdhsa_system_sgpr_workgroup_id_z 0
		.amdhsa_system_sgpr_workgroup_info 0
		.amdhsa_system_vgpr_workitem_id 0
		.amdhsa_next_free_vgpr 12
		.amdhsa_next_free_sgpr 16
		.amdhsa_accum_offset 12
		.amdhsa_reserve_vcc 1
		.amdhsa_float_round_mode_32 0
		.amdhsa_float_round_mode_16_64 0
		.amdhsa_float_denorm_mode_32 3
		.amdhsa_float_denorm_mode_16_64 3
		.amdhsa_dx10_clamp 1
		.amdhsa_ieee_mode 1
		.amdhsa_fp16_overflow 0
		.amdhsa_tg_split 0
		.amdhsa_exception_fp_ieee_invalid_op 0
		.amdhsa_exception_fp_denorm_src 0
		.amdhsa_exception_fp_ieee_div_zero 0
		.amdhsa_exception_fp_ieee_overflow 0
		.amdhsa_exception_fp_ieee_underflow 0
		.amdhsa_exception_fp_ieee_inexact 0
		.amdhsa_exception_int_div_zero 0
	.end_amdhsa_kernel
	.section	.text._ZN2at6native12_GLOBAL__N_135CatArrayBatchedCopy_alignedK_contigINS1_10OpaqueTypeILj16EEEjLi1ELi128ELi1ELi8EEEvPT_NS1_25CatArrInputTensorMetadataIS5_T0_XT2_EXT3_EEENS1_16TensorSizeStrideIS8_Lj4EEEiS8_,"axG",@progbits,_ZN2at6native12_GLOBAL__N_135CatArrayBatchedCopy_alignedK_contigINS1_10OpaqueTypeILj16EEEjLi1ELi128ELi1ELi8EEEvPT_NS1_25CatArrInputTensorMetadataIS5_T0_XT2_EXT3_EEENS1_16TensorSizeStrideIS8_Lj4EEEiS8_,comdat
.Lfunc_end82:
	.size	_ZN2at6native12_GLOBAL__N_135CatArrayBatchedCopy_alignedK_contigINS1_10OpaqueTypeILj16EEEjLi1ELi128ELi1ELi8EEEvPT_NS1_25CatArrInputTensorMetadataIS5_T0_XT2_EXT3_EEENS1_16TensorSizeStrideIS8_Lj4EEEiS8_, .Lfunc_end82-_ZN2at6native12_GLOBAL__N_135CatArrayBatchedCopy_alignedK_contigINS1_10OpaqueTypeILj16EEEjLi1ELi128ELi1ELi8EEEvPT_NS1_25CatArrInputTensorMetadataIS5_T0_XT2_EXT3_EEENS1_16TensorSizeStrideIS8_Lj4EEEiS8_
                                        ; -- End function
	.set _ZN2at6native12_GLOBAL__N_135CatArrayBatchedCopy_alignedK_contigINS1_10OpaqueTypeILj16EEEjLi1ELi128ELi1ELi8EEEvPT_NS1_25CatArrInputTensorMetadataIS5_T0_XT2_EXT3_EEENS1_16TensorSizeStrideIS8_Lj4EEEiS8_.num_vgpr, 12
	.set _ZN2at6native12_GLOBAL__N_135CatArrayBatchedCopy_alignedK_contigINS1_10OpaqueTypeILj16EEEjLi1ELi128ELi1ELi8EEEvPT_NS1_25CatArrInputTensorMetadataIS5_T0_XT2_EXT3_EEENS1_16TensorSizeStrideIS8_Lj4EEEiS8_.num_agpr, 0
	.set _ZN2at6native12_GLOBAL__N_135CatArrayBatchedCopy_alignedK_contigINS1_10OpaqueTypeILj16EEEjLi1ELi128ELi1ELi8EEEvPT_NS1_25CatArrInputTensorMetadataIS5_T0_XT2_EXT3_EEENS1_16TensorSizeStrideIS8_Lj4EEEiS8_.numbered_sgpr, 16
	.set _ZN2at6native12_GLOBAL__N_135CatArrayBatchedCopy_alignedK_contigINS1_10OpaqueTypeILj16EEEjLi1ELi128ELi1ELi8EEEvPT_NS1_25CatArrInputTensorMetadataIS5_T0_XT2_EXT3_EEENS1_16TensorSizeStrideIS8_Lj4EEEiS8_.num_named_barrier, 0
	.set _ZN2at6native12_GLOBAL__N_135CatArrayBatchedCopy_alignedK_contigINS1_10OpaqueTypeILj16EEEjLi1ELi128ELi1ELi8EEEvPT_NS1_25CatArrInputTensorMetadataIS5_T0_XT2_EXT3_EEENS1_16TensorSizeStrideIS8_Lj4EEEiS8_.private_seg_size, 0
	.set _ZN2at6native12_GLOBAL__N_135CatArrayBatchedCopy_alignedK_contigINS1_10OpaqueTypeILj16EEEjLi1ELi128ELi1ELi8EEEvPT_NS1_25CatArrInputTensorMetadataIS5_T0_XT2_EXT3_EEENS1_16TensorSizeStrideIS8_Lj4EEEiS8_.uses_vcc, 1
	.set _ZN2at6native12_GLOBAL__N_135CatArrayBatchedCopy_alignedK_contigINS1_10OpaqueTypeILj16EEEjLi1ELi128ELi1ELi8EEEvPT_NS1_25CatArrInputTensorMetadataIS5_T0_XT2_EXT3_EEENS1_16TensorSizeStrideIS8_Lj4EEEiS8_.uses_flat_scratch, 0
	.set _ZN2at6native12_GLOBAL__N_135CatArrayBatchedCopy_alignedK_contigINS1_10OpaqueTypeILj16EEEjLi1ELi128ELi1ELi8EEEvPT_NS1_25CatArrInputTensorMetadataIS5_T0_XT2_EXT3_EEENS1_16TensorSizeStrideIS8_Lj4EEEiS8_.has_dyn_sized_stack, 0
	.set _ZN2at6native12_GLOBAL__N_135CatArrayBatchedCopy_alignedK_contigINS1_10OpaqueTypeILj16EEEjLi1ELi128ELi1ELi8EEEvPT_NS1_25CatArrInputTensorMetadataIS5_T0_XT2_EXT3_EEENS1_16TensorSizeStrideIS8_Lj4EEEiS8_.has_recursion, 0
	.set _ZN2at6native12_GLOBAL__N_135CatArrayBatchedCopy_alignedK_contigINS1_10OpaqueTypeILj16EEEjLi1ELi128ELi1ELi8EEEvPT_NS1_25CatArrInputTensorMetadataIS5_T0_XT2_EXT3_EEENS1_16TensorSizeStrideIS8_Lj4EEEiS8_.has_indirect_call, 0
	.section	.AMDGPU.csdata,"",@progbits
; Kernel info:
; codeLenInByte = 368
; TotalNumSgprs: 22
; NumVgprs: 12
; NumAgprs: 0
; TotalNumVgprs: 12
; ScratchSize: 0
; MemoryBound: 0
; FloatMode: 240
; IeeeMode: 1
; LDSByteSize: 0 bytes/workgroup (compile time only)
; SGPRBlocks: 2
; VGPRBlocks: 1
; NumSGPRsForWavesPerEU: 22
; NumVGPRsForWavesPerEU: 12
; AccumOffset: 12
; Occupancy: 8
; WaveLimiterHint : 1
; COMPUTE_PGM_RSRC2:SCRATCH_EN: 0
; COMPUTE_PGM_RSRC2:USER_SGPR: 2
; COMPUTE_PGM_RSRC2:TRAP_HANDLER: 0
; COMPUTE_PGM_RSRC2:TGID_X_EN: 1
; COMPUTE_PGM_RSRC2:TGID_Y_EN: 1
; COMPUTE_PGM_RSRC2:TGID_Z_EN: 0
; COMPUTE_PGM_RSRC2:TIDIG_COMP_CNT: 0
; COMPUTE_PGM_RSRC3_GFX90A:ACCUM_OFFSET: 2
; COMPUTE_PGM_RSRC3_GFX90A:TG_SPLIT: 0
	.section	.text._ZN2at6native12_GLOBAL__N_126CatArrayBatchedCopy_contigINS1_10OpaqueTypeILj16EEEjLi1ELi128ELi1EEEvPT_NS1_25CatArrInputTensorMetadataIS5_T0_XT2_EXT3_EEENS1_16TensorSizeStrideIS8_Lj4EEEiS8_,"axG",@progbits,_ZN2at6native12_GLOBAL__N_126CatArrayBatchedCopy_contigINS1_10OpaqueTypeILj16EEEjLi1ELi128ELi1EEEvPT_NS1_25CatArrInputTensorMetadataIS5_T0_XT2_EXT3_EEENS1_16TensorSizeStrideIS8_Lj4EEEiS8_,comdat
	.globl	_ZN2at6native12_GLOBAL__N_126CatArrayBatchedCopy_contigINS1_10OpaqueTypeILj16EEEjLi1ELi128ELi1EEEvPT_NS1_25CatArrInputTensorMetadataIS5_T0_XT2_EXT3_EEENS1_16TensorSizeStrideIS8_Lj4EEEiS8_ ; -- Begin function _ZN2at6native12_GLOBAL__N_126CatArrayBatchedCopy_contigINS1_10OpaqueTypeILj16EEEjLi1ELi128ELi1EEEvPT_NS1_25CatArrInputTensorMetadataIS5_T0_XT2_EXT3_EEENS1_16TensorSizeStrideIS8_Lj4EEEiS8_
	.p2align	8
	.type	_ZN2at6native12_GLOBAL__N_126CatArrayBatchedCopy_contigINS1_10OpaqueTypeILj16EEEjLi1ELi128ELi1EEEvPT_NS1_25CatArrInputTensorMetadataIS5_T0_XT2_EXT3_EEENS1_16TensorSizeStrideIS8_Lj4EEEiS8_,@function
_ZN2at6native12_GLOBAL__N_126CatArrayBatchedCopy_contigINS1_10OpaqueTypeILj16EEEjLi1ELi128ELi1EEEvPT_NS1_25CatArrInputTensorMetadataIS5_T0_XT2_EXT3_EEENS1_16TensorSizeStrideIS8_Lj4EEEiS8_: ; @_ZN2at6native12_GLOBAL__N_126CatArrayBatchedCopy_contigINS1_10OpaqueTypeILj16EEEjLi1ELi128ELi1EEEvPT_NS1_25CatArrInputTensorMetadataIS5_T0_XT2_EXT3_EEENS1_16TensorSizeStrideIS8_Lj4EEEiS8_
; %bb.0:
	s_mov_b32 s6, s3
	s_load_dword s3, s[0:1], 0xadc
	s_add_u32 s4, s0, 0xad0
	s_mov_b32 s7, 0
	s_addc_u32 s5, s1, 0
	s_lshl_b64 s[6:7], s[6:7], 2
	s_waitcnt lgkmcnt(0)
	s_and_b32 s9, s3, 0xffff
	s_add_u32 s10, s0, s6
	s_addc_u32 s11, s1, s7
	s_load_dword s8, s[10:11], 0x808
	s_mul_i32 s2, s2, s9
	v_add_u32_e32 v0, s2, v0
	s_add_u32 s2, s10, 8
	s_addc_u32 s3, s11, 0
	s_waitcnt lgkmcnt(0)
	v_cmp_gt_u32_e32 vcc, s8, v0
	s_and_saveexec_b64 s[10:11], vcc
	s_cbranch_execz .LBB83_3
; %bb.1:
	s_add_u32 s10, s2, s6
	s_addc_u32 s11, s3, s7
	s_sub_u32 s2, 0, s6
	s_subb_u32 s3, 0, s7
	s_add_u32 s6, s10, s2
	s_load_dword s12, s[4:5], 0x0
	s_addc_u32 s7, s11, s3
	s_load_dword s13, s[6:7], 0x400
	s_load_dword s14, s[0:1], 0xacc
	s_load_dwordx2 s[2:3], s[10:11], 0x0
	s_load_dword s15, s[0:1], 0xab8
	s_load_dwordx2 s[4:5], s[0:1], 0x0
	s_mov_b64 s[0:1], 0
	s_waitcnt lgkmcnt(0)
	s_mul_i32 s13, s13, s14
	s_mul_i32 s6, s12, s9
	v_mul_lo_u32 v1, s15, v0
	v_add_u32_e32 v2, s13, v1
	s_mul_i32 s7, s6, s15
	v_mov_b32_e32 v1, 0
.LBB83_2:                               ; =>This Inner Loop Header: Depth=1
	v_lshl_add_u64 v[4:5], v[0:1], 4, s[2:3]
	global_load_dwordx4 v[4:7], v[4:5], off
	v_add_u32_e32 v0, s6, v0
	v_mov_b32_e32 v3, v1
	v_cmp_le_u32_e32 vcc, s8, v0
	v_lshl_add_u64 v[8:9], v[2:3], 4, s[4:5]
	v_add_u32_e32 v2, s7, v2
	s_or_b64 s[0:1], vcc, s[0:1]
	s_waitcnt vmcnt(0)
	global_store_dwordx4 v[8:9], v[4:7], off
	s_andn2_b64 exec, exec, s[0:1]
	s_cbranch_execnz .LBB83_2
.LBB83_3:
	s_endpgm
	.section	.rodata,"a",@progbits
	.p2align	6, 0x0
	.amdhsa_kernel _ZN2at6native12_GLOBAL__N_126CatArrayBatchedCopy_contigINS1_10OpaqueTypeILj16EEEjLi1ELi128ELi1EEEvPT_NS1_25CatArrInputTensorMetadataIS5_T0_XT2_EXT3_EEENS1_16TensorSizeStrideIS8_Lj4EEEiS8_
		.amdhsa_group_segment_fixed_size 0
		.amdhsa_private_segment_fixed_size 0
		.amdhsa_kernarg_size 3024
		.amdhsa_user_sgpr_count 2
		.amdhsa_user_sgpr_dispatch_ptr 0
		.amdhsa_user_sgpr_queue_ptr 0
		.amdhsa_user_sgpr_kernarg_segment_ptr 1
		.amdhsa_user_sgpr_dispatch_id 0
		.amdhsa_user_sgpr_kernarg_preload_length 0
		.amdhsa_user_sgpr_kernarg_preload_offset 0
		.amdhsa_user_sgpr_private_segment_size 0
		.amdhsa_uses_dynamic_stack 0
		.amdhsa_enable_private_segment 0
		.amdhsa_system_sgpr_workgroup_id_x 1
		.amdhsa_system_sgpr_workgroup_id_y 1
		.amdhsa_system_sgpr_workgroup_id_z 0
		.amdhsa_system_sgpr_workgroup_info 0
		.amdhsa_system_vgpr_workitem_id 0
		.amdhsa_next_free_vgpr 10
		.amdhsa_next_free_sgpr 16
		.amdhsa_accum_offset 12
		.amdhsa_reserve_vcc 1
		.amdhsa_float_round_mode_32 0
		.amdhsa_float_round_mode_16_64 0
		.amdhsa_float_denorm_mode_32 3
		.amdhsa_float_denorm_mode_16_64 3
		.amdhsa_dx10_clamp 1
		.amdhsa_ieee_mode 1
		.amdhsa_fp16_overflow 0
		.amdhsa_tg_split 0
		.amdhsa_exception_fp_ieee_invalid_op 0
		.amdhsa_exception_fp_denorm_src 0
		.amdhsa_exception_fp_ieee_div_zero 0
		.amdhsa_exception_fp_ieee_overflow 0
		.amdhsa_exception_fp_ieee_underflow 0
		.amdhsa_exception_fp_ieee_inexact 0
		.amdhsa_exception_int_div_zero 0
	.end_amdhsa_kernel
	.section	.text._ZN2at6native12_GLOBAL__N_126CatArrayBatchedCopy_contigINS1_10OpaqueTypeILj16EEEjLi1ELi128ELi1EEEvPT_NS1_25CatArrInputTensorMetadataIS5_T0_XT2_EXT3_EEENS1_16TensorSizeStrideIS8_Lj4EEEiS8_,"axG",@progbits,_ZN2at6native12_GLOBAL__N_126CatArrayBatchedCopy_contigINS1_10OpaqueTypeILj16EEEjLi1ELi128ELi1EEEvPT_NS1_25CatArrInputTensorMetadataIS5_T0_XT2_EXT3_EEENS1_16TensorSizeStrideIS8_Lj4EEEiS8_,comdat
.Lfunc_end83:
	.size	_ZN2at6native12_GLOBAL__N_126CatArrayBatchedCopy_contigINS1_10OpaqueTypeILj16EEEjLi1ELi128ELi1EEEvPT_NS1_25CatArrInputTensorMetadataIS5_T0_XT2_EXT3_EEENS1_16TensorSizeStrideIS8_Lj4EEEiS8_, .Lfunc_end83-_ZN2at6native12_GLOBAL__N_126CatArrayBatchedCopy_contigINS1_10OpaqueTypeILj16EEEjLi1ELi128ELi1EEEvPT_NS1_25CatArrInputTensorMetadataIS5_T0_XT2_EXT3_EEENS1_16TensorSizeStrideIS8_Lj4EEEiS8_
                                        ; -- End function
	.set _ZN2at6native12_GLOBAL__N_126CatArrayBatchedCopy_contigINS1_10OpaqueTypeILj16EEEjLi1ELi128ELi1EEEvPT_NS1_25CatArrInputTensorMetadataIS5_T0_XT2_EXT3_EEENS1_16TensorSizeStrideIS8_Lj4EEEiS8_.num_vgpr, 10
	.set _ZN2at6native12_GLOBAL__N_126CatArrayBatchedCopy_contigINS1_10OpaqueTypeILj16EEEjLi1ELi128ELi1EEEvPT_NS1_25CatArrInputTensorMetadataIS5_T0_XT2_EXT3_EEENS1_16TensorSizeStrideIS8_Lj4EEEiS8_.num_agpr, 0
	.set _ZN2at6native12_GLOBAL__N_126CatArrayBatchedCopy_contigINS1_10OpaqueTypeILj16EEEjLi1ELi128ELi1EEEvPT_NS1_25CatArrInputTensorMetadataIS5_T0_XT2_EXT3_EEENS1_16TensorSizeStrideIS8_Lj4EEEiS8_.numbered_sgpr, 16
	.set _ZN2at6native12_GLOBAL__N_126CatArrayBatchedCopy_contigINS1_10OpaqueTypeILj16EEEjLi1ELi128ELi1EEEvPT_NS1_25CatArrInputTensorMetadataIS5_T0_XT2_EXT3_EEENS1_16TensorSizeStrideIS8_Lj4EEEiS8_.num_named_barrier, 0
	.set _ZN2at6native12_GLOBAL__N_126CatArrayBatchedCopy_contigINS1_10OpaqueTypeILj16EEEjLi1ELi128ELi1EEEvPT_NS1_25CatArrInputTensorMetadataIS5_T0_XT2_EXT3_EEENS1_16TensorSizeStrideIS8_Lj4EEEiS8_.private_seg_size, 0
	.set _ZN2at6native12_GLOBAL__N_126CatArrayBatchedCopy_contigINS1_10OpaqueTypeILj16EEEjLi1ELi128ELi1EEEvPT_NS1_25CatArrInputTensorMetadataIS5_T0_XT2_EXT3_EEENS1_16TensorSizeStrideIS8_Lj4EEEiS8_.uses_vcc, 1
	.set _ZN2at6native12_GLOBAL__N_126CatArrayBatchedCopy_contigINS1_10OpaqueTypeILj16EEEjLi1ELi128ELi1EEEvPT_NS1_25CatArrInputTensorMetadataIS5_T0_XT2_EXT3_EEENS1_16TensorSizeStrideIS8_Lj4EEEiS8_.uses_flat_scratch, 0
	.set _ZN2at6native12_GLOBAL__N_126CatArrayBatchedCopy_contigINS1_10OpaqueTypeILj16EEEjLi1ELi128ELi1EEEvPT_NS1_25CatArrInputTensorMetadataIS5_T0_XT2_EXT3_EEENS1_16TensorSizeStrideIS8_Lj4EEEiS8_.has_dyn_sized_stack, 0
	.set _ZN2at6native12_GLOBAL__N_126CatArrayBatchedCopy_contigINS1_10OpaqueTypeILj16EEEjLi1ELi128ELi1EEEvPT_NS1_25CatArrInputTensorMetadataIS5_T0_XT2_EXT3_EEENS1_16TensorSizeStrideIS8_Lj4EEEiS8_.has_recursion, 0
	.set _ZN2at6native12_GLOBAL__N_126CatArrayBatchedCopy_contigINS1_10OpaqueTypeILj16EEEjLi1ELi128ELi1EEEvPT_NS1_25CatArrInputTensorMetadataIS5_T0_XT2_EXT3_EEENS1_16TensorSizeStrideIS8_Lj4EEEiS8_.has_indirect_call, 0
	.section	.AMDGPU.csdata,"",@progbits
; Kernel info:
; codeLenInByte = 268
; TotalNumSgprs: 22
; NumVgprs: 10
; NumAgprs: 0
; TotalNumVgprs: 10
; ScratchSize: 0
; MemoryBound: 0
; FloatMode: 240
; IeeeMode: 1
; LDSByteSize: 0 bytes/workgroup (compile time only)
; SGPRBlocks: 2
; VGPRBlocks: 1
; NumSGPRsForWavesPerEU: 22
; NumVGPRsForWavesPerEU: 10
; AccumOffset: 12
; Occupancy: 8
; WaveLimiterHint : 1
; COMPUTE_PGM_RSRC2:SCRATCH_EN: 0
; COMPUTE_PGM_RSRC2:USER_SGPR: 2
; COMPUTE_PGM_RSRC2:TRAP_HANDLER: 0
; COMPUTE_PGM_RSRC2:TGID_X_EN: 1
; COMPUTE_PGM_RSRC2:TGID_Y_EN: 1
; COMPUTE_PGM_RSRC2:TGID_Z_EN: 0
; COMPUTE_PGM_RSRC2:TIDIG_COMP_CNT: 0
; COMPUTE_PGM_RSRC3_GFX90A:ACCUM_OFFSET: 2
; COMPUTE_PGM_RSRC3_GFX90A:TG_SPLIT: 0
	.section	.text._ZN2at6native12_GLOBAL__N_119CatArrayBatchedCopyINS1_10OpaqueTypeILj16EEEjLi1ELi128ELi1EEEvPT_NS1_25CatArrInputTensorMetadataIS5_T0_XT2_EXT3_EEENS1_16TensorSizeStrideIS8_Lj4EEEiS8_,"axG",@progbits,_ZN2at6native12_GLOBAL__N_119CatArrayBatchedCopyINS1_10OpaqueTypeILj16EEEjLi1ELi128ELi1EEEvPT_NS1_25CatArrInputTensorMetadataIS5_T0_XT2_EXT3_EEENS1_16TensorSizeStrideIS8_Lj4EEEiS8_,comdat
	.globl	_ZN2at6native12_GLOBAL__N_119CatArrayBatchedCopyINS1_10OpaqueTypeILj16EEEjLi1ELi128ELi1EEEvPT_NS1_25CatArrInputTensorMetadataIS5_T0_XT2_EXT3_EEENS1_16TensorSizeStrideIS8_Lj4EEEiS8_ ; -- Begin function _ZN2at6native12_GLOBAL__N_119CatArrayBatchedCopyINS1_10OpaqueTypeILj16EEEjLi1ELi128ELi1EEEvPT_NS1_25CatArrInputTensorMetadataIS5_T0_XT2_EXT3_EEENS1_16TensorSizeStrideIS8_Lj4EEEiS8_
	.p2align	8
	.type	_ZN2at6native12_GLOBAL__N_119CatArrayBatchedCopyINS1_10OpaqueTypeILj16EEEjLi1ELi128ELi1EEEvPT_NS1_25CatArrInputTensorMetadataIS5_T0_XT2_EXT3_EEENS1_16TensorSizeStrideIS8_Lj4EEEiS8_,@function
_ZN2at6native12_GLOBAL__N_119CatArrayBatchedCopyINS1_10OpaqueTypeILj16EEEjLi1ELi128ELi1EEEvPT_NS1_25CatArrInputTensorMetadataIS5_T0_XT2_EXT3_EEENS1_16TensorSizeStrideIS8_Lj4EEEiS8_: ; @_ZN2at6native12_GLOBAL__N_119CatArrayBatchedCopyINS1_10OpaqueTypeILj16EEEjLi1ELi128ELi1EEEvPT_NS1_25CatArrInputTensorMetadataIS5_T0_XT2_EXT3_EEENS1_16TensorSizeStrideIS8_Lj4EEEiS8_
; %bb.0:
	s_mov_b32 s4, s3
	s_load_dword s3, s[0:1], 0xadc
	s_or_b32 s10, s0, 8
	s_add_u32 s8, s0, 0xad0
	s_mov_b32 s5, 0
	s_addc_u32 s9, s1, 0
	s_waitcnt lgkmcnt(0)
	s_and_b32 s13, s3, 0xffff
	s_lshl_b64 s[6:7], s[4:5], 2
	s_add_u32 s14, s10, s6
	s_addc_u32 s15, s1, s7
	s_load_dword s12, s[14:15], 0x800
	s_mul_i32 s2, s2, s13
	v_add_u32_e32 v4, s2, v0
	s_waitcnt lgkmcnt(0)
	v_cmp_gt_u32_e32 vcc, s12, v4
	s_and_saveexec_b64 s[2:3], vcc
	s_cbranch_execz .LBB84_3
; %bb.1:
	s_add_u32 s14, s10, s4
	s_addc_u32 s15, s1, 0
	v_mov_b32_e32 v1, 0
	global_load_ubyte v0, v1, s[14:15] offset:2560
	s_mov_b32 s11, s1
	s_load_dword s5, s[8:9], 0x0
	s_load_dwordx2 s[2:3], s[0:1], 0x0
	s_load_dword s16, s[0:1], 0xacc
	s_load_dword s17, s[10:11], 0xa90
	;; [unrolled: 1-line block ×3, first 2 shown]
	s_waitcnt lgkmcnt(0)
	s_mul_i32 s8, s5, s13
	s_mul_hi_u32 s9, s4, 7
	s_mul_i32 s4, s4, 7
	s_mov_b64 s[0:1], 0
	v_mul_lo_u32 v2, s18, v4
	s_waitcnt vmcnt(0)
	v_readfirstlane_b32 s5, v0
	s_and_b32 s13, 1, s5
	s_add_u32 s10, s14, s4
	s_addc_u32 s11, s15, s9
	s_sub_u32 s4, 0, s6
	s_subb_u32 s5, 0, s7
	s_add_u32 s6, s10, s4
	s_addc_u32 s7, s11, s5
	s_load_dwordx2 s[4:5], s[10:11], 0x0
	s_load_dword s9, s[6:7], 0x400
	s_cmp_eq_u32 s13, 1
	s_cselect_b32 s6, 1, s17
	v_mul_lo_u32 v0, s6, v4
	s_mul_i32 s6, s8, s6
	s_waitcnt lgkmcnt(0)
	s_mul_i32 s9, s9, s16
	v_add_u32_e32 v2, s9, v2
	s_mul_i32 s7, s8, s18
.LBB84_2:                               ; =>This Inner Loop Header: Depth=1
	v_lshl_add_u64 v[6:7], v[0:1], 4, s[4:5]
	global_load_dwordx4 v[6:9], v[6:7], off
	v_add_u32_e32 v4, s8, v4
	v_mov_b32_e32 v3, v1
	v_cmp_le_u32_e32 vcc, s12, v4
	v_add_u32_e32 v0, s6, v0
	v_lshl_add_u64 v[10:11], v[2:3], 4, s[2:3]
	v_add_u32_e32 v2, s7, v2
	s_or_b64 s[0:1], vcc, s[0:1]
	s_waitcnt vmcnt(0)
	global_store_dwordx4 v[10:11], v[6:9], off
	s_andn2_b64 exec, exec, s[0:1]
	s_cbranch_execnz .LBB84_2
.LBB84_3:
	s_endpgm
	.section	.rodata,"a",@progbits
	.p2align	6, 0x0
	.amdhsa_kernel _ZN2at6native12_GLOBAL__N_119CatArrayBatchedCopyINS1_10OpaqueTypeILj16EEEjLi1ELi128ELi1EEEvPT_NS1_25CatArrInputTensorMetadataIS5_T0_XT2_EXT3_EEENS1_16TensorSizeStrideIS8_Lj4EEEiS8_
		.amdhsa_group_segment_fixed_size 0
		.amdhsa_private_segment_fixed_size 0
		.amdhsa_kernarg_size 3024
		.amdhsa_user_sgpr_count 2
		.amdhsa_user_sgpr_dispatch_ptr 0
		.amdhsa_user_sgpr_queue_ptr 0
		.amdhsa_user_sgpr_kernarg_segment_ptr 1
		.amdhsa_user_sgpr_dispatch_id 0
		.amdhsa_user_sgpr_kernarg_preload_length 0
		.amdhsa_user_sgpr_kernarg_preload_offset 0
		.amdhsa_user_sgpr_private_segment_size 0
		.amdhsa_uses_dynamic_stack 0
		.amdhsa_enable_private_segment 0
		.amdhsa_system_sgpr_workgroup_id_x 1
		.amdhsa_system_sgpr_workgroup_id_y 1
		.amdhsa_system_sgpr_workgroup_id_z 0
		.amdhsa_system_sgpr_workgroup_info 0
		.amdhsa_system_vgpr_workitem_id 0
		.amdhsa_next_free_vgpr 12
		.amdhsa_next_free_sgpr 19
		.amdhsa_accum_offset 12
		.amdhsa_reserve_vcc 1
		.amdhsa_float_round_mode_32 0
		.amdhsa_float_round_mode_16_64 0
		.amdhsa_float_denorm_mode_32 3
		.amdhsa_float_denorm_mode_16_64 3
		.amdhsa_dx10_clamp 1
		.amdhsa_ieee_mode 1
		.amdhsa_fp16_overflow 0
		.amdhsa_tg_split 0
		.amdhsa_exception_fp_ieee_invalid_op 0
		.amdhsa_exception_fp_denorm_src 0
		.amdhsa_exception_fp_ieee_div_zero 0
		.amdhsa_exception_fp_ieee_overflow 0
		.amdhsa_exception_fp_ieee_underflow 0
		.amdhsa_exception_fp_ieee_inexact 0
		.amdhsa_exception_int_div_zero 0
	.end_amdhsa_kernel
	.section	.text._ZN2at6native12_GLOBAL__N_119CatArrayBatchedCopyINS1_10OpaqueTypeILj16EEEjLi1ELi128ELi1EEEvPT_NS1_25CatArrInputTensorMetadataIS5_T0_XT2_EXT3_EEENS1_16TensorSizeStrideIS8_Lj4EEEiS8_,"axG",@progbits,_ZN2at6native12_GLOBAL__N_119CatArrayBatchedCopyINS1_10OpaqueTypeILj16EEEjLi1ELi128ELi1EEEvPT_NS1_25CatArrInputTensorMetadataIS5_T0_XT2_EXT3_EEENS1_16TensorSizeStrideIS8_Lj4EEEiS8_,comdat
.Lfunc_end84:
	.size	_ZN2at6native12_GLOBAL__N_119CatArrayBatchedCopyINS1_10OpaqueTypeILj16EEEjLi1ELi128ELi1EEEvPT_NS1_25CatArrInputTensorMetadataIS5_T0_XT2_EXT3_EEENS1_16TensorSizeStrideIS8_Lj4EEEiS8_, .Lfunc_end84-_ZN2at6native12_GLOBAL__N_119CatArrayBatchedCopyINS1_10OpaqueTypeILj16EEEjLi1ELi128ELi1EEEvPT_NS1_25CatArrInputTensorMetadataIS5_T0_XT2_EXT3_EEENS1_16TensorSizeStrideIS8_Lj4EEEiS8_
                                        ; -- End function
	.set _ZN2at6native12_GLOBAL__N_119CatArrayBatchedCopyINS1_10OpaqueTypeILj16EEEjLi1ELi128ELi1EEEvPT_NS1_25CatArrInputTensorMetadataIS5_T0_XT2_EXT3_EEENS1_16TensorSizeStrideIS8_Lj4EEEiS8_.num_vgpr, 12
	.set _ZN2at6native12_GLOBAL__N_119CatArrayBatchedCopyINS1_10OpaqueTypeILj16EEEjLi1ELi128ELi1EEEvPT_NS1_25CatArrInputTensorMetadataIS5_T0_XT2_EXT3_EEENS1_16TensorSizeStrideIS8_Lj4EEEiS8_.num_agpr, 0
	.set _ZN2at6native12_GLOBAL__N_119CatArrayBatchedCopyINS1_10OpaqueTypeILj16EEEjLi1ELi128ELi1EEEvPT_NS1_25CatArrInputTensorMetadataIS5_T0_XT2_EXT3_EEENS1_16TensorSizeStrideIS8_Lj4EEEiS8_.numbered_sgpr, 19
	.set _ZN2at6native12_GLOBAL__N_119CatArrayBatchedCopyINS1_10OpaqueTypeILj16EEEjLi1ELi128ELi1EEEvPT_NS1_25CatArrInputTensorMetadataIS5_T0_XT2_EXT3_EEENS1_16TensorSizeStrideIS8_Lj4EEEiS8_.num_named_barrier, 0
	.set _ZN2at6native12_GLOBAL__N_119CatArrayBatchedCopyINS1_10OpaqueTypeILj16EEEjLi1ELi128ELi1EEEvPT_NS1_25CatArrInputTensorMetadataIS5_T0_XT2_EXT3_EEENS1_16TensorSizeStrideIS8_Lj4EEEiS8_.private_seg_size, 0
	.set _ZN2at6native12_GLOBAL__N_119CatArrayBatchedCopyINS1_10OpaqueTypeILj16EEEjLi1ELi128ELi1EEEvPT_NS1_25CatArrInputTensorMetadataIS5_T0_XT2_EXT3_EEENS1_16TensorSizeStrideIS8_Lj4EEEiS8_.uses_vcc, 1
	.set _ZN2at6native12_GLOBAL__N_119CatArrayBatchedCopyINS1_10OpaqueTypeILj16EEEjLi1ELi128ELi1EEEvPT_NS1_25CatArrInputTensorMetadataIS5_T0_XT2_EXT3_EEENS1_16TensorSizeStrideIS8_Lj4EEEiS8_.uses_flat_scratch, 0
	.set _ZN2at6native12_GLOBAL__N_119CatArrayBatchedCopyINS1_10OpaqueTypeILj16EEEjLi1ELi128ELi1EEEvPT_NS1_25CatArrInputTensorMetadataIS5_T0_XT2_EXT3_EEENS1_16TensorSizeStrideIS8_Lj4EEEiS8_.has_dyn_sized_stack, 0
	.set _ZN2at6native12_GLOBAL__N_119CatArrayBatchedCopyINS1_10OpaqueTypeILj16EEEjLi1ELi128ELi1EEEvPT_NS1_25CatArrInputTensorMetadataIS5_T0_XT2_EXT3_EEENS1_16TensorSizeStrideIS8_Lj4EEEiS8_.has_recursion, 0
	.set _ZN2at6native12_GLOBAL__N_119CatArrayBatchedCopyINS1_10OpaqueTypeILj16EEEjLi1ELi128ELi1EEEvPT_NS1_25CatArrInputTensorMetadataIS5_T0_XT2_EXT3_EEENS1_16TensorSizeStrideIS8_Lj4EEEiS8_.has_indirect_call, 0
	.section	.AMDGPU.csdata,"",@progbits
; Kernel info:
; codeLenInByte = 340
; TotalNumSgprs: 25
; NumVgprs: 12
; NumAgprs: 0
; TotalNumVgprs: 12
; ScratchSize: 0
; MemoryBound: 0
; FloatMode: 240
; IeeeMode: 1
; LDSByteSize: 0 bytes/workgroup (compile time only)
; SGPRBlocks: 3
; VGPRBlocks: 1
; NumSGPRsForWavesPerEU: 25
; NumVGPRsForWavesPerEU: 12
; AccumOffset: 12
; Occupancy: 8
; WaveLimiterHint : 1
; COMPUTE_PGM_RSRC2:SCRATCH_EN: 0
; COMPUTE_PGM_RSRC2:USER_SGPR: 2
; COMPUTE_PGM_RSRC2:TRAP_HANDLER: 0
; COMPUTE_PGM_RSRC2:TGID_X_EN: 1
; COMPUTE_PGM_RSRC2:TGID_Y_EN: 1
; COMPUTE_PGM_RSRC2:TGID_Z_EN: 0
; COMPUTE_PGM_RSRC2:TIDIG_COMP_CNT: 0
; COMPUTE_PGM_RSRC3_GFX90A:ACCUM_OFFSET: 2
; COMPUTE_PGM_RSRC3_GFX90A:TG_SPLIT: 0
	.section	.text._ZN2at6native12_GLOBAL__N_130CatArrayBatchedCopy_vectorizedINS1_10OpaqueTypeILj16EEEjLi2ELi128ELi1ELi16ELi1EEEvPcNS1_25CatArrInputTensorMetadataIT_T0_XT2_EXT3_EEENS1_16TensorSizeStrideIS8_Lj4EEEiS8_,"axG",@progbits,_ZN2at6native12_GLOBAL__N_130CatArrayBatchedCopy_vectorizedINS1_10OpaqueTypeILj16EEEjLi2ELi128ELi1ELi16ELi1EEEvPcNS1_25CatArrInputTensorMetadataIT_T0_XT2_EXT3_EEENS1_16TensorSizeStrideIS8_Lj4EEEiS8_,comdat
	.globl	_ZN2at6native12_GLOBAL__N_130CatArrayBatchedCopy_vectorizedINS1_10OpaqueTypeILj16EEEjLi2ELi128ELi1ELi16ELi1EEEvPcNS1_25CatArrInputTensorMetadataIT_T0_XT2_EXT3_EEENS1_16TensorSizeStrideIS8_Lj4EEEiS8_ ; -- Begin function _ZN2at6native12_GLOBAL__N_130CatArrayBatchedCopy_vectorizedINS1_10OpaqueTypeILj16EEEjLi2ELi128ELi1ELi16ELi1EEEvPcNS1_25CatArrInputTensorMetadataIT_T0_XT2_EXT3_EEENS1_16TensorSizeStrideIS8_Lj4EEEiS8_
	.p2align	8
	.type	_ZN2at6native12_GLOBAL__N_130CatArrayBatchedCopy_vectorizedINS1_10OpaqueTypeILj16EEEjLi2ELi128ELi1ELi16ELi1EEEvPcNS1_25CatArrInputTensorMetadataIT_T0_XT2_EXT3_EEENS1_16TensorSizeStrideIS8_Lj4EEEiS8_,@function
_ZN2at6native12_GLOBAL__N_130CatArrayBatchedCopy_vectorizedINS1_10OpaqueTypeILj16EEEjLi2ELi128ELi1ELi16ELi1EEEvPcNS1_25CatArrInputTensorMetadataIT_T0_XT2_EXT3_EEENS1_16TensorSizeStrideIS8_Lj4EEEiS8_: ; @_ZN2at6native12_GLOBAL__N_130CatArrayBatchedCopy_vectorizedINS1_10OpaqueTypeILj16EEEjLi2ELi128ELi1ELi16ELi1EEEvPcNS1_25CatArrInputTensorMetadataIT_T0_XT2_EXT3_EEENS1_16TensorSizeStrideIS8_Lj4EEEiS8_
; %bb.0:
	s_mov_b32 s4, s3
	s_load_dword s3, s[0:1], 0xadc
	s_add_u32 s6, s0, 0xad0
	s_mov_b32 s5, 0
	s_addc_u32 s7, s1, 0
	s_lshl_b64 s[8:9], s[4:5], 2
	s_waitcnt lgkmcnt(0)
	s_and_b32 s11, s3, 0xffff
	s_add_u32 s12, s0, s8
	s_addc_u32 s13, s1, s9
	s_load_dword s10, s[12:13], 0x808
	s_mul_i32 s2, s2, s11
	v_add_u32_e32 v0, s2, v0
	s_add_u32 s2, s12, 8
	s_addc_u32 s3, s13, 0
	s_waitcnt lgkmcnt(0)
	v_cmp_gt_u32_e32 vcc, s10, v0
	s_and_saveexec_b64 s[12:13], vcc
	s_cbranch_execz .LBB85_3
; %bb.1:
	s_add_u32 s14, s2, s8
	s_addc_u32 s15, s3, s9
	s_sub_u32 s2, 0, s8
	s_load_dwordx2 s[12:13], s[0:1], 0xac8
	s_subb_u32 s3, 0, s9
	s_add_u32 s8, s14, s2
	s_addc_u32 s9, s15, s3
	s_load_dword s4, s[8:9], 0x400
	s_load_dword s16, s[8:9], 0x600
	s_load_dwordx2 s[2:3], s[0:1], 0xab8
	s_load_dword s18, s[0:1], 0xaac
	s_waitcnt lgkmcnt(0)
	s_mul_i32 s4, s4, s13
	s_mul_i32 s8, s16, s13
	s_lshl_b64 s[16:17], s[4:5], 4
	s_cmp_eq_u32 s12, 1
	s_cselect_b32 s8, s8, s18
	v_cvt_f32_u32_e32 v1, s8
	s_load_dword s9, s[6:7], 0x0
	s_load_dwordx2 s[4:5], s[14:15], 0x0
	v_rcp_iflag_f32_e32 v1, v1
	s_load_dwordx2 s[6:7], s[0:1], 0x0
	s_waitcnt lgkmcnt(0)
	s_mul_i32 s9, s9, s11
	s_mov_b64 s[0:1], 0
	v_mul_f32_e32 v1, 0x4f7ffffe, v1
	v_cvt_u32_f32_e32 v1, v1
	s_add_u32 s6, s6, s16
	s_addc_u32 s7, s7, s17
	s_sub_i32 s11, 0, s8
	v_mul_lo_u32 v2, s11, v1
	v_mul_hi_u32 v2, v1, v2
	v_add_u32_e32 v2, v1, v2
	v_mov_b32_e32 v1, 0
.LBB85_2:                               ; =>This Inner Loop Header: Depth=1
	v_lshl_add_u64 v[4:5], v[0:1], 4, s[4:5]
	global_load_dwordx4 v[4:7], v[4:5], off
	v_mul_hi_u32 v3, v2, v0
	v_mul_lo_u32 v8, s8, v3
	v_not_b32_e32 v9, v3
	v_sub_u32_e32 v11, v0, v8
	v_add_u32_e32 v10, 1, v3
	v_mad_u64_u32 v[8:9], s[12:13], s8, v9, v[0:1]
	v_cmp_le_u32_e32 vcc, s8, v11
	s_nop 1
	v_cndmask_b32_e32 v3, v3, v10, vcc
	v_cndmask_b32_e32 v8, v11, v8, vcc
	v_add_u32_e32 v9, 1, v3
	v_cmp_le_u32_e32 vcc, s8, v8
	s_nop 1
	v_cndmask_b32_e32 v3, v3, v9, vcc
	v_mad_u64_u32 v[8:9], s[12:13], s11, v3, v[0:1]
	v_mul_lo_u32 v10, v3, s2
	v_add_u32_e32 v0, s9, v0
	v_mad_u64_u32 v[8:9], s[12:13], v8, s3, v[10:11]
	v_cmp_le_u32_e32 vcc, s10, v0
	v_mov_b32_e32 v9, v1
	s_or_b64 s[0:1], vcc, s[0:1]
	v_lshl_add_u64 v[8:9], v[8:9], 4, s[6:7]
	s_waitcnt vmcnt(0)
	global_store_dwordx4 v[8:9], v[4:7], off
	s_andn2_b64 exec, exec, s[0:1]
	s_cbranch_execnz .LBB85_2
.LBB85_3:
	s_endpgm
	.section	.rodata,"a",@progbits
	.p2align	6, 0x0
	.amdhsa_kernel _ZN2at6native12_GLOBAL__N_130CatArrayBatchedCopy_vectorizedINS1_10OpaqueTypeILj16EEEjLi2ELi128ELi1ELi16ELi1EEEvPcNS1_25CatArrInputTensorMetadataIT_T0_XT2_EXT3_EEENS1_16TensorSizeStrideIS8_Lj4EEEiS8_
		.amdhsa_group_segment_fixed_size 0
		.amdhsa_private_segment_fixed_size 0
		.amdhsa_kernarg_size 3024
		.amdhsa_user_sgpr_count 2
		.amdhsa_user_sgpr_dispatch_ptr 0
		.amdhsa_user_sgpr_queue_ptr 0
		.amdhsa_user_sgpr_kernarg_segment_ptr 1
		.amdhsa_user_sgpr_dispatch_id 0
		.amdhsa_user_sgpr_kernarg_preload_length 0
		.amdhsa_user_sgpr_kernarg_preload_offset 0
		.amdhsa_user_sgpr_private_segment_size 0
		.amdhsa_uses_dynamic_stack 0
		.amdhsa_enable_private_segment 0
		.amdhsa_system_sgpr_workgroup_id_x 1
		.amdhsa_system_sgpr_workgroup_id_y 1
		.amdhsa_system_sgpr_workgroup_id_z 0
		.amdhsa_system_sgpr_workgroup_info 0
		.amdhsa_system_vgpr_workitem_id 0
		.amdhsa_next_free_vgpr 12
		.amdhsa_next_free_sgpr 19
		.amdhsa_accum_offset 12
		.amdhsa_reserve_vcc 1
		.amdhsa_float_round_mode_32 0
		.amdhsa_float_round_mode_16_64 0
		.amdhsa_float_denorm_mode_32 3
		.amdhsa_float_denorm_mode_16_64 3
		.amdhsa_dx10_clamp 1
		.amdhsa_ieee_mode 1
		.amdhsa_fp16_overflow 0
		.amdhsa_tg_split 0
		.amdhsa_exception_fp_ieee_invalid_op 0
		.amdhsa_exception_fp_denorm_src 0
		.amdhsa_exception_fp_ieee_div_zero 0
		.amdhsa_exception_fp_ieee_overflow 0
		.amdhsa_exception_fp_ieee_underflow 0
		.amdhsa_exception_fp_ieee_inexact 0
		.amdhsa_exception_int_div_zero 0
	.end_amdhsa_kernel
	.section	.text._ZN2at6native12_GLOBAL__N_130CatArrayBatchedCopy_vectorizedINS1_10OpaqueTypeILj16EEEjLi2ELi128ELi1ELi16ELi1EEEvPcNS1_25CatArrInputTensorMetadataIT_T0_XT2_EXT3_EEENS1_16TensorSizeStrideIS8_Lj4EEEiS8_,"axG",@progbits,_ZN2at6native12_GLOBAL__N_130CatArrayBatchedCopy_vectorizedINS1_10OpaqueTypeILj16EEEjLi2ELi128ELi1ELi16ELi1EEEvPcNS1_25CatArrInputTensorMetadataIT_T0_XT2_EXT3_EEENS1_16TensorSizeStrideIS8_Lj4EEEiS8_,comdat
.Lfunc_end85:
	.size	_ZN2at6native12_GLOBAL__N_130CatArrayBatchedCopy_vectorizedINS1_10OpaqueTypeILj16EEEjLi2ELi128ELi1ELi16ELi1EEEvPcNS1_25CatArrInputTensorMetadataIT_T0_XT2_EXT3_EEENS1_16TensorSizeStrideIS8_Lj4EEEiS8_, .Lfunc_end85-_ZN2at6native12_GLOBAL__N_130CatArrayBatchedCopy_vectorizedINS1_10OpaqueTypeILj16EEEjLi2ELi128ELi1ELi16ELi1EEEvPcNS1_25CatArrInputTensorMetadataIT_T0_XT2_EXT3_EEENS1_16TensorSizeStrideIS8_Lj4EEEiS8_
                                        ; -- End function
	.set _ZN2at6native12_GLOBAL__N_130CatArrayBatchedCopy_vectorizedINS1_10OpaqueTypeILj16EEEjLi2ELi128ELi1ELi16ELi1EEEvPcNS1_25CatArrInputTensorMetadataIT_T0_XT2_EXT3_EEENS1_16TensorSizeStrideIS8_Lj4EEEiS8_.num_vgpr, 12
	.set _ZN2at6native12_GLOBAL__N_130CatArrayBatchedCopy_vectorizedINS1_10OpaqueTypeILj16EEEjLi2ELi128ELi1ELi16ELi1EEEvPcNS1_25CatArrInputTensorMetadataIT_T0_XT2_EXT3_EEENS1_16TensorSizeStrideIS8_Lj4EEEiS8_.num_agpr, 0
	.set _ZN2at6native12_GLOBAL__N_130CatArrayBatchedCopy_vectorizedINS1_10OpaqueTypeILj16EEEjLi2ELi128ELi1ELi16ELi1EEEvPcNS1_25CatArrInputTensorMetadataIT_T0_XT2_EXT3_EEENS1_16TensorSizeStrideIS8_Lj4EEEiS8_.numbered_sgpr, 19
	.set _ZN2at6native12_GLOBAL__N_130CatArrayBatchedCopy_vectorizedINS1_10OpaqueTypeILj16EEEjLi2ELi128ELi1ELi16ELi1EEEvPcNS1_25CatArrInputTensorMetadataIT_T0_XT2_EXT3_EEENS1_16TensorSizeStrideIS8_Lj4EEEiS8_.num_named_barrier, 0
	.set _ZN2at6native12_GLOBAL__N_130CatArrayBatchedCopy_vectorizedINS1_10OpaqueTypeILj16EEEjLi2ELi128ELi1ELi16ELi1EEEvPcNS1_25CatArrInputTensorMetadataIT_T0_XT2_EXT3_EEENS1_16TensorSizeStrideIS8_Lj4EEEiS8_.private_seg_size, 0
	.set _ZN2at6native12_GLOBAL__N_130CatArrayBatchedCopy_vectorizedINS1_10OpaqueTypeILj16EEEjLi2ELi128ELi1ELi16ELi1EEEvPcNS1_25CatArrInputTensorMetadataIT_T0_XT2_EXT3_EEENS1_16TensorSizeStrideIS8_Lj4EEEiS8_.uses_vcc, 1
	.set _ZN2at6native12_GLOBAL__N_130CatArrayBatchedCopy_vectorizedINS1_10OpaqueTypeILj16EEEjLi2ELi128ELi1ELi16ELi1EEEvPcNS1_25CatArrInputTensorMetadataIT_T0_XT2_EXT3_EEENS1_16TensorSizeStrideIS8_Lj4EEEiS8_.uses_flat_scratch, 0
	.set _ZN2at6native12_GLOBAL__N_130CatArrayBatchedCopy_vectorizedINS1_10OpaqueTypeILj16EEEjLi2ELi128ELi1ELi16ELi1EEEvPcNS1_25CatArrInputTensorMetadataIT_T0_XT2_EXT3_EEENS1_16TensorSizeStrideIS8_Lj4EEEiS8_.has_dyn_sized_stack, 0
	.set _ZN2at6native12_GLOBAL__N_130CatArrayBatchedCopy_vectorizedINS1_10OpaqueTypeILj16EEEjLi2ELi128ELi1ELi16ELi1EEEvPcNS1_25CatArrInputTensorMetadataIT_T0_XT2_EXT3_EEENS1_16TensorSizeStrideIS8_Lj4EEEiS8_.has_recursion, 0
	.set _ZN2at6native12_GLOBAL__N_130CatArrayBatchedCopy_vectorizedINS1_10OpaqueTypeILj16EEEjLi2ELi128ELi1ELi16ELi1EEEvPcNS1_25CatArrInputTensorMetadataIT_T0_XT2_EXT3_EEENS1_16TensorSizeStrideIS8_Lj4EEEiS8_.has_indirect_call, 0
	.section	.AMDGPU.csdata,"",@progbits
; Kernel info:
; codeLenInByte = 428
; TotalNumSgprs: 25
; NumVgprs: 12
; NumAgprs: 0
; TotalNumVgprs: 12
; ScratchSize: 0
; MemoryBound: 0
; FloatMode: 240
; IeeeMode: 1
; LDSByteSize: 0 bytes/workgroup (compile time only)
; SGPRBlocks: 3
; VGPRBlocks: 1
; NumSGPRsForWavesPerEU: 25
; NumVGPRsForWavesPerEU: 12
; AccumOffset: 12
; Occupancy: 8
; WaveLimiterHint : 1
; COMPUTE_PGM_RSRC2:SCRATCH_EN: 0
; COMPUTE_PGM_RSRC2:USER_SGPR: 2
; COMPUTE_PGM_RSRC2:TRAP_HANDLER: 0
; COMPUTE_PGM_RSRC2:TGID_X_EN: 1
; COMPUTE_PGM_RSRC2:TGID_Y_EN: 1
; COMPUTE_PGM_RSRC2:TGID_Z_EN: 0
; COMPUTE_PGM_RSRC2:TIDIG_COMP_CNT: 0
; COMPUTE_PGM_RSRC3_GFX90A:ACCUM_OFFSET: 2
; COMPUTE_PGM_RSRC3_GFX90A:TG_SPLIT: 0
	.section	.text._ZN2at6native12_GLOBAL__N_135CatArrayBatchedCopy_alignedK_contigINS1_10OpaqueTypeILj16EEEjLi2ELi128ELi1ELi16EEEvPT_NS1_25CatArrInputTensorMetadataIS5_T0_XT2_EXT3_EEENS1_16TensorSizeStrideIS8_Lj4EEEiS8_,"axG",@progbits,_ZN2at6native12_GLOBAL__N_135CatArrayBatchedCopy_alignedK_contigINS1_10OpaqueTypeILj16EEEjLi2ELi128ELi1ELi16EEEvPT_NS1_25CatArrInputTensorMetadataIS5_T0_XT2_EXT3_EEENS1_16TensorSizeStrideIS8_Lj4EEEiS8_,comdat
	.globl	_ZN2at6native12_GLOBAL__N_135CatArrayBatchedCopy_alignedK_contigINS1_10OpaqueTypeILj16EEEjLi2ELi128ELi1ELi16EEEvPT_NS1_25CatArrInputTensorMetadataIS5_T0_XT2_EXT3_EEENS1_16TensorSizeStrideIS8_Lj4EEEiS8_ ; -- Begin function _ZN2at6native12_GLOBAL__N_135CatArrayBatchedCopy_alignedK_contigINS1_10OpaqueTypeILj16EEEjLi2ELi128ELi1ELi16EEEvPT_NS1_25CatArrInputTensorMetadataIS5_T0_XT2_EXT3_EEENS1_16TensorSizeStrideIS8_Lj4EEEiS8_
	.p2align	8
	.type	_ZN2at6native12_GLOBAL__N_135CatArrayBatchedCopy_alignedK_contigINS1_10OpaqueTypeILj16EEEjLi2ELi128ELi1ELi16EEEvPT_NS1_25CatArrInputTensorMetadataIS5_T0_XT2_EXT3_EEENS1_16TensorSizeStrideIS8_Lj4EEEiS8_,@function
_ZN2at6native12_GLOBAL__N_135CatArrayBatchedCopy_alignedK_contigINS1_10OpaqueTypeILj16EEEjLi2ELi128ELi1ELi16EEEvPT_NS1_25CatArrInputTensorMetadataIS5_T0_XT2_EXT3_EEENS1_16TensorSizeStrideIS8_Lj4EEEiS8_: ; @_ZN2at6native12_GLOBAL__N_135CatArrayBatchedCopy_alignedK_contigINS1_10OpaqueTypeILj16EEEjLi2ELi128ELi1ELi16EEEvPT_NS1_25CatArrInputTensorMetadataIS5_T0_XT2_EXT3_EEENS1_16TensorSizeStrideIS8_Lj4EEEiS8_
; %bb.0:
	s_mov_b32 s4, s3
	s_load_dword s3, s[0:1], 0xadc
	s_add_u32 s8, s0, 0xad0
	s_mov_b32 s5, 0
	s_addc_u32 s9, s1, 0
	s_lshl_b64 s[4:5], s[4:5], 2
	s_waitcnt lgkmcnt(0)
	s_and_b32 s12, s3, 0xffff
	s_add_u32 s6, s0, s4
	s_addc_u32 s7, s1, s5
	s_load_dword s10, s[6:7], 0x808
	s_mul_i32 s2, s2, s12
	v_add_u32_e32 v2, s2, v0
	s_add_u32 s2, s6, 8
	s_addc_u32 s3, s7, 0
	s_waitcnt lgkmcnt(0)
	v_cmp_gt_u32_e32 vcc, s10, v2
	s_and_saveexec_b64 s[6:7], vcc
	s_cbranch_execz .LBB86_6
; %bb.1:
	s_add_u32 s14, s2, s4
	s_addc_u32 s15, s3, s5
	s_sub_u32 s2, 0, s4
	s_subb_u32 s3, 0, s5
	s_add_u32 s16, s14, s2
	s_addc_u32 s17, s15, s3
	s_load_dword s4, s[16:17], 0x600
	s_load_dwordx2 s[18:19], s[0:1], 0xac8
	s_load_dword s5, s[0:1], 0xaac
	s_load_dwordx2 s[2:3], s[0:1], 0xab8
	v_mov_b32_e32 v5, 0
	v_add_u32_e32 v3, 1, v2
	s_waitcnt lgkmcnt(0)
	s_cmp_eq_u32 s18, 1
	s_cselect_b32 s11, s4, s5
	v_cvt_f32_u32_e32 v0, s11
	s_load_dwordx2 s[4:5], s[0:1], 0x0
	s_load_dwordx2 s[6:7], s[14:15], 0x0
	s_load_dword s13, s[16:17], 0x400
	s_mov_b64 s[0:1], 0
	s_load_dword s8, s[8:9], 0x0
	v_rcp_iflag_f32_e32 v0, v0
	s_sub_i32 s9, 0, s11
	s_waitcnt lgkmcnt(0)
	s_mul_i32 s12, s8, s12
	v_mul_f32_e32 v0, 0x4f7ffffe, v0
	v_cvt_u32_f32_e32 v0, v0
	s_mul_i32 s8, s13, s19
	v_mul_lo_u32 v1, s9, v0
	v_mul_hi_u32 v1, v0, v1
	v_add_u32_e32 v0, v0, v1
	v_mov_b32_e32 v1, v5
.LBB86_2:                               ; =>This Inner Loop Header: Depth=1
	v_add_u32_e32 v4, -1, v3
	v_lshl_add_u64 v[6:7], v[4:5], 4, s[6:7]
	global_load_dwordx4 v[6:9], v[6:7], off
	v_mul_hi_u32 v10, v0, v2
	v_add_u32_e32 v3, s12, v3
	v_mul_lo_u32 v11, s11, v10
	v_not_b32_e32 v10, v10
	v_mul_hi_u32 v12, v4, v0
	v_cmp_lt_u32_e32 vcc, s10, v3
	v_sub_u32_e32 v13, v2, v11
	v_mad_u64_u32 v[10:11], s[14:15], s11, v10, v[2:3]
	v_add_u32_e32 v11, 1, v12
	s_or_b64 s[0:1], vcc, s[0:1]
	v_cmp_le_u32_e32 vcc, s11, v13
	v_add_u32_e32 v2, s12, v2
	s_nop 0
	v_cndmask_b32_e32 v11, v12, v11, vcc
	v_cndmask_b32_e32 v10, v13, v10, vcc
	v_add_u32_e32 v12, 1, v11
	v_cmp_le_u32_e32 vcc, s11, v10
	s_nop 1
	v_cndmask_b32_e32 v12, v11, v12, vcc
	v_mad_u64_u32 v[10:11], s[14:15], s9, v12, v[4:5]
	v_mul_lo_u32 v4, v12, s2
	v_mul_lo_u32 v10, v10, s3
	v_add3_u32 v4, v10, v4, s8
	v_lshl_add_u64 v[10:11], v[4:5], 4, s[4:5]
	s_waitcnt vmcnt(0)
	global_store_dwordx4 v[10:11], v[6:9], off
	s_andn2_b64 exec, exec, s[0:1]
	s_cbranch_execnz .LBB86_2
; %bb.3:
	s_or_b64 exec, exec, s[0:1]
	v_add_u32_e32 v2, -1, v3
	v_cmp_gt_u32_e32 vcc, s10, v2
	s_and_b64 exec, exec, vcc
	s_cbranch_execz .LBB86_6
; %bb.4:
	v_mov_b32_e32 v5, 0
	v_mov_b32_e32 v3, v5
	v_mad_u64_u32 v[6:7], s[0:1], v0, v2, 0
	v_lshl_add_u64 v[8:9], v[2:3], 4, s[6:7]
	s_mov_b64 s[0:1], 0
.LBB86_5:                               ; =>This Inner Loop Header: Depth=1
	global_load_dwordx4 v[10:13], v[8:9], off
	v_not_b32_e32 v3, v7
	v_mul_lo_u32 v4, s11, v7
	v_mad_u64_u32 v[14:15], s[6:7], s11, v3, v[2:3]
	v_sub_u32_e32 v3, v2, v4
	v_add_u32_e32 v16, 1, v7
	v_cmp_le_u32_e32 vcc, s11, v3
	v_lshl_add_u64 v[8:9], v[8:9], 0, 16
	s_nop 0
	v_cndmask_b32_e32 v4, v7, v16, vcc
	v_cndmask_b32_e32 v3, v3, v14, vcc
	v_add_u32_e32 v14, 1, v4
	v_cmp_le_u32_e32 vcc, s11, v3
	v_lshl_add_u64 v[6:7], v[6:7], 0, v[0:1]
	s_nop 0
	v_cndmask_b32_e32 v3, v4, v14, vcc
	v_mad_u64_u32 v[14:15], s[6:7], s9, v3, v[2:3]
	v_mul_lo_u32 v3, v3, s2
	v_add_u32_e32 v2, 1, v2
	v_mul_lo_u32 v4, v14, s3
	v_cmp_le_u32_e32 vcc, s10, v2
	v_add3_u32 v4, v3, s8, v4
	s_or_b64 s[0:1], vcc, s[0:1]
	v_lshl_add_u64 v[14:15], v[4:5], 4, s[4:5]
	s_waitcnt vmcnt(0)
	global_store_dwordx4 v[14:15], v[10:13], off
	s_andn2_b64 exec, exec, s[0:1]
	s_cbranch_execnz .LBB86_5
.LBB86_6:
	s_endpgm
	.section	.rodata,"a",@progbits
	.p2align	6, 0x0
	.amdhsa_kernel _ZN2at6native12_GLOBAL__N_135CatArrayBatchedCopy_alignedK_contigINS1_10OpaqueTypeILj16EEEjLi2ELi128ELi1ELi16EEEvPT_NS1_25CatArrInputTensorMetadataIS5_T0_XT2_EXT3_EEENS1_16TensorSizeStrideIS8_Lj4EEEiS8_
		.amdhsa_group_segment_fixed_size 0
		.amdhsa_private_segment_fixed_size 0
		.amdhsa_kernarg_size 3024
		.amdhsa_user_sgpr_count 2
		.amdhsa_user_sgpr_dispatch_ptr 0
		.amdhsa_user_sgpr_queue_ptr 0
		.amdhsa_user_sgpr_kernarg_segment_ptr 1
		.amdhsa_user_sgpr_dispatch_id 0
		.amdhsa_user_sgpr_kernarg_preload_length 0
		.amdhsa_user_sgpr_kernarg_preload_offset 0
		.amdhsa_user_sgpr_private_segment_size 0
		.amdhsa_uses_dynamic_stack 0
		.amdhsa_enable_private_segment 0
		.amdhsa_system_sgpr_workgroup_id_x 1
		.amdhsa_system_sgpr_workgroup_id_y 1
		.amdhsa_system_sgpr_workgroup_id_z 0
		.amdhsa_system_sgpr_workgroup_info 0
		.amdhsa_system_vgpr_workitem_id 0
		.amdhsa_next_free_vgpr 17
		.amdhsa_next_free_sgpr 20
		.amdhsa_accum_offset 20
		.amdhsa_reserve_vcc 1
		.amdhsa_float_round_mode_32 0
		.amdhsa_float_round_mode_16_64 0
		.amdhsa_float_denorm_mode_32 3
		.amdhsa_float_denorm_mode_16_64 3
		.amdhsa_dx10_clamp 1
		.amdhsa_ieee_mode 1
		.amdhsa_fp16_overflow 0
		.amdhsa_tg_split 0
		.amdhsa_exception_fp_ieee_invalid_op 0
		.amdhsa_exception_fp_denorm_src 0
		.amdhsa_exception_fp_ieee_div_zero 0
		.amdhsa_exception_fp_ieee_overflow 0
		.amdhsa_exception_fp_ieee_underflow 0
		.amdhsa_exception_fp_ieee_inexact 0
		.amdhsa_exception_int_div_zero 0
	.end_amdhsa_kernel
	.section	.text._ZN2at6native12_GLOBAL__N_135CatArrayBatchedCopy_alignedK_contigINS1_10OpaqueTypeILj16EEEjLi2ELi128ELi1ELi16EEEvPT_NS1_25CatArrInputTensorMetadataIS5_T0_XT2_EXT3_EEENS1_16TensorSizeStrideIS8_Lj4EEEiS8_,"axG",@progbits,_ZN2at6native12_GLOBAL__N_135CatArrayBatchedCopy_alignedK_contigINS1_10OpaqueTypeILj16EEEjLi2ELi128ELi1ELi16EEEvPT_NS1_25CatArrInputTensorMetadataIS5_T0_XT2_EXT3_EEENS1_16TensorSizeStrideIS8_Lj4EEEiS8_,comdat
.Lfunc_end86:
	.size	_ZN2at6native12_GLOBAL__N_135CatArrayBatchedCopy_alignedK_contigINS1_10OpaqueTypeILj16EEEjLi2ELi128ELi1ELi16EEEvPT_NS1_25CatArrInputTensorMetadataIS5_T0_XT2_EXT3_EEENS1_16TensorSizeStrideIS8_Lj4EEEiS8_, .Lfunc_end86-_ZN2at6native12_GLOBAL__N_135CatArrayBatchedCopy_alignedK_contigINS1_10OpaqueTypeILj16EEEjLi2ELi128ELi1ELi16EEEvPT_NS1_25CatArrInputTensorMetadataIS5_T0_XT2_EXT3_EEENS1_16TensorSizeStrideIS8_Lj4EEEiS8_
                                        ; -- End function
	.set _ZN2at6native12_GLOBAL__N_135CatArrayBatchedCopy_alignedK_contigINS1_10OpaqueTypeILj16EEEjLi2ELi128ELi1ELi16EEEvPT_NS1_25CatArrInputTensorMetadataIS5_T0_XT2_EXT3_EEENS1_16TensorSizeStrideIS8_Lj4EEEiS8_.num_vgpr, 17
	.set _ZN2at6native12_GLOBAL__N_135CatArrayBatchedCopy_alignedK_contigINS1_10OpaqueTypeILj16EEEjLi2ELi128ELi1ELi16EEEvPT_NS1_25CatArrInputTensorMetadataIS5_T0_XT2_EXT3_EEENS1_16TensorSizeStrideIS8_Lj4EEEiS8_.num_agpr, 0
	.set _ZN2at6native12_GLOBAL__N_135CatArrayBatchedCopy_alignedK_contigINS1_10OpaqueTypeILj16EEEjLi2ELi128ELi1ELi16EEEvPT_NS1_25CatArrInputTensorMetadataIS5_T0_XT2_EXT3_EEENS1_16TensorSizeStrideIS8_Lj4EEEiS8_.numbered_sgpr, 20
	.set _ZN2at6native12_GLOBAL__N_135CatArrayBatchedCopy_alignedK_contigINS1_10OpaqueTypeILj16EEEjLi2ELi128ELi1ELi16EEEvPT_NS1_25CatArrInputTensorMetadataIS5_T0_XT2_EXT3_EEENS1_16TensorSizeStrideIS8_Lj4EEEiS8_.num_named_barrier, 0
	.set _ZN2at6native12_GLOBAL__N_135CatArrayBatchedCopy_alignedK_contigINS1_10OpaqueTypeILj16EEEjLi2ELi128ELi1ELi16EEEvPT_NS1_25CatArrInputTensorMetadataIS5_T0_XT2_EXT3_EEENS1_16TensorSizeStrideIS8_Lj4EEEiS8_.private_seg_size, 0
	.set _ZN2at6native12_GLOBAL__N_135CatArrayBatchedCopy_alignedK_contigINS1_10OpaqueTypeILj16EEEjLi2ELi128ELi1ELi16EEEvPT_NS1_25CatArrInputTensorMetadataIS5_T0_XT2_EXT3_EEENS1_16TensorSizeStrideIS8_Lj4EEEiS8_.uses_vcc, 1
	.set _ZN2at6native12_GLOBAL__N_135CatArrayBatchedCopy_alignedK_contigINS1_10OpaqueTypeILj16EEEjLi2ELi128ELi1ELi16EEEvPT_NS1_25CatArrInputTensorMetadataIS5_T0_XT2_EXT3_EEENS1_16TensorSizeStrideIS8_Lj4EEEiS8_.uses_flat_scratch, 0
	.set _ZN2at6native12_GLOBAL__N_135CatArrayBatchedCopy_alignedK_contigINS1_10OpaqueTypeILj16EEEjLi2ELi128ELi1ELi16EEEvPT_NS1_25CatArrInputTensorMetadataIS5_T0_XT2_EXT3_EEENS1_16TensorSizeStrideIS8_Lj4EEEiS8_.has_dyn_sized_stack, 0
	.set _ZN2at6native12_GLOBAL__N_135CatArrayBatchedCopy_alignedK_contigINS1_10OpaqueTypeILj16EEEjLi2ELi128ELi1ELi16EEEvPT_NS1_25CatArrInputTensorMetadataIS5_T0_XT2_EXT3_EEENS1_16TensorSizeStrideIS8_Lj4EEEiS8_.has_recursion, 0
	.set _ZN2at6native12_GLOBAL__N_135CatArrayBatchedCopy_alignedK_contigINS1_10OpaqueTypeILj16EEEjLi2ELi128ELi1ELi16EEEvPT_NS1_25CatArrInputTensorMetadataIS5_T0_XT2_EXT3_EEENS1_16TensorSizeStrideIS8_Lj4EEEiS8_.has_indirect_call, 0
	.section	.AMDGPU.csdata,"",@progbits
; Kernel info:
; codeLenInByte = 644
; TotalNumSgprs: 26
; NumVgprs: 17
; NumAgprs: 0
; TotalNumVgprs: 17
; ScratchSize: 0
; MemoryBound: 0
; FloatMode: 240
; IeeeMode: 1
; LDSByteSize: 0 bytes/workgroup (compile time only)
; SGPRBlocks: 3
; VGPRBlocks: 2
; NumSGPRsForWavesPerEU: 26
; NumVGPRsForWavesPerEU: 17
; AccumOffset: 20
; Occupancy: 8
; WaveLimiterHint : 1
; COMPUTE_PGM_RSRC2:SCRATCH_EN: 0
; COMPUTE_PGM_RSRC2:USER_SGPR: 2
; COMPUTE_PGM_RSRC2:TRAP_HANDLER: 0
; COMPUTE_PGM_RSRC2:TGID_X_EN: 1
; COMPUTE_PGM_RSRC2:TGID_Y_EN: 1
; COMPUTE_PGM_RSRC2:TGID_Z_EN: 0
; COMPUTE_PGM_RSRC2:TIDIG_COMP_CNT: 0
; COMPUTE_PGM_RSRC3_GFX90A:ACCUM_OFFSET: 4
; COMPUTE_PGM_RSRC3_GFX90A:TG_SPLIT: 0
	.section	.text._ZN2at6native12_GLOBAL__N_135CatArrayBatchedCopy_alignedK_contigINS1_10OpaqueTypeILj16EEEjLi2ELi128ELi1ELi8EEEvPT_NS1_25CatArrInputTensorMetadataIS5_T0_XT2_EXT3_EEENS1_16TensorSizeStrideIS8_Lj4EEEiS8_,"axG",@progbits,_ZN2at6native12_GLOBAL__N_135CatArrayBatchedCopy_alignedK_contigINS1_10OpaqueTypeILj16EEEjLi2ELi128ELi1ELi8EEEvPT_NS1_25CatArrInputTensorMetadataIS5_T0_XT2_EXT3_EEENS1_16TensorSizeStrideIS8_Lj4EEEiS8_,comdat
	.globl	_ZN2at6native12_GLOBAL__N_135CatArrayBatchedCopy_alignedK_contigINS1_10OpaqueTypeILj16EEEjLi2ELi128ELi1ELi8EEEvPT_NS1_25CatArrInputTensorMetadataIS5_T0_XT2_EXT3_EEENS1_16TensorSizeStrideIS8_Lj4EEEiS8_ ; -- Begin function _ZN2at6native12_GLOBAL__N_135CatArrayBatchedCopy_alignedK_contigINS1_10OpaqueTypeILj16EEEjLi2ELi128ELi1ELi8EEEvPT_NS1_25CatArrInputTensorMetadataIS5_T0_XT2_EXT3_EEENS1_16TensorSizeStrideIS8_Lj4EEEiS8_
	.p2align	8
	.type	_ZN2at6native12_GLOBAL__N_135CatArrayBatchedCopy_alignedK_contigINS1_10OpaqueTypeILj16EEEjLi2ELi128ELi1ELi8EEEvPT_NS1_25CatArrInputTensorMetadataIS5_T0_XT2_EXT3_EEENS1_16TensorSizeStrideIS8_Lj4EEEiS8_,@function
_ZN2at6native12_GLOBAL__N_135CatArrayBatchedCopy_alignedK_contigINS1_10OpaqueTypeILj16EEEjLi2ELi128ELi1ELi8EEEvPT_NS1_25CatArrInputTensorMetadataIS5_T0_XT2_EXT3_EEENS1_16TensorSizeStrideIS8_Lj4EEEiS8_: ; @_ZN2at6native12_GLOBAL__N_135CatArrayBatchedCopy_alignedK_contigINS1_10OpaqueTypeILj16EEEjLi2ELi128ELi1ELi8EEEvPT_NS1_25CatArrInputTensorMetadataIS5_T0_XT2_EXT3_EEENS1_16TensorSizeStrideIS8_Lj4EEEiS8_
; %bb.0:
	s_mov_b32 s4, s3
	s_load_dword s3, s[0:1], 0xadc
	s_add_u32 s8, s0, 0xad0
	s_mov_b32 s5, 0
	s_addc_u32 s9, s1, 0
	s_lshl_b64 s[4:5], s[4:5], 2
	s_waitcnt lgkmcnt(0)
	s_and_b32 s12, s3, 0xffff
	s_add_u32 s6, s0, s4
	s_addc_u32 s7, s1, s5
	s_load_dword s10, s[6:7], 0x808
	s_mul_i32 s2, s2, s12
	v_add_u32_e32 v2, s2, v0
	s_add_u32 s2, s6, 8
	s_addc_u32 s3, s7, 0
	s_waitcnt lgkmcnt(0)
	v_cmp_gt_u32_e32 vcc, s10, v2
	s_and_saveexec_b64 s[6:7], vcc
	s_cbranch_execz .LBB87_6
; %bb.1:
	s_add_u32 s14, s2, s4
	s_addc_u32 s15, s3, s5
	s_sub_u32 s2, 0, s4
	s_subb_u32 s3, 0, s5
	s_add_u32 s16, s14, s2
	s_addc_u32 s17, s15, s3
	s_load_dword s4, s[16:17], 0x600
	s_load_dwordx2 s[18:19], s[0:1], 0xac8
	s_load_dword s5, s[0:1], 0xaac
	s_load_dwordx2 s[2:3], s[0:1], 0xab8
	v_mov_b32_e32 v5, 0
	v_add_u32_e32 v3, 1, v2
	s_waitcnt lgkmcnt(0)
	s_cmp_eq_u32 s18, 1
	s_cselect_b32 s11, s4, s5
	v_cvt_f32_u32_e32 v0, s11
	s_load_dwordx2 s[4:5], s[0:1], 0x0
	s_load_dwordx2 s[6:7], s[14:15], 0x0
	s_load_dword s13, s[16:17], 0x400
	s_mov_b64 s[0:1], 0
	s_load_dword s8, s[8:9], 0x0
	v_rcp_iflag_f32_e32 v0, v0
	s_sub_i32 s9, 0, s11
	s_waitcnt lgkmcnt(0)
	s_mul_i32 s12, s8, s12
	v_mul_f32_e32 v0, 0x4f7ffffe, v0
	v_cvt_u32_f32_e32 v0, v0
	s_mul_i32 s8, s13, s19
	v_mul_lo_u32 v1, s9, v0
	v_mul_hi_u32 v1, v0, v1
	v_add_u32_e32 v0, v0, v1
	v_mov_b32_e32 v1, v5
.LBB87_2:                               ; =>This Inner Loop Header: Depth=1
	v_add_u32_e32 v4, -1, v3
	v_lshl_add_u64 v[6:7], v[4:5], 4, s[6:7]
	global_load_dwordx4 v[6:9], v[6:7], off
	v_mul_hi_u32 v10, v0, v2
	v_add_u32_e32 v3, s12, v3
	v_mul_lo_u32 v11, s11, v10
	v_not_b32_e32 v10, v10
	v_mul_hi_u32 v12, v4, v0
	v_cmp_lt_u32_e32 vcc, s10, v3
	v_sub_u32_e32 v13, v2, v11
	v_mad_u64_u32 v[10:11], s[14:15], s11, v10, v[2:3]
	v_add_u32_e32 v11, 1, v12
	s_or_b64 s[0:1], vcc, s[0:1]
	v_cmp_le_u32_e32 vcc, s11, v13
	v_add_u32_e32 v2, s12, v2
	s_nop 0
	v_cndmask_b32_e32 v11, v12, v11, vcc
	v_cndmask_b32_e32 v10, v13, v10, vcc
	v_add_u32_e32 v12, 1, v11
	v_cmp_le_u32_e32 vcc, s11, v10
	s_nop 1
	v_cndmask_b32_e32 v12, v11, v12, vcc
	v_mad_u64_u32 v[10:11], s[14:15], s9, v12, v[4:5]
	v_mul_lo_u32 v4, v12, s2
	v_mul_lo_u32 v10, v10, s3
	v_add3_u32 v4, v10, v4, s8
	v_lshl_add_u64 v[10:11], v[4:5], 4, s[4:5]
	s_waitcnt vmcnt(0)
	global_store_dwordx4 v[10:11], v[6:9], off
	s_andn2_b64 exec, exec, s[0:1]
	s_cbranch_execnz .LBB87_2
; %bb.3:
	s_or_b64 exec, exec, s[0:1]
	v_add_u32_e32 v2, -1, v3
	v_cmp_gt_u32_e32 vcc, s10, v2
	s_and_b64 exec, exec, vcc
	s_cbranch_execz .LBB87_6
; %bb.4:
	v_mov_b32_e32 v5, 0
	v_mov_b32_e32 v3, v5
	v_mad_u64_u32 v[6:7], s[0:1], v0, v2, 0
	v_lshl_add_u64 v[8:9], v[2:3], 4, s[6:7]
	s_mov_b64 s[0:1], 0
.LBB87_5:                               ; =>This Inner Loop Header: Depth=1
	global_load_dwordx4 v[10:13], v[8:9], off
	v_not_b32_e32 v3, v7
	v_mul_lo_u32 v4, s11, v7
	v_mad_u64_u32 v[14:15], s[6:7], s11, v3, v[2:3]
	v_sub_u32_e32 v3, v2, v4
	v_add_u32_e32 v16, 1, v7
	v_cmp_le_u32_e32 vcc, s11, v3
	v_lshl_add_u64 v[8:9], v[8:9], 0, 16
	s_nop 0
	v_cndmask_b32_e32 v4, v7, v16, vcc
	v_cndmask_b32_e32 v3, v3, v14, vcc
	v_add_u32_e32 v14, 1, v4
	v_cmp_le_u32_e32 vcc, s11, v3
	v_lshl_add_u64 v[6:7], v[6:7], 0, v[0:1]
	s_nop 0
	v_cndmask_b32_e32 v3, v4, v14, vcc
	v_mad_u64_u32 v[14:15], s[6:7], s9, v3, v[2:3]
	v_mul_lo_u32 v3, v3, s2
	v_add_u32_e32 v2, 1, v2
	v_mul_lo_u32 v4, v14, s3
	v_cmp_le_u32_e32 vcc, s10, v2
	v_add3_u32 v4, v3, s8, v4
	s_or_b64 s[0:1], vcc, s[0:1]
	v_lshl_add_u64 v[14:15], v[4:5], 4, s[4:5]
	s_waitcnt vmcnt(0)
	global_store_dwordx4 v[14:15], v[10:13], off
	s_andn2_b64 exec, exec, s[0:1]
	s_cbranch_execnz .LBB87_5
.LBB87_6:
	s_endpgm
	.section	.rodata,"a",@progbits
	.p2align	6, 0x0
	.amdhsa_kernel _ZN2at6native12_GLOBAL__N_135CatArrayBatchedCopy_alignedK_contigINS1_10OpaqueTypeILj16EEEjLi2ELi128ELi1ELi8EEEvPT_NS1_25CatArrInputTensorMetadataIS5_T0_XT2_EXT3_EEENS1_16TensorSizeStrideIS8_Lj4EEEiS8_
		.amdhsa_group_segment_fixed_size 0
		.amdhsa_private_segment_fixed_size 0
		.amdhsa_kernarg_size 3024
		.amdhsa_user_sgpr_count 2
		.amdhsa_user_sgpr_dispatch_ptr 0
		.amdhsa_user_sgpr_queue_ptr 0
		.amdhsa_user_sgpr_kernarg_segment_ptr 1
		.amdhsa_user_sgpr_dispatch_id 0
		.amdhsa_user_sgpr_kernarg_preload_length 0
		.amdhsa_user_sgpr_kernarg_preload_offset 0
		.amdhsa_user_sgpr_private_segment_size 0
		.amdhsa_uses_dynamic_stack 0
		.amdhsa_enable_private_segment 0
		.amdhsa_system_sgpr_workgroup_id_x 1
		.amdhsa_system_sgpr_workgroup_id_y 1
		.amdhsa_system_sgpr_workgroup_id_z 0
		.amdhsa_system_sgpr_workgroup_info 0
		.amdhsa_system_vgpr_workitem_id 0
		.amdhsa_next_free_vgpr 17
		.amdhsa_next_free_sgpr 20
		.amdhsa_accum_offset 20
		.amdhsa_reserve_vcc 1
		.amdhsa_float_round_mode_32 0
		.amdhsa_float_round_mode_16_64 0
		.amdhsa_float_denorm_mode_32 3
		.amdhsa_float_denorm_mode_16_64 3
		.amdhsa_dx10_clamp 1
		.amdhsa_ieee_mode 1
		.amdhsa_fp16_overflow 0
		.amdhsa_tg_split 0
		.amdhsa_exception_fp_ieee_invalid_op 0
		.amdhsa_exception_fp_denorm_src 0
		.amdhsa_exception_fp_ieee_div_zero 0
		.amdhsa_exception_fp_ieee_overflow 0
		.amdhsa_exception_fp_ieee_underflow 0
		.amdhsa_exception_fp_ieee_inexact 0
		.amdhsa_exception_int_div_zero 0
	.end_amdhsa_kernel
	.section	.text._ZN2at6native12_GLOBAL__N_135CatArrayBatchedCopy_alignedK_contigINS1_10OpaqueTypeILj16EEEjLi2ELi128ELi1ELi8EEEvPT_NS1_25CatArrInputTensorMetadataIS5_T0_XT2_EXT3_EEENS1_16TensorSizeStrideIS8_Lj4EEEiS8_,"axG",@progbits,_ZN2at6native12_GLOBAL__N_135CatArrayBatchedCopy_alignedK_contigINS1_10OpaqueTypeILj16EEEjLi2ELi128ELi1ELi8EEEvPT_NS1_25CatArrInputTensorMetadataIS5_T0_XT2_EXT3_EEENS1_16TensorSizeStrideIS8_Lj4EEEiS8_,comdat
.Lfunc_end87:
	.size	_ZN2at6native12_GLOBAL__N_135CatArrayBatchedCopy_alignedK_contigINS1_10OpaqueTypeILj16EEEjLi2ELi128ELi1ELi8EEEvPT_NS1_25CatArrInputTensorMetadataIS5_T0_XT2_EXT3_EEENS1_16TensorSizeStrideIS8_Lj4EEEiS8_, .Lfunc_end87-_ZN2at6native12_GLOBAL__N_135CatArrayBatchedCopy_alignedK_contigINS1_10OpaqueTypeILj16EEEjLi2ELi128ELi1ELi8EEEvPT_NS1_25CatArrInputTensorMetadataIS5_T0_XT2_EXT3_EEENS1_16TensorSizeStrideIS8_Lj4EEEiS8_
                                        ; -- End function
	.set _ZN2at6native12_GLOBAL__N_135CatArrayBatchedCopy_alignedK_contigINS1_10OpaqueTypeILj16EEEjLi2ELi128ELi1ELi8EEEvPT_NS1_25CatArrInputTensorMetadataIS5_T0_XT2_EXT3_EEENS1_16TensorSizeStrideIS8_Lj4EEEiS8_.num_vgpr, 17
	.set _ZN2at6native12_GLOBAL__N_135CatArrayBatchedCopy_alignedK_contigINS1_10OpaqueTypeILj16EEEjLi2ELi128ELi1ELi8EEEvPT_NS1_25CatArrInputTensorMetadataIS5_T0_XT2_EXT3_EEENS1_16TensorSizeStrideIS8_Lj4EEEiS8_.num_agpr, 0
	.set _ZN2at6native12_GLOBAL__N_135CatArrayBatchedCopy_alignedK_contigINS1_10OpaqueTypeILj16EEEjLi2ELi128ELi1ELi8EEEvPT_NS1_25CatArrInputTensorMetadataIS5_T0_XT2_EXT3_EEENS1_16TensorSizeStrideIS8_Lj4EEEiS8_.numbered_sgpr, 20
	.set _ZN2at6native12_GLOBAL__N_135CatArrayBatchedCopy_alignedK_contigINS1_10OpaqueTypeILj16EEEjLi2ELi128ELi1ELi8EEEvPT_NS1_25CatArrInputTensorMetadataIS5_T0_XT2_EXT3_EEENS1_16TensorSizeStrideIS8_Lj4EEEiS8_.num_named_barrier, 0
	.set _ZN2at6native12_GLOBAL__N_135CatArrayBatchedCopy_alignedK_contigINS1_10OpaqueTypeILj16EEEjLi2ELi128ELi1ELi8EEEvPT_NS1_25CatArrInputTensorMetadataIS5_T0_XT2_EXT3_EEENS1_16TensorSizeStrideIS8_Lj4EEEiS8_.private_seg_size, 0
	.set _ZN2at6native12_GLOBAL__N_135CatArrayBatchedCopy_alignedK_contigINS1_10OpaqueTypeILj16EEEjLi2ELi128ELi1ELi8EEEvPT_NS1_25CatArrInputTensorMetadataIS5_T0_XT2_EXT3_EEENS1_16TensorSizeStrideIS8_Lj4EEEiS8_.uses_vcc, 1
	.set _ZN2at6native12_GLOBAL__N_135CatArrayBatchedCopy_alignedK_contigINS1_10OpaqueTypeILj16EEEjLi2ELi128ELi1ELi8EEEvPT_NS1_25CatArrInputTensorMetadataIS5_T0_XT2_EXT3_EEENS1_16TensorSizeStrideIS8_Lj4EEEiS8_.uses_flat_scratch, 0
	.set _ZN2at6native12_GLOBAL__N_135CatArrayBatchedCopy_alignedK_contigINS1_10OpaqueTypeILj16EEEjLi2ELi128ELi1ELi8EEEvPT_NS1_25CatArrInputTensorMetadataIS5_T0_XT2_EXT3_EEENS1_16TensorSizeStrideIS8_Lj4EEEiS8_.has_dyn_sized_stack, 0
	.set _ZN2at6native12_GLOBAL__N_135CatArrayBatchedCopy_alignedK_contigINS1_10OpaqueTypeILj16EEEjLi2ELi128ELi1ELi8EEEvPT_NS1_25CatArrInputTensorMetadataIS5_T0_XT2_EXT3_EEENS1_16TensorSizeStrideIS8_Lj4EEEiS8_.has_recursion, 0
	.set _ZN2at6native12_GLOBAL__N_135CatArrayBatchedCopy_alignedK_contigINS1_10OpaqueTypeILj16EEEjLi2ELi128ELi1ELi8EEEvPT_NS1_25CatArrInputTensorMetadataIS5_T0_XT2_EXT3_EEENS1_16TensorSizeStrideIS8_Lj4EEEiS8_.has_indirect_call, 0
	.section	.AMDGPU.csdata,"",@progbits
; Kernel info:
; codeLenInByte = 644
; TotalNumSgprs: 26
; NumVgprs: 17
; NumAgprs: 0
; TotalNumVgprs: 17
; ScratchSize: 0
; MemoryBound: 0
; FloatMode: 240
; IeeeMode: 1
; LDSByteSize: 0 bytes/workgroup (compile time only)
; SGPRBlocks: 3
; VGPRBlocks: 2
; NumSGPRsForWavesPerEU: 26
; NumVGPRsForWavesPerEU: 17
; AccumOffset: 20
; Occupancy: 8
; WaveLimiterHint : 1
; COMPUTE_PGM_RSRC2:SCRATCH_EN: 0
; COMPUTE_PGM_RSRC2:USER_SGPR: 2
; COMPUTE_PGM_RSRC2:TRAP_HANDLER: 0
; COMPUTE_PGM_RSRC2:TGID_X_EN: 1
; COMPUTE_PGM_RSRC2:TGID_Y_EN: 1
; COMPUTE_PGM_RSRC2:TGID_Z_EN: 0
; COMPUTE_PGM_RSRC2:TIDIG_COMP_CNT: 0
; COMPUTE_PGM_RSRC3_GFX90A:ACCUM_OFFSET: 4
; COMPUTE_PGM_RSRC3_GFX90A:TG_SPLIT: 0
	.section	.text._ZN2at6native12_GLOBAL__N_126CatArrayBatchedCopy_contigINS1_10OpaqueTypeILj16EEEjLi2ELi128ELi1EEEvPT_NS1_25CatArrInputTensorMetadataIS5_T0_XT2_EXT3_EEENS1_16TensorSizeStrideIS8_Lj4EEEiS8_,"axG",@progbits,_ZN2at6native12_GLOBAL__N_126CatArrayBatchedCopy_contigINS1_10OpaqueTypeILj16EEEjLi2ELi128ELi1EEEvPT_NS1_25CatArrInputTensorMetadataIS5_T0_XT2_EXT3_EEENS1_16TensorSizeStrideIS8_Lj4EEEiS8_,comdat
	.globl	_ZN2at6native12_GLOBAL__N_126CatArrayBatchedCopy_contigINS1_10OpaqueTypeILj16EEEjLi2ELi128ELi1EEEvPT_NS1_25CatArrInputTensorMetadataIS5_T0_XT2_EXT3_EEENS1_16TensorSizeStrideIS8_Lj4EEEiS8_ ; -- Begin function _ZN2at6native12_GLOBAL__N_126CatArrayBatchedCopy_contigINS1_10OpaqueTypeILj16EEEjLi2ELi128ELi1EEEvPT_NS1_25CatArrInputTensorMetadataIS5_T0_XT2_EXT3_EEENS1_16TensorSizeStrideIS8_Lj4EEEiS8_
	.p2align	8
	.type	_ZN2at6native12_GLOBAL__N_126CatArrayBatchedCopy_contigINS1_10OpaqueTypeILj16EEEjLi2ELi128ELi1EEEvPT_NS1_25CatArrInputTensorMetadataIS5_T0_XT2_EXT3_EEENS1_16TensorSizeStrideIS8_Lj4EEEiS8_,@function
_ZN2at6native12_GLOBAL__N_126CatArrayBatchedCopy_contigINS1_10OpaqueTypeILj16EEEjLi2ELi128ELi1EEEvPT_NS1_25CatArrInputTensorMetadataIS5_T0_XT2_EXT3_EEENS1_16TensorSizeStrideIS8_Lj4EEEiS8_: ; @_ZN2at6native12_GLOBAL__N_126CatArrayBatchedCopy_contigINS1_10OpaqueTypeILj16EEEjLi2ELi128ELi1EEEvPT_NS1_25CatArrInputTensorMetadataIS5_T0_XT2_EXT3_EEENS1_16TensorSizeStrideIS8_Lj4EEEiS8_
; %bb.0:
	s_mov_b32 s4, s3
	s_load_dword s3, s[0:1], 0xadc
	s_add_u32 s6, s0, 0xad0
	s_mov_b32 s5, 0
	s_addc_u32 s7, s1, 0
	s_lshl_b64 s[4:5], s[4:5], 2
	s_waitcnt lgkmcnt(0)
	s_and_b32 s10, s3, 0xffff
	s_add_u32 s12, s0, s4
	s_addc_u32 s13, s1, s5
	s_load_dword s8, s[12:13], 0x808
	s_mul_i32 s2, s2, s10
	v_add_u32_e32 v0, s2, v0
	s_add_u32 s2, s12, 8
	s_addc_u32 s3, s13, 0
	s_waitcnt lgkmcnt(0)
	v_cmp_gt_u32_e32 vcc, s8, v0
	s_and_saveexec_b64 s[12:13], vcc
	s_cbranch_execz .LBB88_3
; %bb.1:
	s_add_u32 s12, s2, s4
	s_addc_u32 s13, s3, s5
	s_sub_u32 s2, 0, s4
	s_subb_u32 s3, 0, s5
	s_add_u32 s14, s12, s2
	s_addc_u32 s15, s13, s3
	s_load_dword s4, s[14:15], 0x600
	s_load_dwordx2 s[16:17], s[0:1], 0xac8
	s_load_dword s5, s[0:1], 0xaac
	s_load_dwordx2 s[2:3], s[0:1], 0xab8
	s_waitcnt lgkmcnt(0)
	s_cmp_eq_u32 s16, 1
	s_cselect_b32 s9, s4, s5
	v_cvt_f32_u32_e32 v1, s9
	s_load_dwordx2 s[4:5], s[0:1], 0x0
	s_load_dword s11, s[6:7], 0x0
	s_nop 0
	s_load_dwordx2 s[0:1], s[12:13], 0x0
	s_load_dword s16, s[14:15], 0x400
	s_sub_i32 s12, 0, s9
	v_rcp_iflag_f32_e32 v1, v1
	s_mov_b64 s[6:7], 0
	s_waitcnt lgkmcnt(0)
	s_mul_i32 s10, s11, s10
	s_mul_i32 s11, s16, s17
	v_mul_f32_e32 v1, 0x4f7ffffe, v1
	v_cvt_u32_f32_e32 v1, v1
	v_mul_lo_u32 v2, s12, v1
	v_mul_hi_u32 v2, v1, v2
	v_add_u32_e32 v2, v1, v2
	v_mov_b32_e32 v1, 0
.LBB88_2:                               ; =>This Inner Loop Header: Depth=1
	v_lshl_add_u64 v[4:5], v[0:1], 4, s[0:1]
	global_load_dwordx4 v[4:7], v[4:5], off
	v_mul_hi_u32 v3, v2, v0
	v_mul_lo_u32 v8, s9, v3
	v_not_b32_e32 v10, v3
	v_sub_u32_e32 v8, v0, v8
	v_add_u32_e32 v12, 1, v3
	v_mad_u64_u32 v[10:11], s[14:15], s9, v10, v[0:1]
	v_cmp_le_u32_e32 vcc, s9, v8
	v_mov_b32_e32 v9, v1
	s_nop 0
	v_cndmask_b32_e32 v3, v3, v12, vcc
	v_cndmask_b32_e32 v8, v8, v10, vcc
	v_add_u32_e32 v10, 1, v3
	v_cmp_le_u32_e32 vcc, s9, v8
	s_nop 1
	v_cndmask_b32_e32 v3, v3, v10, vcc
	v_mad_u64_u32 v[10:11], s[14:15], s12, v3, v[0:1]
	v_mul_lo_u32 v3, v3, s2
	v_add_u32_e32 v0, s10, v0
	v_mul_lo_u32 v8, v10, s3
	v_cmp_le_u32_e32 vcc, s8, v0
	v_add3_u32 v8, v3, s11, v8
	s_or_b64 s[6:7], vcc, s[6:7]
	v_lshl_add_u64 v[8:9], v[8:9], 4, s[4:5]
	s_waitcnt vmcnt(0)
	global_store_dwordx4 v[8:9], v[4:7], off
	s_andn2_b64 exec, exec, s[6:7]
	s_cbranch_execnz .LBB88_2
.LBB88_3:
	s_endpgm
	.section	.rodata,"a",@progbits
	.p2align	6, 0x0
	.amdhsa_kernel _ZN2at6native12_GLOBAL__N_126CatArrayBatchedCopy_contigINS1_10OpaqueTypeILj16EEEjLi2ELi128ELi1EEEvPT_NS1_25CatArrInputTensorMetadataIS5_T0_XT2_EXT3_EEENS1_16TensorSizeStrideIS8_Lj4EEEiS8_
		.amdhsa_group_segment_fixed_size 0
		.amdhsa_private_segment_fixed_size 0
		.amdhsa_kernarg_size 3024
		.amdhsa_user_sgpr_count 2
		.amdhsa_user_sgpr_dispatch_ptr 0
		.amdhsa_user_sgpr_queue_ptr 0
		.amdhsa_user_sgpr_kernarg_segment_ptr 1
		.amdhsa_user_sgpr_dispatch_id 0
		.amdhsa_user_sgpr_kernarg_preload_length 0
		.amdhsa_user_sgpr_kernarg_preload_offset 0
		.amdhsa_user_sgpr_private_segment_size 0
		.amdhsa_uses_dynamic_stack 0
		.amdhsa_enable_private_segment 0
		.amdhsa_system_sgpr_workgroup_id_x 1
		.amdhsa_system_sgpr_workgroup_id_y 1
		.amdhsa_system_sgpr_workgroup_id_z 0
		.amdhsa_system_sgpr_workgroup_info 0
		.amdhsa_system_vgpr_workitem_id 0
		.amdhsa_next_free_vgpr 13
		.amdhsa_next_free_sgpr 18
		.amdhsa_accum_offset 16
		.amdhsa_reserve_vcc 1
		.amdhsa_float_round_mode_32 0
		.amdhsa_float_round_mode_16_64 0
		.amdhsa_float_denorm_mode_32 3
		.amdhsa_float_denorm_mode_16_64 3
		.amdhsa_dx10_clamp 1
		.amdhsa_ieee_mode 1
		.amdhsa_fp16_overflow 0
		.amdhsa_tg_split 0
		.amdhsa_exception_fp_ieee_invalid_op 0
		.amdhsa_exception_fp_denorm_src 0
		.amdhsa_exception_fp_ieee_div_zero 0
		.amdhsa_exception_fp_ieee_overflow 0
		.amdhsa_exception_fp_ieee_underflow 0
		.amdhsa_exception_fp_ieee_inexact 0
		.amdhsa_exception_int_div_zero 0
	.end_amdhsa_kernel
	.section	.text._ZN2at6native12_GLOBAL__N_126CatArrayBatchedCopy_contigINS1_10OpaqueTypeILj16EEEjLi2ELi128ELi1EEEvPT_NS1_25CatArrInputTensorMetadataIS5_T0_XT2_EXT3_EEENS1_16TensorSizeStrideIS8_Lj4EEEiS8_,"axG",@progbits,_ZN2at6native12_GLOBAL__N_126CatArrayBatchedCopy_contigINS1_10OpaqueTypeILj16EEEjLi2ELi128ELi1EEEvPT_NS1_25CatArrInputTensorMetadataIS5_T0_XT2_EXT3_EEENS1_16TensorSizeStrideIS8_Lj4EEEiS8_,comdat
.Lfunc_end88:
	.size	_ZN2at6native12_GLOBAL__N_126CatArrayBatchedCopy_contigINS1_10OpaqueTypeILj16EEEjLi2ELi128ELi1EEEvPT_NS1_25CatArrInputTensorMetadataIS5_T0_XT2_EXT3_EEENS1_16TensorSizeStrideIS8_Lj4EEEiS8_, .Lfunc_end88-_ZN2at6native12_GLOBAL__N_126CatArrayBatchedCopy_contigINS1_10OpaqueTypeILj16EEEjLi2ELi128ELi1EEEvPT_NS1_25CatArrInputTensorMetadataIS5_T0_XT2_EXT3_EEENS1_16TensorSizeStrideIS8_Lj4EEEiS8_
                                        ; -- End function
	.set _ZN2at6native12_GLOBAL__N_126CatArrayBatchedCopy_contigINS1_10OpaqueTypeILj16EEEjLi2ELi128ELi1EEEvPT_NS1_25CatArrInputTensorMetadataIS5_T0_XT2_EXT3_EEENS1_16TensorSizeStrideIS8_Lj4EEEiS8_.num_vgpr, 13
	.set _ZN2at6native12_GLOBAL__N_126CatArrayBatchedCopy_contigINS1_10OpaqueTypeILj16EEEjLi2ELi128ELi1EEEvPT_NS1_25CatArrInputTensorMetadataIS5_T0_XT2_EXT3_EEENS1_16TensorSizeStrideIS8_Lj4EEEiS8_.num_agpr, 0
	.set _ZN2at6native12_GLOBAL__N_126CatArrayBatchedCopy_contigINS1_10OpaqueTypeILj16EEEjLi2ELi128ELi1EEEvPT_NS1_25CatArrInputTensorMetadataIS5_T0_XT2_EXT3_EEENS1_16TensorSizeStrideIS8_Lj4EEEiS8_.numbered_sgpr, 18
	.set _ZN2at6native12_GLOBAL__N_126CatArrayBatchedCopy_contigINS1_10OpaqueTypeILj16EEEjLi2ELi128ELi1EEEvPT_NS1_25CatArrInputTensorMetadataIS5_T0_XT2_EXT3_EEENS1_16TensorSizeStrideIS8_Lj4EEEiS8_.num_named_barrier, 0
	.set _ZN2at6native12_GLOBAL__N_126CatArrayBatchedCopy_contigINS1_10OpaqueTypeILj16EEEjLi2ELi128ELi1EEEvPT_NS1_25CatArrInputTensorMetadataIS5_T0_XT2_EXT3_EEENS1_16TensorSizeStrideIS8_Lj4EEEiS8_.private_seg_size, 0
	.set _ZN2at6native12_GLOBAL__N_126CatArrayBatchedCopy_contigINS1_10OpaqueTypeILj16EEEjLi2ELi128ELi1EEEvPT_NS1_25CatArrInputTensorMetadataIS5_T0_XT2_EXT3_EEENS1_16TensorSizeStrideIS8_Lj4EEEiS8_.uses_vcc, 1
	.set _ZN2at6native12_GLOBAL__N_126CatArrayBatchedCopy_contigINS1_10OpaqueTypeILj16EEEjLi2ELi128ELi1EEEvPT_NS1_25CatArrInputTensorMetadataIS5_T0_XT2_EXT3_EEENS1_16TensorSizeStrideIS8_Lj4EEEiS8_.uses_flat_scratch, 0
	.set _ZN2at6native12_GLOBAL__N_126CatArrayBatchedCopy_contigINS1_10OpaqueTypeILj16EEEjLi2ELi128ELi1EEEvPT_NS1_25CatArrInputTensorMetadataIS5_T0_XT2_EXT3_EEENS1_16TensorSizeStrideIS8_Lj4EEEiS8_.has_dyn_sized_stack, 0
	.set _ZN2at6native12_GLOBAL__N_126CatArrayBatchedCopy_contigINS1_10OpaqueTypeILj16EEEjLi2ELi128ELi1EEEvPT_NS1_25CatArrInputTensorMetadataIS5_T0_XT2_EXT3_EEENS1_16TensorSizeStrideIS8_Lj4EEEiS8_.has_recursion, 0
	.set _ZN2at6native12_GLOBAL__N_126CatArrayBatchedCopy_contigINS1_10OpaqueTypeILj16EEEjLi2ELi128ELi1EEEvPT_NS1_25CatArrInputTensorMetadataIS5_T0_XT2_EXT3_EEENS1_16TensorSizeStrideIS8_Lj4EEEiS8_.has_indirect_call, 0
	.section	.AMDGPU.csdata,"",@progbits
; Kernel info:
; codeLenInByte = 424
; TotalNumSgprs: 24
; NumVgprs: 13
; NumAgprs: 0
; TotalNumVgprs: 13
; ScratchSize: 0
; MemoryBound: 0
; FloatMode: 240
; IeeeMode: 1
; LDSByteSize: 0 bytes/workgroup (compile time only)
; SGPRBlocks: 2
; VGPRBlocks: 1
; NumSGPRsForWavesPerEU: 24
; NumVGPRsForWavesPerEU: 13
; AccumOffset: 16
; Occupancy: 8
; WaveLimiterHint : 1
; COMPUTE_PGM_RSRC2:SCRATCH_EN: 0
; COMPUTE_PGM_RSRC2:USER_SGPR: 2
; COMPUTE_PGM_RSRC2:TRAP_HANDLER: 0
; COMPUTE_PGM_RSRC2:TGID_X_EN: 1
; COMPUTE_PGM_RSRC2:TGID_Y_EN: 1
; COMPUTE_PGM_RSRC2:TGID_Z_EN: 0
; COMPUTE_PGM_RSRC2:TIDIG_COMP_CNT: 0
; COMPUTE_PGM_RSRC3_GFX90A:ACCUM_OFFSET: 3
; COMPUTE_PGM_RSRC3_GFX90A:TG_SPLIT: 0
	.section	.text._ZN2at6native12_GLOBAL__N_119CatArrayBatchedCopyINS1_10OpaqueTypeILj16EEEjLi2ELi128ELi1EEEvPT_NS1_25CatArrInputTensorMetadataIS5_T0_XT2_EXT3_EEENS1_16TensorSizeStrideIS8_Lj4EEEiS8_,"axG",@progbits,_ZN2at6native12_GLOBAL__N_119CatArrayBatchedCopyINS1_10OpaqueTypeILj16EEEjLi2ELi128ELi1EEEvPT_NS1_25CatArrInputTensorMetadataIS5_T0_XT2_EXT3_EEENS1_16TensorSizeStrideIS8_Lj4EEEiS8_,comdat
	.globl	_ZN2at6native12_GLOBAL__N_119CatArrayBatchedCopyINS1_10OpaqueTypeILj16EEEjLi2ELi128ELi1EEEvPT_NS1_25CatArrInputTensorMetadataIS5_T0_XT2_EXT3_EEENS1_16TensorSizeStrideIS8_Lj4EEEiS8_ ; -- Begin function _ZN2at6native12_GLOBAL__N_119CatArrayBatchedCopyINS1_10OpaqueTypeILj16EEEjLi2ELi128ELi1EEEvPT_NS1_25CatArrInputTensorMetadataIS5_T0_XT2_EXT3_EEENS1_16TensorSizeStrideIS8_Lj4EEEiS8_
	.p2align	8
	.type	_ZN2at6native12_GLOBAL__N_119CatArrayBatchedCopyINS1_10OpaqueTypeILj16EEEjLi2ELi128ELi1EEEvPT_NS1_25CatArrInputTensorMetadataIS5_T0_XT2_EXT3_EEENS1_16TensorSizeStrideIS8_Lj4EEEiS8_,@function
_ZN2at6native12_GLOBAL__N_119CatArrayBatchedCopyINS1_10OpaqueTypeILj16EEEjLi2ELi128ELi1EEEvPT_NS1_25CatArrInputTensorMetadataIS5_T0_XT2_EXT3_EEENS1_16TensorSizeStrideIS8_Lj4EEEiS8_: ; @_ZN2at6native12_GLOBAL__N_119CatArrayBatchedCopyINS1_10OpaqueTypeILj16EEEjLi2ELi128ELi1EEEvPT_NS1_25CatArrInputTensorMetadataIS5_T0_XT2_EXT3_EEENS1_16TensorSizeStrideIS8_Lj4EEEiS8_
; %bb.0:
	s_mov_b32 s6, s3
	s_load_dword s3, s[0:1], 0xadc
	s_or_b32 s10, s0, 8
	s_add_u32 s12, s0, 0xad0
	s_mov_b32 s7, 0
	s_addc_u32 s13, s1, 0
	s_waitcnt lgkmcnt(0)
	s_and_b32 s15, s3, 0xffff
	s_lshl_b64 s[8:9], s[6:7], 2
	s_add_u32 s4, s10, s8
	s_addc_u32 s5, s1, s9
	s_load_dword s14, s[4:5], 0x800
	s_mul_i32 s2, s2, s15
	v_add_u32_e32 v0, s2, v0
	s_waitcnt lgkmcnt(0)
	v_cmp_gt_u32_e32 vcc, s14, v0
	s_and_saveexec_b64 s[2:3], vcc
	s_cbranch_execz .LBB89_5
; %bb.1:
	s_add_u32 s16, s10, s6
	s_addc_u32 s17, s1, 0
	v_mov_b32_e32 v1, 0
	global_load_ubyte v2, v1, s[16:17] offset:2560
	s_mov_b32 s11, s1
	s_load_dwordx2 s[18:19], s[0:1], 0xac8
	s_load_dwordx2 s[2:3], s[0:1], 0x0
	;; [unrolled: 1-line block ×3, first 2 shown]
	s_load_dword s20, s[0:1], 0xa8c
	s_load_dword s21, s[0:1], 0xaac
	;; [unrolled: 1-line block ×3, first 2 shown]
	s_mul_hi_u32 s7, s6, 7
	s_mul_i32 s6, s6, 7
	s_waitcnt lgkmcnt(0)
	s_mul_i32 s15, s22, s15
	s_waitcnt vmcnt(0)
	v_and_b32_e32 v2, 1, v2
	v_cmp_eq_u32_e32 vcc, 1, v2
	s_xor_b64 s[0:1], vcc, -1
	s_add_u32 s12, s16, s6
	s_addc_u32 s13, s17, s7
	s_sub_u32 s6, 0, s8
	s_subb_u32 s7, 0, s9
	s_add_u32 s16, s12, s6
	s_addc_u32 s17, s13, s7
	s_load_dword s23, s[16:17], 0x600
	s_load_dwordx2 s[6:7], s[10:11], 0xa90
	s_load_dwordx2 s[8:9], s[12:13], 0x0
	s_load_dword s24, s[16:17], 0x400
	s_cmp_eq_u32 s18, 1
	s_waitcnt lgkmcnt(0)
	s_cselect_b32 s12, s23, s21
	s_cselect_b32 s13, s23, s20
	v_cvt_f32_u32_e32 v2, s12
	v_cvt_f32_u32_e32 v3, s13
	s_sub_i32 s17, 0, s12
	s_sub_i32 s18, 0, s13
	v_rcp_iflag_f32_e32 v2, v2
	v_rcp_iflag_f32_e32 v3, v3
	v_cndmask_b32_e64 v6, 0, 1, s[0:1]
	s_mov_b64 s[10:11], 0
	v_mul_f32_e32 v2, 0x4f7ffffe, v2
	v_mul_f32_e32 v3, 0x4f7ffffe, v3
	v_cvt_u32_f32_e32 v2, v2
	v_cvt_u32_f32_e32 v3, v3
	s_mul_i32 s16, s24, s19
	v_cmp_ne_u32_e64 s[0:1], 1, v6
	v_mul_lo_u32 v4, s17, v2
	v_mul_lo_u32 v5, s18, v3
	v_mul_hi_u32 v4, v2, v4
	v_mul_hi_u32 v5, v3, v5
	v_add_u32_e32 v4, v2, v4
	v_add_u32_e32 v5, v3, v5
	s_branch .LBB89_3
.LBB89_2:                               ;   in Loop: Header=BB89_3 Depth=1
	v_lshl_add_u64 v[2:3], v[2:3], 4, s[8:9]
	global_load_dwordx4 v[6:9], v[2:3], off
	v_mul_hi_u32 v10, v4, v0
	v_mad_u64_u32 v[2:3], s[20:21], s17, v10, v[0:1]
	v_not_b32_e32 v11, v10
	v_add_u32_e32 v3, 1, v10
	v_cmp_le_u32_e32 vcc, s12, v2
	s_nop 1
	v_cndmask_b32_e32 v3, v10, v3, vcc
	v_mad_u64_u32 v[10:11], s[20:21], s12, v11, v[0:1]
	v_cndmask_b32_e32 v2, v2, v10, vcc
	v_add_u32_e32 v10, 1, v3
	v_cmp_le_u32_e32 vcc, s12, v2
	s_nop 1
	v_cndmask_b32_e32 v10, v3, v10, vcc
	v_mad_u64_u32 v[2:3], s[20:21], s17, v10, v[0:1]
	v_mul_lo_u32 v2, v2, s5
	v_mul_lo_u32 v3, v10, s4
	v_add_u32_e32 v0, s15, v0
	v_add3_u32 v2, v2, v3, s16
	v_mov_b32_e32 v3, v1
	v_cmp_le_u32_e32 vcc, s14, v0
	v_lshl_add_u64 v[2:3], v[2:3], 4, s[2:3]
	s_or_b64 s[10:11], vcc, s[10:11]
	s_waitcnt vmcnt(0)
	global_store_dwordx4 v[2:3], v[6:9], off
	s_andn2_b64 exec, exec, s[10:11]
	s_cbranch_execz .LBB89_5
.LBB89_3:                               ; =>This Inner Loop Header: Depth=1
	s_and_b64 vcc, exec, s[0:1]
	v_mov_b64_e32 v[2:3], v[0:1]
	s_cbranch_vccnz .LBB89_2
; %bb.4:                                ;   in Loop: Header=BB89_3 Depth=1
	v_mul_hi_u32 v6, v5, v0
	v_mad_u64_u32 v[2:3], s[20:21], s18, v6, v[0:1]
	v_not_b32_e32 v7, v6
	v_add_u32_e32 v3, 1, v6
	v_cmp_le_u32_e32 vcc, s13, v2
	s_nop 1
	v_cndmask_b32_e32 v3, v6, v3, vcc
	v_mad_u64_u32 v[6:7], s[20:21], s13, v7, v[0:1]
	v_cndmask_b32_e32 v2, v2, v6, vcc
	v_add_u32_e32 v6, 1, v3
	v_cmp_le_u32_e32 vcc, s13, v2
	s_nop 1
	v_cndmask_b32_e32 v6, v3, v6, vcc
	v_mad_u64_u32 v[2:3], s[20:21], s18, v6, v[0:1]
	v_mul_lo_u32 v6, v6, s6
	v_mad_u64_u32 v[2:3], s[20:21], v2, s7, v[6:7]
	v_mov_b32_e32 v3, v1
	s_branch .LBB89_2
.LBB89_5:
	s_endpgm
	.section	.rodata,"a",@progbits
	.p2align	6, 0x0
	.amdhsa_kernel _ZN2at6native12_GLOBAL__N_119CatArrayBatchedCopyINS1_10OpaqueTypeILj16EEEjLi2ELi128ELi1EEEvPT_NS1_25CatArrInputTensorMetadataIS5_T0_XT2_EXT3_EEENS1_16TensorSizeStrideIS8_Lj4EEEiS8_
		.amdhsa_group_segment_fixed_size 0
		.amdhsa_private_segment_fixed_size 0
		.amdhsa_kernarg_size 3024
		.amdhsa_user_sgpr_count 2
		.amdhsa_user_sgpr_dispatch_ptr 0
		.amdhsa_user_sgpr_queue_ptr 0
		.amdhsa_user_sgpr_kernarg_segment_ptr 1
		.amdhsa_user_sgpr_dispatch_id 0
		.amdhsa_user_sgpr_kernarg_preload_length 0
		.amdhsa_user_sgpr_kernarg_preload_offset 0
		.amdhsa_user_sgpr_private_segment_size 0
		.amdhsa_uses_dynamic_stack 0
		.amdhsa_enable_private_segment 0
		.amdhsa_system_sgpr_workgroup_id_x 1
		.amdhsa_system_sgpr_workgroup_id_y 1
		.amdhsa_system_sgpr_workgroup_id_z 0
		.amdhsa_system_sgpr_workgroup_info 0
		.amdhsa_system_vgpr_workitem_id 0
		.amdhsa_next_free_vgpr 12
		.amdhsa_next_free_sgpr 25
		.amdhsa_accum_offset 12
		.amdhsa_reserve_vcc 1
		.amdhsa_float_round_mode_32 0
		.amdhsa_float_round_mode_16_64 0
		.amdhsa_float_denorm_mode_32 3
		.amdhsa_float_denorm_mode_16_64 3
		.amdhsa_dx10_clamp 1
		.amdhsa_ieee_mode 1
		.amdhsa_fp16_overflow 0
		.amdhsa_tg_split 0
		.amdhsa_exception_fp_ieee_invalid_op 0
		.amdhsa_exception_fp_denorm_src 0
		.amdhsa_exception_fp_ieee_div_zero 0
		.amdhsa_exception_fp_ieee_overflow 0
		.amdhsa_exception_fp_ieee_underflow 0
		.amdhsa_exception_fp_ieee_inexact 0
		.amdhsa_exception_int_div_zero 0
	.end_amdhsa_kernel
	.section	.text._ZN2at6native12_GLOBAL__N_119CatArrayBatchedCopyINS1_10OpaqueTypeILj16EEEjLi2ELi128ELi1EEEvPT_NS1_25CatArrInputTensorMetadataIS5_T0_XT2_EXT3_EEENS1_16TensorSizeStrideIS8_Lj4EEEiS8_,"axG",@progbits,_ZN2at6native12_GLOBAL__N_119CatArrayBatchedCopyINS1_10OpaqueTypeILj16EEEjLi2ELi128ELi1EEEvPT_NS1_25CatArrInputTensorMetadataIS5_T0_XT2_EXT3_EEENS1_16TensorSizeStrideIS8_Lj4EEEiS8_,comdat
.Lfunc_end89:
	.size	_ZN2at6native12_GLOBAL__N_119CatArrayBatchedCopyINS1_10OpaqueTypeILj16EEEjLi2ELi128ELi1EEEvPT_NS1_25CatArrInputTensorMetadataIS5_T0_XT2_EXT3_EEENS1_16TensorSizeStrideIS8_Lj4EEEiS8_, .Lfunc_end89-_ZN2at6native12_GLOBAL__N_119CatArrayBatchedCopyINS1_10OpaqueTypeILj16EEEjLi2ELi128ELi1EEEvPT_NS1_25CatArrInputTensorMetadataIS5_T0_XT2_EXT3_EEENS1_16TensorSizeStrideIS8_Lj4EEEiS8_
                                        ; -- End function
	.set _ZN2at6native12_GLOBAL__N_119CatArrayBatchedCopyINS1_10OpaqueTypeILj16EEEjLi2ELi128ELi1EEEvPT_NS1_25CatArrInputTensorMetadataIS5_T0_XT2_EXT3_EEENS1_16TensorSizeStrideIS8_Lj4EEEiS8_.num_vgpr, 12
	.set _ZN2at6native12_GLOBAL__N_119CatArrayBatchedCopyINS1_10OpaqueTypeILj16EEEjLi2ELi128ELi1EEEvPT_NS1_25CatArrInputTensorMetadataIS5_T0_XT2_EXT3_EEENS1_16TensorSizeStrideIS8_Lj4EEEiS8_.num_agpr, 0
	.set _ZN2at6native12_GLOBAL__N_119CatArrayBatchedCopyINS1_10OpaqueTypeILj16EEEjLi2ELi128ELi1EEEvPT_NS1_25CatArrInputTensorMetadataIS5_T0_XT2_EXT3_EEENS1_16TensorSizeStrideIS8_Lj4EEEiS8_.numbered_sgpr, 25
	.set _ZN2at6native12_GLOBAL__N_119CatArrayBatchedCopyINS1_10OpaqueTypeILj16EEEjLi2ELi128ELi1EEEvPT_NS1_25CatArrInputTensorMetadataIS5_T0_XT2_EXT3_EEENS1_16TensorSizeStrideIS8_Lj4EEEiS8_.num_named_barrier, 0
	.set _ZN2at6native12_GLOBAL__N_119CatArrayBatchedCopyINS1_10OpaqueTypeILj16EEEjLi2ELi128ELi1EEEvPT_NS1_25CatArrInputTensorMetadataIS5_T0_XT2_EXT3_EEENS1_16TensorSizeStrideIS8_Lj4EEEiS8_.private_seg_size, 0
	.set _ZN2at6native12_GLOBAL__N_119CatArrayBatchedCopyINS1_10OpaqueTypeILj16EEEjLi2ELi128ELi1EEEvPT_NS1_25CatArrInputTensorMetadataIS5_T0_XT2_EXT3_EEENS1_16TensorSizeStrideIS8_Lj4EEEiS8_.uses_vcc, 1
	.set _ZN2at6native12_GLOBAL__N_119CatArrayBatchedCopyINS1_10OpaqueTypeILj16EEEjLi2ELi128ELi1EEEvPT_NS1_25CatArrInputTensorMetadataIS5_T0_XT2_EXT3_EEENS1_16TensorSizeStrideIS8_Lj4EEEiS8_.uses_flat_scratch, 0
	.set _ZN2at6native12_GLOBAL__N_119CatArrayBatchedCopyINS1_10OpaqueTypeILj16EEEjLi2ELi128ELi1EEEvPT_NS1_25CatArrInputTensorMetadataIS5_T0_XT2_EXT3_EEENS1_16TensorSizeStrideIS8_Lj4EEEiS8_.has_dyn_sized_stack, 0
	.set _ZN2at6native12_GLOBAL__N_119CatArrayBatchedCopyINS1_10OpaqueTypeILj16EEEjLi2ELi128ELi1EEEvPT_NS1_25CatArrInputTensorMetadataIS5_T0_XT2_EXT3_EEENS1_16TensorSizeStrideIS8_Lj4EEEiS8_.has_recursion, 0
	.set _ZN2at6native12_GLOBAL__N_119CatArrayBatchedCopyINS1_10OpaqueTypeILj16EEEjLi2ELi128ELi1EEEvPT_NS1_25CatArrInputTensorMetadataIS5_T0_XT2_EXT3_EEENS1_16TensorSizeStrideIS8_Lj4EEEiS8_.has_indirect_call, 0
	.section	.AMDGPU.csdata,"",@progbits
; Kernel info:
; codeLenInByte = 648
; TotalNumSgprs: 31
; NumVgprs: 12
; NumAgprs: 0
; TotalNumVgprs: 12
; ScratchSize: 0
; MemoryBound: 0
; FloatMode: 240
; IeeeMode: 1
; LDSByteSize: 0 bytes/workgroup (compile time only)
; SGPRBlocks: 3
; VGPRBlocks: 1
; NumSGPRsForWavesPerEU: 31
; NumVGPRsForWavesPerEU: 12
; AccumOffset: 12
; Occupancy: 8
; WaveLimiterHint : 1
; COMPUTE_PGM_RSRC2:SCRATCH_EN: 0
; COMPUTE_PGM_RSRC2:USER_SGPR: 2
; COMPUTE_PGM_RSRC2:TRAP_HANDLER: 0
; COMPUTE_PGM_RSRC2:TGID_X_EN: 1
; COMPUTE_PGM_RSRC2:TGID_Y_EN: 1
; COMPUTE_PGM_RSRC2:TGID_Z_EN: 0
; COMPUTE_PGM_RSRC2:TIDIG_COMP_CNT: 0
; COMPUTE_PGM_RSRC3_GFX90A:ACCUM_OFFSET: 2
; COMPUTE_PGM_RSRC3_GFX90A:TG_SPLIT: 0
	.section	.text._ZN2at6native12_GLOBAL__N_130CatArrayBatchedCopy_vectorizedINS1_10OpaqueTypeILj16EEEjLi3ELi128ELi1ELi16ELi1EEEvPcNS1_25CatArrInputTensorMetadataIT_T0_XT2_EXT3_EEENS1_16TensorSizeStrideIS8_Lj4EEEiS8_,"axG",@progbits,_ZN2at6native12_GLOBAL__N_130CatArrayBatchedCopy_vectorizedINS1_10OpaqueTypeILj16EEEjLi3ELi128ELi1ELi16ELi1EEEvPcNS1_25CatArrInputTensorMetadataIT_T0_XT2_EXT3_EEENS1_16TensorSizeStrideIS8_Lj4EEEiS8_,comdat
	.globl	_ZN2at6native12_GLOBAL__N_130CatArrayBatchedCopy_vectorizedINS1_10OpaqueTypeILj16EEEjLi3ELi128ELi1ELi16ELi1EEEvPcNS1_25CatArrInputTensorMetadataIT_T0_XT2_EXT3_EEENS1_16TensorSizeStrideIS8_Lj4EEEiS8_ ; -- Begin function _ZN2at6native12_GLOBAL__N_130CatArrayBatchedCopy_vectorizedINS1_10OpaqueTypeILj16EEEjLi3ELi128ELi1ELi16ELi1EEEvPcNS1_25CatArrInputTensorMetadataIT_T0_XT2_EXT3_EEENS1_16TensorSizeStrideIS8_Lj4EEEiS8_
	.p2align	8
	.type	_ZN2at6native12_GLOBAL__N_130CatArrayBatchedCopy_vectorizedINS1_10OpaqueTypeILj16EEEjLi3ELi128ELi1ELi16ELi1EEEvPcNS1_25CatArrInputTensorMetadataIT_T0_XT2_EXT3_EEENS1_16TensorSizeStrideIS8_Lj4EEEiS8_,@function
_ZN2at6native12_GLOBAL__N_130CatArrayBatchedCopy_vectorizedINS1_10OpaqueTypeILj16EEEjLi3ELi128ELi1ELi16ELi1EEEvPcNS1_25CatArrInputTensorMetadataIT_T0_XT2_EXT3_EEENS1_16TensorSizeStrideIS8_Lj4EEEiS8_: ; @_ZN2at6native12_GLOBAL__N_130CatArrayBatchedCopy_vectorizedINS1_10OpaqueTypeILj16EEEjLi3ELi128ELi1ELi16ELi1EEEvPcNS1_25CatArrInputTensorMetadataIT_T0_XT2_EXT3_EEENS1_16TensorSizeStrideIS8_Lj4EEEiS8_
; %bb.0:
	s_mov_b32 s8, s3
	s_load_dword s3, s[0:1], 0xadc
	s_add_u32 s10, s0, 0xad0
	s_mov_b32 s9, 0
	s_addc_u32 s11, s1, 0
	s_lshl_b64 s[12:13], s[8:9], 2
	s_waitcnt lgkmcnt(0)
	s_and_b32 s15, s3, 0xffff
	s_add_u32 s4, s0, s12
	s_addc_u32 s5, s1, s13
	s_load_dword s14, s[4:5], 0x808
	s_mul_i32 s2, s2, s15
	v_add_u32_e32 v0, s2, v0
	s_add_u32 s2, s4, 8
	s_addc_u32 s3, s5, 0
	s_waitcnt lgkmcnt(0)
	v_cmp_gt_u32_e32 vcc, s14, v0
	s_and_saveexec_b64 s[4:5], vcc
	s_cbranch_execz .LBB90_3
; %bb.1:
	s_add_u32 s18, s2, s12
	s_addc_u32 s19, s3, s13
	s_load_dwordx2 s[16:17], s[0:1], 0xac8
	s_load_dwordx4 s[4:7], s[0:1], 0xab8
	s_sub_u32 s2, 0, s12
	s_subb_u32 s3, 0, s13
	s_add_u32 s12, s18, s2
	s_addc_u32 s13, s19, s3
	s_load_dwordx2 s[2:3], s[18:19], 0x0
	s_waitcnt lgkmcnt(0)
	s_load_dword s7, s[12:13], 0x400
	s_load_dword s24, s[12:13], 0x600
	s_load_dwordx2 s[20:21], s[0:1], 0x0
	s_load_dwordx2 s[22:23], s[0:1], 0xaac
	s_load_dword s25, s[10:11], 0x0
	s_waitcnt lgkmcnt(0)
	s_mul_i32 s8, s7, s17
	s_lshl_b64 s[8:9], s[8:9], 4
	s_mul_i32 s24, s24, s17
	s_cmp_eq_u32 s16, 2
	s_cselect_b32 s7, s24, s23
	v_cvt_f32_u32_e32 v1, s7
	s_cmp_eq_u32 s16, 1
	s_cselect_b32 s11, s24, s22
	v_cvt_f32_u32_e32 v2, s11
	v_rcp_iflag_f32_e32 v1, v1
	s_add_u32 s8, s20, s8
	s_addc_u32 s9, s21, s9
	v_rcp_iflag_f32_e32 v2, v2
	v_mul_f32_e32 v1, 0x4f7ffffe, v1
	v_cvt_u32_f32_e32 v1, v1
	s_sub_i32 s12, 0, s7
	v_mul_f32_e32 v2, 0x4f7ffffe, v2
	v_cvt_u32_f32_e32 v4, v2
	v_mul_lo_u32 v3, s12, v1
	v_mul_hi_u32 v3, v1, v3
	s_sub_i32 s13, 0, s11
	v_add_u32_e32 v2, v1, v3
	v_mul_lo_u32 v3, s13, v4
	v_mul_hi_u32 v3, v4, v3
	s_mov_b64 s[0:1], 0
	s_mul_i32 s10, s25, s15
	v_mov_b32_e32 v1, 0
	v_add_u32_e32 v3, v4, v3
.LBB90_2:                               ; =>This Inner Loop Header: Depth=1
	v_lshl_add_u64 v[4:5], v[0:1], 4, s[2:3]
	global_load_dwordx4 v[4:7], v[4:5], off
	v_mul_hi_u32 v8, v2, v0
	v_mul_lo_u32 v10, s7, v8
	v_not_b32_e32 v11, v8
	v_sub_u32_e32 v13, v0, v10
	v_add_u32_e32 v12, 1, v8
	v_mad_u64_u32 v[10:11], s[16:17], s7, v11, v[0:1]
	v_cmp_le_u32_e32 vcc, s7, v13
	v_mov_b32_e32 v9, v1
	s_nop 0
	v_cndmask_b32_e32 v8, v8, v12, vcc
	v_cndmask_b32_e32 v10, v13, v10, vcc
	v_add_u32_e32 v11, 1, v8
	v_cmp_le_u32_e32 vcc, s7, v10
	s_nop 1
	v_cndmask_b32_e32 v8, v8, v11, vcc
	v_mad_u64_u32 v[10:11], s[16:17], s12, v8, v[0:1]
	v_mul_hi_u32 v11, v8, v3
	v_add_u32_e32 v0, s10, v0
	v_mul_lo_u32 v12, v11, s11
	v_cmp_le_u32_e32 vcc, s14, v0
	v_sub_u32_e32 v12, v8, v12
	v_add_u32_e32 v13, 1, v11
	s_or_b64 s[0:1], vcc, s[0:1]
	v_cmp_le_u32_e32 vcc, s11, v12
	v_mul_lo_u32 v10, v10, s6
	s_nop 0
	v_cndmask_b32_e32 v11, v11, v13, vcc
	v_subrev_u32_e32 v13, s11, v12
	v_cndmask_b32_e32 v12, v12, v13, vcc
	v_add_u32_e32 v13, 1, v11
	v_cmp_le_u32_e32 vcc, s11, v12
	s_nop 1
	v_cndmask_b32_e32 v11, v11, v13, vcc
	v_mul_lo_u32 v12, v11, s11
	v_sub_u32_e32 v8, v8, v12
	v_mul_lo_u32 v11, v11, s4
	v_mul_lo_u32 v8, v8, s5
	v_add3_u32 v8, v10, v11, v8
	v_lshl_add_u64 v[8:9], v[8:9], 4, s[8:9]
	s_waitcnt vmcnt(0)
	global_store_dwordx4 v[8:9], v[4:7], off
	s_andn2_b64 exec, exec, s[0:1]
	s_cbranch_execnz .LBB90_2
.LBB90_3:
	s_endpgm
	.section	.rodata,"a",@progbits
	.p2align	6, 0x0
	.amdhsa_kernel _ZN2at6native12_GLOBAL__N_130CatArrayBatchedCopy_vectorizedINS1_10OpaqueTypeILj16EEEjLi3ELi128ELi1ELi16ELi1EEEvPcNS1_25CatArrInputTensorMetadataIT_T0_XT2_EXT3_EEENS1_16TensorSizeStrideIS8_Lj4EEEiS8_
		.amdhsa_group_segment_fixed_size 0
		.amdhsa_private_segment_fixed_size 0
		.amdhsa_kernarg_size 3024
		.amdhsa_user_sgpr_count 2
		.amdhsa_user_sgpr_dispatch_ptr 0
		.amdhsa_user_sgpr_queue_ptr 0
		.amdhsa_user_sgpr_kernarg_segment_ptr 1
		.amdhsa_user_sgpr_dispatch_id 0
		.amdhsa_user_sgpr_kernarg_preload_length 0
		.amdhsa_user_sgpr_kernarg_preload_offset 0
		.amdhsa_user_sgpr_private_segment_size 0
		.amdhsa_uses_dynamic_stack 0
		.amdhsa_enable_private_segment 0
		.amdhsa_system_sgpr_workgroup_id_x 1
		.amdhsa_system_sgpr_workgroup_id_y 1
		.amdhsa_system_sgpr_workgroup_id_z 0
		.amdhsa_system_sgpr_workgroup_info 0
		.amdhsa_system_vgpr_workitem_id 0
		.amdhsa_next_free_vgpr 14
		.amdhsa_next_free_sgpr 26
		.amdhsa_accum_offset 16
		.amdhsa_reserve_vcc 1
		.amdhsa_float_round_mode_32 0
		.amdhsa_float_round_mode_16_64 0
		.amdhsa_float_denorm_mode_32 3
		.amdhsa_float_denorm_mode_16_64 3
		.amdhsa_dx10_clamp 1
		.amdhsa_ieee_mode 1
		.amdhsa_fp16_overflow 0
		.amdhsa_tg_split 0
		.amdhsa_exception_fp_ieee_invalid_op 0
		.amdhsa_exception_fp_denorm_src 0
		.amdhsa_exception_fp_ieee_div_zero 0
		.amdhsa_exception_fp_ieee_overflow 0
		.amdhsa_exception_fp_ieee_underflow 0
		.amdhsa_exception_fp_ieee_inexact 0
		.amdhsa_exception_int_div_zero 0
	.end_amdhsa_kernel
	.section	.text._ZN2at6native12_GLOBAL__N_130CatArrayBatchedCopy_vectorizedINS1_10OpaqueTypeILj16EEEjLi3ELi128ELi1ELi16ELi1EEEvPcNS1_25CatArrInputTensorMetadataIT_T0_XT2_EXT3_EEENS1_16TensorSizeStrideIS8_Lj4EEEiS8_,"axG",@progbits,_ZN2at6native12_GLOBAL__N_130CatArrayBatchedCopy_vectorizedINS1_10OpaqueTypeILj16EEEjLi3ELi128ELi1ELi16ELi1EEEvPcNS1_25CatArrInputTensorMetadataIT_T0_XT2_EXT3_EEENS1_16TensorSizeStrideIS8_Lj4EEEiS8_,comdat
.Lfunc_end90:
	.size	_ZN2at6native12_GLOBAL__N_130CatArrayBatchedCopy_vectorizedINS1_10OpaqueTypeILj16EEEjLi3ELi128ELi1ELi16ELi1EEEvPcNS1_25CatArrInputTensorMetadataIT_T0_XT2_EXT3_EEENS1_16TensorSizeStrideIS8_Lj4EEEiS8_, .Lfunc_end90-_ZN2at6native12_GLOBAL__N_130CatArrayBatchedCopy_vectorizedINS1_10OpaqueTypeILj16EEEjLi3ELi128ELi1ELi16ELi1EEEvPcNS1_25CatArrInputTensorMetadataIT_T0_XT2_EXT3_EEENS1_16TensorSizeStrideIS8_Lj4EEEiS8_
                                        ; -- End function
	.set _ZN2at6native12_GLOBAL__N_130CatArrayBatchedCopy_vectorizedINS1_10OpaqueTypeILj16EEEjLi3ELi128ELi1ELi16ELi1EEEvPcNS1_25CatArrInputTensorMetadataIT_T0_XT2_EXT3_EEENS1_16TensorSizeStrideIS8_Lj4EEEiS8_.num_vgpr, 14
	.set _ZN2at6native12_GLOBAL__N_130CatArrayBatchedCopy_vectorizedINS1_10OpaqueTypeILj16EEEjLi3ELi128ELi1ELi16ELi1EEEvPcNS1_25CatArrInputTensorMetadataIT_T0_XT2_EXT3_EEENS1_16TensorSizeStrideIS8_Lj4EEEiS8_.num_agpr, 0
	.set _ZN2at6native12_GLOBAL__N_130CatArrayBatchedCopy_vectorizedINS1_10OpaqueTypeILj16EEEjLi3ELi128ELi1ELi16ELi1EEEvPcNS1_25CatArrInputTensorMetadataIT_T0_XT2_EXT3_EEENS1_16TensorSizeStrideIS8_Lj4EEEiS8_.numbered_sgpr, 26
	.set _ZN2at6native12_GLOBAL__N_130CatArrayBatchedCopy_vectorizedINS1_10OpaqueTypeILj16EEEjLi3ELi128ELi1ELi16ELi1EEEvPcNS1_25CatArrInputTensorMetadataIT_T0_XT2_EXT3_EEENS1_16TensorSizeStrideIS8_Lj4EEEiS8_.num_named_barrier, 0
	.set _ZN2at6native12_GLOBAL__N_130CatArrayBatchedCopy_vectorizedINS1_10OpaqueTypeILj16EEEjLi3ELi128ELi1ELi16ELi1EEEvPcNS1_25CatArrInputTensorMetadataIT_T0_XT2_EXT3_EEENS1_16TensorSizeStrideIS8_Lj4EEEiS8_.private_seg_size, 0
	.set _ZN2at6native12_GLOBAL__N_130CatArrayBatchedCopy_vectorizedINS1_10OpaqueTypeILj16EEEjLi3ELi128ELi1ELi16ELi1EEEvPcNS1_25CatArrInputTensorMetadataIT_T0_XT2_EXT3_EEENS1_16TensorSizeStrideIS8_Lj4EEEiS8_.uses_vcc, 1
	.set _ZN2at6native12_GLOBAL__N_130CatArrayBatchedCopy_vectorizedINS1_10OpaqueTypeILj16EEEjLi3ELi128ELi1ELi16ELi1EEEvPcNS1_25CatArrInputTensorMetadataIT_T0_XT2_EXT3_EEENS1_16TensorSizeStrideIS8_Lj4EEEiS8_.uses_flat_scratch, 0
	.set _ZN2at6native12_GLOBAL__N_130CatArrayBatchedCopy_vectorizedINS1_10OpaqueTypeILj16EEEjLi3ELi128ELi1ELi16ELi1EEEvPcNS1_25CatArrInputTensorMetadataIT_T0_XT2_EXT3_EEENS1_16TensorSizeStrideIS8_Lj4EEEiS8_.has_dyn_sized_stack, 0
	.set _ZN2at6native12_GLOBAL__N_130CatArrayBatchedCopy_vectorizedINS1_10OpaqueTypeILj16EEEjLi3ELi128ELi1ELi16ELi1EEEvPcNS1_25CatArrInputTensorMetadataIT_T0_XT2_EXT3_EEENS1_16TensorSizeStrideIS8_Lj4EEEiS8_.has_recursion, 0
	.set _ZN2at6native12_GLOBAL__N_130CatArrayBatchedCopy_vectorizedINS1_10OpaqueTypeILj16EEEjLi3ELi128ELi1ELi16ELi1EEEvPcNS1_25CatArrInputTensorMetadataIT_T0_XT2_EXT3_EEENS1_16TensorSizeStrideIS8_Lj4EEEiS8_.has_indirect_call, 0
	.section	.AMDGPU.csdata,"",@progbits
; Kernel info:
; codeLenInByte = 568
; TotalNumSgprs: 32
; NumVgprs: 14
; NumAgprs: 0
; TotalNumVgprs: 14
; ScratchSize: 0
; MemoryBound: 0
; FloatMode: 240
; IeeeMode: 1
; LDSByteSize: 0 bytes/workgroup (compile time only)
; SGPRBlocks: 3
; VGPRBlocks: 1
; NumSGPRsForWavesPerEU: 32
; NumVGPRsForWavesPerEU: 14
; AccumOffset: 16
; Occupancy: 8
; WaveLimiterHint : 1
; COMPUTE_PGM_RSRC2:SCRATCH_EN: 0
; COMPUTE_PGM_RSRC2:USER_SGPR: 2
; COMPUTE_PGM_RSRC2:TRAP_HANDLER: 0
; COMPUTE_PGM_RSRC2:TGID_X_EN: 1
; COMPUTE_PGM_RSRC2:TGID_Y_EN: 1
; COMPUTE_PGM_RSRC2:TGID_Z_EN: 0
; COMPUTE_PGM_RSRC2:TIDIG_COMP_CNT: 0
; COMPUTE_PGM_RSRC3_GFX90A:ACCUM_OFFSET: 3
; COMPUTE_PGM_RSRC3_GFX90A:TG_SPLIT: 0
	.section	.text._ZN2at6native12_GLOBAL__N_135CatArrayBatchedCopy_alignedK_contigINS1_10OpaqueTypeILj16EEEjLi3ELi128ELi1ELi16EEEvPT_NS1_25CatArrInputTensorMetadataIS5_T0_XT2_EXT3_EEENS1_16TensorSizeStrideIS8_Lj4EEEiS8_,"axG",@progbits,_ZN2at6native12_GLOBAL__N_135CatArrayBatchedCopy_alignedK_contigINS1_10OpaqueTypeILj16EEEjLi3ELi128ELi1ELi16EEEvPT_NS1_25CatArrInputTensorMetadataIS5_T0_XT2_EXT3_EEENS1_16TensorSizeStrideIS8_Lj4EEEiS8_,comdat
	.globl	_ZN2at6native12_GLOBAL__N_135CatArrayBatchedCopy_alignedK_contigINS1_10OpaqueTypeILj16EEEjLi3ELi128ELi1ELi16EEEvPT_NS1_25CatArrInputTensorMetadataIS5_T0_XT2_EXT3_EEENS1_16TensorSizeStrideIS8_Lj4EEEiS8_ ; -- Begin function _ZN2at6native12_GLOBAL__N_135CatArrayBatchedCopy_alignedK_contigINS1_10OpaqueTypeILj16EEEjLi3ELi128ELi1ELi16EEEvPT_NS1_25CatArrInputTensorMetadataIS5_T0_XT2_EXT3_EEENS1_16TensorSizeStrideIS8_Lj4EEEiS8_
	.p2align	8
	.type	_ZN2at6native12_GLOBAL__N_135CatArrayBatchedCopy_alignedK_contigINS1_10OpaqueTypeILj16EEEjLi3ELi128ELi1ELi16EEEvPT_NS1_25CatArrInputTensorMetadataIS5_T0_XT2_EXT3_EEENS1_16TensorSizeStrideIS8_Lj4EEEiS8_,@function
_ZN2at6native12_GLOBAL__N_135CatArrayBatchedCopy_alignedK_contigINS1_10OpaqueTypeILj16EEEjLi3ELi128ELi1ELi16EEEvPT_NS1_25CatArrInputTensorMetadataIS5_T0_XT2_EXT3_EEENS1_16TensorSizeStrideIS8_Lj4EEEiS8_: ; @_ZN2at6native12_GLOBAL__N_135CatArrayBatchedCopy_alignedK_contigINS1_10OpaqueTypeILj16EEEjLi3ELi128ELi1ELi16EEEvPT_NS1_25CatArrInputTensorMetadataIS5_T0_XT2_EXT3_EEENS1_16TensorSizeStrideIS8_Lj4EEEiS8_
; %bb.0:
	s_mov_b32 s4, s3
	s_load_dword s3, s[0:1], 0xadc
	s_add_u32 s12, s0, 0xad0
	s_mov_b32 s5, 0
	s_addc_u32 s13, s1, 0
	s_lshl_b64 s[14:15], s[4:5], 2
	s_waitcnt lgkmcnt(0)
	s_and_b32 s18, s3, 0xffff
	s_add_u32 s4, s0, s14
	s_addc_u32 s5, s1, s15
	s_load_dword s16, s[4:5], 0x808
	s_mul_i32 s2, s2, s18
	v_add_u32_e32 v0, s2, v0
	s_add_u32 s17, s4, 8
	s_addc_u32 s19, s5, 0
	s_waitcnt lgkmcnt(0)
	v_cmp_gt_u32_e32 vcc, s16, v0
	s_and_saveexec_b64 s[2:3], vcc
	s_cbranch_execz .LBB91_6
; %bb.1:
	s_add_u32 s20, s17, s14
	s_addc_u32 s21, s19, s15
	s_load_dwordx2 s[8:9], s[0:1], 0xac8
	s_load_dwordx4 s[4:7], s[0:1], 0xab8
	s_load_dwordx2 s[2:3], s[0:1], 0x0
	s_load_dwordx2 s[10:11], s[0:1], 0xaac
	s_sub_u32 s0, 0, s14
	s_subb_u32 s1, 0, s15
	s_add_u32 s14, s20, s0
	s_addc_u32 s15, s21, s1
	s_load_dwordx2 s[0:1], s[20:21], 0x0
	s_waitcnt lgkmcnt(0)
	s_load_dword s7, s[14:15], 0x600
	s_load_dword s22, s[14:15], 0x400
	s_cmp_eq_u32 s8, 2
	s_load_dword s12, s[12:13], 0x0
	s_mov_b32 s14, s5
	s_waitcnt lgkmcnt(0)
	s_cselect_b32 s17, s7, s11
	s_cmp_eq_u32 s8, 1
	s_cselect_b32 s19, s7, s10
	v_cvt_f32_u32_e32 v1, s17
	v_cvt_f32_u32_e32 v2, s19
	s_sub_i32 s20, 0, s17
	s_sub_i32 s21, 0, s19
	v_rcp_iflag_f32_e32 v1, v1
	v_rcp_iflag_f32_e32 v2, v2
	s_mov_b32 s15, s6
	s_mul_i32 s18, s12, s18
	v_mul_f32_e32 v1, 0x4f7ffffe, v1
	v_mul_f32_e32 v2, 0x4f7ffffe, v2
	v_cvt_u32_f32_e32 v1, v1
	v_cvt_u32_f32_e32 v2, v2
	s_mov_b64 s[12:13], 0
	s_mul_i32 s9, s22, s9
	v_mul_lo_u32 v3, s20, v1
	v_mul_lo_u32 v4, s21, v2
	v_mul_hi_u32 v3, v1, v3
	v_mul_hi_u32 v4, v2, v4
	v_add_u32_e32 v1, v1, v3
	v_mov_b32_e32 v3, 0
	v_add_u32_e32 v5, v2, v4
	v_add_u32_e32 v4, 1, v0
.LBB91_2:                               ; =>This Inner Loop Header: Depth=1
	v_add_u32_e32 v2, -1, v4
	v_lshl_add_u64 v[6:7], v[2:3], 4, s[0:1]
	global_load_dwordx4 v[6:9], v[6:7], off
	v_mul_hi_u32 v10, v1, v0
	v_add_u32_e32 v4, s18, v4
	v_mul_lo_u32 v11, s17, v10
	v_not_b32_e32 v10, v10
	v_mul_hi_u32 v12, v2, v1
	v_cmp_lt_u32_e32 vcc, s16, v4
	v_sub_u32_e32 v13, v0, v11
	v_mad_u64_u32 v[10:11], s[22:23], s17, v10, v[0:1]
	v_add_u32_e32 v11, 1, v12
	s_or_b64 s[12:13], vcc, s[12:13]
	v_cmp_le_u32_e32 vcc, s17, v13
	v_add_u32_e32 v0, s18, v0
	s_nop 0
	v_cndmask_b32_e32 v11, v12, v11, vcc
	v_cndmask_b32_e32 v10, v13, v10, vcc
	v_add_u32_e32 v12, 1, v11
	v_cmp_le_u32_e32 vcc, s17, v10
	s_nop 1
	v_cndmask_b32_e32 v12, v11, v12, vcc
	v_mad_u64_u32 v[10:11], s[22:23], s20, v12, v[2:3]
	v_mul_hi_u32 v2, v12, v5
	v_mul_lo_u32 v11, v2, s19
	v_sub_u32_e32 v11, v12, v11
	v_add_u32_e32 v13, 1, v2
	v_cmp_le_u32_e32 vcc, s19, v11
	s_nop 1
	v_cndmask_b32_e32 v2, v2, v13, vcc
	v_subrev_u32_e32 v13, s19, v11
	v_cndmask_b32_e32 v11, v11, v13, vcc
	v_add_u32_e32 v13, 1, v2
	v_cmp_le_u32_e32 vcc, s19, v11
	s_nop 1
	v_cndmask_b32_e32 v2, v2, v13, vcc
	v_mul_lo_u32 v11, v2, s19
	v_mul_lo_u32 v2, v2, s4
	v_sub_u32_e32 v12, v12, v11
	v_mad_u64_u32 v[10:11], s[22:23], v10, s6, v[2:3]
	v_mul_lo_u32 v2, v12, s5
	v_add3_u32 v2, v10, v2, s9
	v_lshl_add_u64 v[10:11], v[2:3], 4, s[2:3]
	s_waitcnt vmcnt(0)
	global_store_dwordx4 v[10:11], v[6:9], off
	s_andn2_b64 exec, exec, s[12:13]
	s_cbranch_execnz .LBB91_2
; %bb.3:
	s_or_b64 exec, exec, s[12:13]
	v_add_u32_e32 v0, -1, v4
	v_cmp_gt_u32_e32 vcc, s16, v0
	s_and_b64 exec, exec, vcc
	s_cbranch_execz .LBB91_6
; %bb.4:
	s_cmp_eq_u32 s8, 2
	s_cselect_b32 s5, s7, s11
	v_cvt_f32_u32_e32 v1, s5
	s_cmp_eq_u32 s8, 1
	s_cselect_b32 s8, s7, s10
	v_cvt_f32_u32_e32 v2, s8
	v_rcp_iflag_f32_e32 v1, v1
	s_sub_i32 s6, 0, s5
	v_mov_b32_e32 v3, 0
	v_rcp_iflag_f32_e32 v2, v2
	v_mul_f32_e32 v1, 0x4f7ffffe, v1
	v_cvt_u32_f32_e32 v1, v1
	v_mov_b32_e32 v5, v3
	v_mul_f32_e32 v2, 0x4f7ffffe, v2
	v_cvt_u32_f32_e32 v2, v2
	v_mul_lo_u32 v4, s6, v1
	v_mul_hi_u32 v4, v1, v4
	s_sub_i32 s6, 0, s8
	v_add_u32_e32 v4, v1, v4
	v_mul_lo_u32 v1, s6, v2
	v_mul_hi_u32 v1, v2, v1
	v_add_u32_e32 v10, v2, v1
	v_mov_b32_e32 v1, v3
	v_mad_u64_u32 v[6:7], s[6:7], v4, v0, 0
	v_lshl_add_u64 v[8:9], v[0:1], 4, s[0:1]
	s_mov_b64 s[6:7], 0
.LBB91_5:                               ; =>This Inner Loop Header: Depth=1
	global_load_dwordx4 v[12:15], v[8:9], off
	v_not_b32_e32 v1, v7
	v_mul_lo_u32 v2, s5, v7
	v_mad_u64_u32 v[16:17], s[0:1], s5, v1, v[0:1]
	v_sub_u32_e32 v1, v0, v2
	v_add_u32_e32 v11, 1, v7
	v_cmp_le_u32_e32 vcc, s5, v1
	v_lshl_add_u64 v[8:9], v[8:9], 0, 16
	s_nop 0
	v_cndmask_b32_e32 v2, v7, v11, vcc
	v_cndmask_b32_e32 v1, v1, v16, vcc
	v_add_u32_e32 v11, 1, v2
	v_cmp_le_u32_e32 vcc, s5, v1
	v_lshl_add_u64 v[6:7], v[6:7], 0, v[4:5]
	s_nop 0
	v_cndmask_b32_e32 v1, v2, v11, vcc
	v_mul_hi_u32 v2, v1, v10
	v_mul_lo_u32 v16, v2, s8
	v_sub_u32_e32 v16, v1, v16
	v_mul_lo_u32 v11, v1, s5
	v_add_u32_e32 v17, 1, v2
	v_cmp_le_u32_e64 s[0:1], s8, v16
	v_sub_u32_e32 v11, v0, v11
	v_add_u32_e32 v0, 1, v0
	v_cndmask_b32_e64 v2, v2, v17, s[0:1]
	v_subrev_u32_e32 v17, s8, v16
	v_cmp_le_u32_e32 vcc, s16, v0
	v_cndmask_b32_e64 v16, v16, v17, s[0:1]
	s_or_b64 s[6:7], vcc, s[6:7]
	v_add_u32_e32 v17, 1, v2
	v_cmp_le_u32_e32 vcc, s8, v16
	v_mul_lo_u32 v11, v11, s15
	s_nop 0
	v_cndmask_b32_e32 v2, v2, v17, vcc
	v_mul_lo_u32 v16, v2, s8
	v_mul_lo_u32 v2, v2, s4
	v_sub_u32_e32 v1, v1, v16
	v_add_u32_e32 v2, s9, v2
	v_mul_lo_u32 v1, v1, s14
	v_add3_u32 v2, v2, v11, v1
	v_lshl_add_u64 v[16:17], v[2:3], 4, s[2:3]
	s_waitcnt vmcnt(0)
	global_store_dwordx4 v[16:17], v[12:15], off
	s_andn2_b64 exec, exec, s[6:7]
	s_cbranch_execnz .LBB91_5
.LBB91_6:
	s_endpgm
	.section	.rodata,"a",@progbits
	.p2align	6, 0x0
	.amdhsa_kernel _ZN2at6native12_GLOBAL__N_135CatArrayBatchedCopy_alignedK_contigINS1_10OpaqueTypeILj16EEEjLi3ELi128ELi1ELi16EEEvPT_NS1_25CatArrInputTensorMetadataIS5_T0_XT2_EXT3_EEENS1_16TensorSizeStrideIS8_Lj4EEEiS8_
		.amdhsa_group_segment_fixed_size 0
		.amdhsa_private_segment_fixed_size 0
		.amdhsa_kernarg_size 3024
		.amdhsa_user_sgpr_count 2
		.amdhsa_user_sgpr_dispatch_ptr 0
		.amdhsa_user_sgpr_queue_ptr 0
		.amdhsa_user_sgpr_kernarg_segment_ptr 1
		.amdhsa_user_sgpr_dispatch_id 0
		.amdhsa_user_sgpr_kernarg_preload_length 0
		.amdhsa_user_sgpr_kernarg_preload_offset 0
		.amdhsa_user_sgpr_private_segment_size 0
		.amdhsa_uses_dynamic_stack 0
		.amdhsa_enable_private_segment 0
		.amdhsa_system_sgpr_workgroup_id_x 1
		.amdhsa_system_sgpr_workgroup_id_y 1
		.amdhsa_system_sgpr_workgroup_id_z 0
		.amdhsa_system_sgpr_workgroup_info 0
		.amdhsa_system_vgpr_workitem_id 0
		.amdhsa_next_free_vgpr 18
		.amdhsa_next_free_sgpr 24
		.amdhsa_accum_offset 20
		.amdhsa_reserve_vcc 1
		.amdhsa_float_round_mode_32 0
		.amdhsa_float_round_mode_16_64 0
		.amdhsa_float_denorm_mode_32 3
		.amdhsa_float_denorm_mode_16_64 3
		.amdhsa_dx10_clamp 1
		.amdhsa_ieee_mode 1
		.amdhsa_fp16_overflow 0
		.amdhsa_tg_split 0
		.amdhsa_exception_fp_ieee_invalid_op 0
		.amdhsa_exception_fp_denorm_src 0
		.amdhsa_exception_fp_ieee_div_zero 0
		.amdhsa_exception_fp_ieee_overflow 0
		.amdhsa_exception_fp_ieee_underflow 0
		.amdhsa_exception_fp_ieee_inexact 0
		.amdhsa_exception_int_div_zero 0
	.end_amdhsa_kernel
	.section	.text._ZN2at6native12_GLOBAL__N_135CatArrayBatchedCopy_alignedK_contigINS1_10OpaqueTypeILj16EEEjLi3ELi128ELi1ELi16EEEvPT_NS1_25CatArrInputTensorMetadataIS5_T0_XT2_EXT3_EEENS1_16TensorSizeStrideIS8_Lj4EEEiS8_,"axG",@progbits,_ZN2at6native12_GLOBAL__N_135CatArrayBatchedCopy_alignedK_contigINS1_10OpaqueTypeILj16EEEjLi3ELi128ELi1ELi16EEEvPT_NS1_25CatArrInputTensorMetadataIS5_T0_XT2_EXT3_EEENS1_16TensorSizeStrideIS8_Lj4EEEiS8_,comdat
.Lfunc_end91:
	.size	_ZN2at6native12_GLOBAL__N_135CatArrayBatchedCopy_alignedK_contigINS1_10OpaqueTypeILj16EEEjLi3ELi128ELi1ELi16EEEvPT_NS1_25CatArrInputTensorMetadataIS5_T0_XT2_EXT3_EEENS1_16TensorSizeStrideIS8_Lj4EEEiS8_, .Lfunc_end91-_ZN2at6native12_GLOBAL__N_135CatArrayBatchedCopy_alignedK_contigINS1_10OpaqueTypeILj16EEEjLi3ELi128ELi1ELi16EEEvPT_NS1_25CatArrInputTensorMetadataIS5_T0_XT2_EXT3_EEENS1_16TensorSizeStrideIS8_Lj4EEEiS8_
                                        ; -- End function
	.set _ZN2at6native12_GLOBAL__N_135CatArrayBatchedCopy_alignedK_contigINS1_10OpaqueTypeILj16EEEjLi3ELi128ELi1ELi16EEEvPT_NS1_25CatArrInputTensorMetadataIS5_T0_XT2_EXT3_EEENS1_16TensorSizeStrideIS8_Lj4EEEiS8_.num_vgpr, 18
	.set _ZN2at6native12_GLOBAL__N_135CatArrayBatchedCopy_alignedK_contigINS1_10OpaqueTypeILj16EEEjLi3ELi128ELi1ELi16EEEvPT_NS1_25CatArrInputTensorMetadataIS5_T0_XT2_EXT3_EEENS1_16TensorSizeStrideIS8_Lj4EEEiS8_.num_agpr, 0
	.set _ZN2at6native12_GLOBAL__N_135CatArrayBatchedCopy_alignedK_contigINS1_10OpaqueTypeILj16EEEjLi3ELi128ELi1ELi16EEEvPT_NS1_25CatArrInputTensorMetadataIS5_T0_XT2_EXT3_EEENS1_16TensorSizeStrideIS8_Lj4EEEiS8_.numbered_sgpr, 24
	.set _ZN2at6native12_GLOBAL__N_135CatArrayBatchedCopy_alignedK_contigINS1_10OpaqueTypeILj16EEEjLi3ELi128ELi1ELi16EEEvPT_NS1_25CatArrInputTensorMetadataIS5_T0_XT2_EXT3_EEENS1_16TensorSizeStrideIS8_Lj4EEEiS8_.num_named_barrier, 0
	.set _ZN2at6native12_GLOBAL__N_135CatArrayBatchedCopy_alignedK_contigINS1_10OpaqueTypeILj16EEEjLi3ELi128ELi1ELi16EEEvPT_NS1_25CatArrInputTensorMetadataIS5_T0_XT2_EXT3_EEENS1_16TensorSizeStrideIS8_Lj4EEEiS8_.private_seg_size, 0
	.set _ZN2at6native12_GLOBAL__N_135CatArrayBatchedCopy_alignedK_contigINS1_10OpaqueTypeILj16EEEjLi3ELi128ELi1ELi16EEEvPT_NS1_25CatArrInputTensorMetadataIS5_T0_XT2_EXT3_EEENS1_16TensorSizeStrideIS8_Lj4EEEiS8_.uses_vcc, 1
	.set _ZN2at6native12_GLOBAL__N_135CatArrayBatchedCopy_alignedK_contigINS1_10OpaqueTypeILj16EEEjLi3ELi128ELi1ELi16EEEvPT_NS1_25CatArrInputTensorMetadataIS5_T0_XT2_EXT3_EEENS1_16TensorSizeStrideIS8_Lj4EEEiS8_.uses_flat_scratch, 0
	.set _ZN2at6native12_GLOBAL__N_135CatArrayBatchedCopy_alignedK_contigINS1_10OpaqueTypeILj16EEEjLi3ELi128ELi1ELi16EEEvPT_NS1_25CatArrInputTensorMetadataIS5_T0_XT2_EXT3_EEENS1_16TensorSizeStrideIS8_Lj4EEEiS8_.has_dyn_sized_stack, 0
	.set _ZN2at6native12_GLOBAL__N_135CatArrayBatchedCopy_alignedK_contigINS1_10OpaqueTypeILj16EEEjLi3ELi128ELi1ELi16EEEvPT_NS1_25CatArrInputTensorMetadataIS5_T0_XT2_EXT3_EEENS1_16TensorSizeStrideIS8_Lj4EEEiS8_.has_recursion, 0
	.set _ZN2at6native12_GLOBAL__N_135CatArrayBatchedCopy_alignedK_contigINS1_10OpaqueTypeILj16EEEjLi3ELi128ELi1ELi16EEEvPT_NS1_25CatArrInputTensorMetadataIS5_T0_XT2_EXT3_EEENS1_16TensorSizeStrideIS8_Lj4EEEiS8_.has_indirect_call, 0
	.section	.AMDGPU.csdata,"",@progbits
; Kernel info:
; codeLenInByte = 984
; TotalNumSgprs: 30
; NumVgprs: 18
; NumAgprs: 0
; TotalNumVgprs: 18
; ScratchSize: 0
; MemoryBound: 0
; FloatMode: 240
; IeeeMode: 1
; LDSByteSize: 0 bytes/workgroup (compile time only)
; SGPRBlocks: 3
; VGPRBlocks: 2
; NumSGPRsForWavesPerEU: 30
; NumVGPRsForWavesPerEU: 18
; AccumOffset: 20
; Occupancy: 8
; WaveLimiterHint : 1
; COMPUTE_PGM_RSRC2:SCRATCH_EN: 0
; COMPUTE_PGM_RSRC2:USER_SGPR: 2
; COMPUTE_PGM_RSRC2:TRAP_HANDLER: 0
; COMPUTE_PGM_RSRC2:TGID_X_EN: 1
; COMPUTE_PGM_RSRC2:TGID_Y_EN: 1
; COMPUTE_PGM_RSRC2:TGID_Z_EN: 0
; COMPUTE_PGM_RSRC2:TIDIG_COMP_CNT: 0
; COMPUTE_PGM_RSRC3_GFX90A:ACCUM_OFFSET: 4
; COMPUTE_PGM_RSRC3_GFX90A:TG_SPLIT: 0
	.section	.text._ZN2at6native12_GLOBAL__N_135CatArrayBatchedCopy_alignedK_contigINS1_10OpaqueTypeILj16EEEjLi3ELi128ELi1ELi8EEEvPT_NS1_25CatArrInputTensorMetadataIS5_T0_XT2_EXT3_EEENS1_16TensorSizeStrideIS8_Lj4EEEiS8_,"axG",@progbits,_ZN2at6native12_GLOBAL__N_135CatArrayBatchedCopy_alignedK_contigINS1_10OpaqueTypeILj16EEEjLi3ELi128ELi1ELi8EEEvPT_NS1_25CatArrInputTensorMetadataIS5_T0_XT2_EXT3_EEENS1_16TensorSizeStrideIS8_Lj4EEEiS8_,comdat
	.globl	_ZN2at6native12_GLOBAL__N_135CatArrayBatchedCopy_alignedK_contigINS1_10OpaqueTypeILj16EEEjLi3ELi128ELi1ELi8EEEvPT_NS1_25CatArrInputTensorMetadataIS5_T0_XT2_EXT3_EEENS1_16TensorSizeStrideIS8_Lj4EEEiS8_ ; -- Begin function _ZN2at6native12_GLOBAL__N_135CatArrayBatchedCopy_alignedK_contigINS1_10OpaqueTypeILj16EEEjLi3ELi128ELi1ELi8EEEvPT_NS1_25CatArrInputTensorMetadataIS5_T0_XT2_EXT3_EEENS1_16TensorSizeStrideIS8_Lj4EEEiS8_
	.p2align	8
	.type	_ZN2at6native12_GLOBAL__N_135CatArrayBatchedCopy_alignedK_contigINS1_10OpaqueTypeILj16EEEjLi3ELi128ELi1ELi8EEEvPT_NS1_25CatArrInputTensorMetadataIS5_T0_XT2_EXT3_EEENS1_16TensorSizeStrideIS8_Lj4EEEiS8_,@function
_ZN2at6native12_GLOBAL__N_135CatArrayBatchedCopy_alignedK_contigINS1_10OpaqueTypeILj16EEEjLi3ELi128ELi1ELi8EEEvPT_NS1_25CatArrInputTensorMetadataIS5_T0_XT2_EXT3_EEENS1_16TensorSizeStrideIS8_Lj4EEEiS8_: ; @_ZN2at6native12_GLOBAL__N_135CatArrayBatchedCopy_alignedK_contigINS1_10OpaqueTypeILj16EEEjLi3ELi128ELi1ELi8EEEvPT_NS1_25CatArrInputTensorMetadataIS5_T0_XT2_EXT3_EEENS1_16TensorSizeStrideIS8_Lj4EEEiS8_
; %bb.0:
	s_mov_b32 s4, s3
	s_load_dword s3, s[0:1], 0xadc
	s_add_u32 s12, s0, 0xad0
	s_mov_b32 s5, 0
	s_addc_u32 s13, s1, 0
	s_lshl_b64 s[14:15], s[4:5], 2
	s_waitcnt lgkmcnt(0)
	s_and_b32 s18, s3, 0xffff
	s_add_u32 s4, s0, s14
	s_addc_u32 s5, s1, s15
	s_load_dword s16, s[4:5], 0x808
	s_mul_i32 s2, s2, s18
	v_add_u32_e32 v0, s2, v0
	s_add_u32 s17, s4, 8
	s_addc_u32 s19, s5, 0
	s_waitcnt lgkmcnt(0)
	v_cmp_gt_u32_e32 vcc, s16, v0
	s_and_saveexec_b64 s[2:3], vcc
	s_cbranch_execz .LBB92_6
; %bb.1:
	s_add_u32 s20, s17, s14
	s_addc_u32 s21, s19, s15
	s_load_dwordx2 s[8:9], s[0:1], 0xac8
	s_load_dwordx4 s[4:7], s[0:1], 0xab8
	s_load_dwordx2 s[2:3], s[0:1], 0x0
	s_load_dwordx2 s[10:11], s[0:1], 0xaac
	s_sub_u32 s0, 0, s14
	s_subb_u32 s1, 0, s15
	s_add_u32 s14, s20, s0
	s_addc_u32 s15, s21, s1
	s_load_dwordx2 s[0:1], s[20:21], 0x0
	s_waitcnt lgkmcnt(0)
	s_load_dword s7, s[14:15], 0x600
	s_load_dword s22, s[14:15], 0x400
	s_cmp_eq_u32 s8, 2
	s_load_dword s12, s[12:13], 0x0
	s_mov_b32 s14, s5
	s_waitcnt lgkmcnt(0)
	s_cselect_b32 s17, s7, s11
	s_cmp_eq_u32 s8, 1
	s_cselect_b32 s19, s7, s10
	v_cvt_f32_u32_e32 v1, s17
	v_cvt_f32_u32_e32 v2, s19
	s_sub_i32 s20, 0, s17
	s_sub_i32 s21, 0, s19
	v_rcp_iflag_f32_e32 v1, v1
	v_rcp_iflag_f32_e32 v2, v2
	s_mov_b32 s15, s6
	s_mul_i32 s18, s12, s18
	v_mul_f32_e32 v1, 0x4f7ffffe, v1
	v_mul_f32_e32 v2, 0x4f7ffffe, v2
	v_cvt_u32_f32_e32 v1, v1
	v_cvt_u32_f32_e32 v2, v2
	s_mov_b64 s[12:13], 0
	s_mul_i32 s9, s22, s9
	v_mul_lo_u32 v3, s20, v1
	v_mul_lo_u32 v4, s21, v2
	v_mul_hi_u32 v3, v1, v3
	v_mul_hi_u32 v4, v2, v4
	v_add_u32_e32 v1, v1, v3
	v_mov_b32_e32 v3, 0
	v_add_u32_e32 v5, v2, v4
	v_add_u32_e32 v4, 1, v0
.LBB92_2:                               ; =>This Inner Loop Header: Depth=1
	v_add_u32_e32 v2, -1, v4
	v_lshl_add_u64 v[6:7], v[2:3], 4, s[0:1]
	global_load_dwordx4 v[6:9], v[6:7], off
	v_mul_hi_u32 v10, v1, v0
	v_add_u32_e32 v4, s18, v4
	v_mul_lo_u32 v11, s17, v10
	v_not_b32_e32 v10, v10
	v_mul_hi_u32 v12, v2, v1
	v_cmp_lt_u32_e32 vcc, s16, v4
	v_sub_u32_e32 v13, v0, v11
	v_mad_u64_u32 v[10:11], s[22:23], s17, v10, v[0:1]
	v_add_u32_e32 v11, 1, v12
	s_or_b64 s[12:13], vcc, s[12:13]
	v_cmp_le_u32_e32 vcc, s17, v13
	v_add_u32_e32 v0, s18, v0
	s_nop 0
	v_cndmask_b32_e32 v11, v12, v11, vcc
	v_cndmask_b32_e32 v10, v13, v10, vcc
	v_add_u32_e32 v12, 1, v11
	v_cmp_le_u32_e32 vcc, s17, v10
	s_nop 1
	v_cndmask_b32_e32 v12, v11, v12, vcc
	v_mad_u64_u32 v[10:11], s[22:23], s20, v12, v[2:3]
	v_mul_hi_u32 v2, v12, v5
	v_mul_lo_u32 v11, v2, s19
	v_sub_u32_e32 v11, v12, v11
	v_add_u32_e32 v13, 1, v2
	v_cmp_le_u32_e32 vcc, s19, v11
	s_nop 1
	v_cndmask_b32_e32 v2, v2, v13, vcc
	v_subrev_u32_e32 v13, s19, v11
	v_cndmask_b32_e32 v11, v11, v13, vcc
	v_add_u32_e32 v13, 1, v2
	v_cmp_le_u32_e32 vcc, s19, v11
	s_nop 1
	v_cndmask_b32_e32 v2, v2, v13, vcc
	v_mul_lo_u32 v11, v2, s19
	v_mul_lo_u32 v2, v2, s4
	v_sub_u32_e32 v12, v12, v11
	v_mad_u64_u32 v[10:11], s[22:23], v10, s6, v[2:3]
	v_mul_lo_u32 v2, v12, s5
	v_add3_u32 v2, v10, v2, s9
	v_lshl_add_u64 v[10:11], v[2:3], 4, s[2:3]
	s_waitcnt vmcnt(0)
	global_store_dwordx4 v[10:11], v[6:9], off
	s_andn2_b64 exec, exec, s[12:13]
	s_cbranch_execnz .LBB92_2
; %bb.3:
	s_or_b64 exec, exec, s[12:13]
	v_add_u32_e32 v0, -1, v4
	v_cmp_gt_u32_e32 vcc, s16, v0
	s_and_b64 exec, exec, vcc
	s_cbranch_execz .LBB92_6
; %bb.4:
	s_cmp_eq_u32 s8, 2
	s_cselect_b32 s5, s7, s11
	v_cvt_f32_u32_e32 v1, s5
	s_cmp_eq_u32 s8, 1
	s_cselect_b32 s8, s7, s10
	v_cvt_f32_u32_e32 v2, s8
	v_rcp_iflag_f32_e32 v1, v1
	s_sub_i32 s6, 0, s5
	v_mov_b32_e32 v3, 0
	v_rcp_iflag_f32_e32 v2, v2
	v_mul_f32_e32 v1, 0x4f7ffffe, v1
	v_cvt_u32_f32_e32 v1, v1
	v_mov_b32_e32 v5, v3
	v_mul_f32_e32 v2, 0x4f7ffffe, v2
	v_cvt_u32_f32_e32 v2, v2
	v_mul_lo_u32 v4, s6, v1
	v_mul_hi_u32 v4, v1, v4
	s_sub_i32 s6, 0, s8
	v_add_u32_e32 v4, v1, v4
	v_mul_lo_u32 v1, s6, v2
	v_mul_hi_u32 v1, v2, v1
	v_add_u32_e32 v10, v2, v1
	v_mov_b32_e32 v1, v3
	v_mad_u64_u32 v[6:7], s[6:7], v4, v0, 0
	v_lshl_add_u64 v[8:9], v[0:1], 4, s[0:1]
	s_mov_b64 s[6:7], 0
.LBB92_5:                               ; =>This Inner Loop Header: Depth=1
	global_load_dwordx4 v[12:15], v[8:9], off
	v_not_b32_e32 v1, v7
	v_mul_lo_u32 v2, s5, v7
	v_mad_u64_u32 v[16:17], s[0:1], s5, v1, v[0:1]
	v_sub_u32_e32 v1, v0, v2
	v_add_u32_e32 v11, 1, v7
	v_cmp_le_u32_e32 vcc, s5, v1
	v_lshl_add_u64 v[8:9], v[8:9], 0, 16
	s_nop 0
	v_cndmask_b32_e32 v2, v7, v11, vcc
	v_cndmask_b32_e32 v1, v1, v16, vcc
	v_add_u32_e32 v11, 1, v2
	v_cmp_le_u32_e32 vcc, s5, v1
	v_lshl_add_u64 v[6:7], v[6:7], 0, v[4:5]
	s_nop 0
	v_cndmask_b32_e32 v1, v2, v11, vcc
	v_mul_hi_u32 v2, v1, v10
	v_mul_lo_u32 v16, v2, s8
	v_sub_u32_e32 v16, v1, v16
	v_mul_lo_u32 v11, v1, s5
	v_add_u32_e32 v17, 1, v2
	v_cmp_le_u32_e64 s[0:1], s8, v16
	v_sub_u32_e32 v11, v0, v11
	v_add_u32_e32 v0, 1, v0
	v_cndmask_b32_e64 v2, v2, v17, s[0:1]
	v_subrev_u32_e32 v17, s8, v16
	v_cmp_le_u32_e32 vcc, s16, v0
	v_cndmask_b32_e64 v16, v16, v17, s[0:1]
	s_or_b64 s[6:7], vcc, s[6:7]
	v_add_u32_e32 v17, 1, v2
	v_cmp_le_u32_e32 vcc, s8, v16
	v_mul_lo_u32 v11, v11, s15
	s_nop 0
	v_cndmask_b32_e32 v2, v2, v17, vcc
	v_mul_lo_u32 v16, v2, s8
	v_mul_lo_u32 v2, v2, s4
	v_sub_u32_e32 v1, v1, v16
	v_add_u32_e32 v2, s9, v2
	v_mul_lo_u32 v1, v1, s14
	v_add3_u32 v2, v2, v11, v1
	v_lshl_add_u64 v[16:17], v[2:3], 4, s[2:3]
	s_waitcnt vmcnt(0)
	global_store_dwordx4 v[16:17], v[12:15], off
	s_andn2_b64 exec, exec, s[6:7]
	s_cbranch_execnz .LBB92_5
.LBB92_6:
	s_endpgm
	.section	.rodata,"a",@progbits
	.p2align	6, 0x0
	.amdhsa_kernel _ZN2at6native12_GLOBAL__N_135CatArrayBatchedCopy_alignedK_contigINS1_10OpaqueTypeILj16EEEjLi3ELi128ELi1ELi8EEEvPT_NS1_25CatArrInputTensorMetadataIS5_T0_XT2_EXT3_EEENS1_16TensorSizeStrideIS8_Lj4EEEiS8_
		.amdhsa_group_segment_fixed_size 0
		.amdhsa_private_segment_fixed_size 0
		.amdhsa_kernarg_size 3024
		.amdhsa_user_sgpr_count 2
		.amdhsa_user_sgpr_dispatch_ptr 0
		.amdhsa_user_sgpr_queue_ptr 0
		.amdhsa_user_sgpr_kernarg_segment_ptr 1
		.amdhsa_user_sgpr_dispatch_id 0
		.amdhsa_user_sgpr_kernarg_preload_length 0
		.amdhsa_user_sgpr_kernarg_preload_offset 0
		.amdhsa_user_sgpr_private_segment_size 0
		.amdhsa_uses_dynamic_stack 0
		.amdhsa_enable_private_segment 0
		.amdhsa_system_sgpr_workgroup_id_x 1
		.amdhsa_system_sgpr_workgroup_id_y 1
		.amdhsa_system_sgpr_workgroup_id_z 0
		.amdhsa_system_sgpr_workgroup_info 0
		.amdhsa_system_vgpr_workitem_id 0
		.amdhsa_next_free_vgpr 18
		.amdhsa_next_free_sgpr 24
		.amdhsa_accum_offset 20
		.amdhsa_reserve_vcc 1
		.amdhsa_float_round_mode_32 0
		.amdhsa_float_round_mode_16_64 0
		.amdhsa_float_denorm_mode_32 3
		.amdhsa_float_denorm_mode_16_64 3
		.amdhsa_dx10_clamp 1
		.amdhsa_ieee_mode 1
		.amdhsa_fp16_overflow 0
		.amdhsa_tg_split 0
		.amdhsa_exception_fp_ieee_invalid_op 0
		.amdhsa_exception_fp_denorm_src 0
		.amdhsa_exception_fp_ieee_div_zero 0
		.amdhsa_exception_fp_ieee_overflow 0
		.amdhsa_exception_fp_ieee_underflow 0
		.amdhsa_exception_fp_ieee_inexact 0
		.amdhsa_exception_int_div_zero 0
	.end_amdhsa_kernel
	.section	.text._ZN2at6native12_GLOBAL__N_135CatArrayBatchedCopy_alignedK_contigINS1_10OpaqueTypeILj16EEEjLi3ELi128ELi1ELi8EEEvPT_NS1_25CatArrInputTensorMetadataIS5_T0_XT2_EXT3_EEENS1_16TensorSizeStrideIS8_Lj4EEEiS8_,"axG",@progbits,_ZN2at6native12_GLOBAL__N_135CatArrayBatchedCopy_alignedK_contigINS1_10OpaqueTypeILj16EEEjLi3ELi128ELi1ELi8EEEvPT_NS1_25CatArrInputTensorMetadataIS5_T0_XT2_EXT3_EEENS1_16TensorSizeStrideIS8_Lj4EEEiS8_,comdat
.Lfunc_end92:
	.size	_ZN2at6native12_GLOBAL__N_135CatArrayBatchedCopy_alignedK_contigINS1_10OpaqueTypeILj16EEEjLi3ELi128ELi1ELi8EEEvPT_NS1_25CatArrInputTensorMetadataIS5_T0_XT2_EXT3_EEENS1_16TensorSizeStrideIS8_Lj4EEEiS8_, .Lfunc_end92-_ZN2at6native12_GLOBAL__N_135CatArrayBatchedCopy_alignedK_contigINS1_10OpaqueTypeILj16EEEjLi3ELi128ELi1ELi8EEEvPT_NS1_25CatArrInputTensorMetadataIS5_T0_XT2_EXT3_EEENS1_16TensorSizeStrideIS8_Lj4EEEiS8_
                                        ; -- End function
	.set _ZN2at6native12_GLOBAL__N_135CatArrayBatchedCopy_alignedK_contigINS1_10OpaqueTypeILj16EEEjLi3ELi128ELi1ELi8EEEvPT_NS1_25CatArrInputTensorMetadataIS5_T0_XT2_EXT3_EEENS1_16TensorSizeStrideIS8_Lj4EEEiS8_.num_vgpr, 18
	.set _ZN2at6native12_GLOBAL__N_135CatArrayBatchedCopy_alignedK_contigINS1_10OpaqueTypeILj16EEEjLi3ELi128ELi1ELi8EEEvPT_NS1_25CatArrInputTensorMetadataIS5_T0_XT2_EXT3_EEENS1_16TensorSizeStrideIS8_Lj4EEEiS8_.num_agpr, 0
	.set _ZN2at6native12_GLOBAL__N_135CatArrayBatchedCopy_alignedK_contigINS1_10OpaqueTypeILj16EEEjLi3ELi128ELi1ELi8EEEvPT_NS1_25CatArrInputTensorMetadataIS5_T0_XT2_EXT3_EEENS1_16TensorSizeStrideIS8_Lj4EEEiS8_.numbered_sgpr, 24
	.set _ZN2at6native12_GLOBAL__N_135CatArrayBatchedCopy_alignedK_contigINS1_10OpaqueTypeILj16EEEjLi3ELi128ELi1ELi8EEEvPT_NS1_25CatArrInputTensorMetadataIS5_T0_XT2_EXT3_EEENS1_16TensorSizeStrideIS8_Lj4EEEiS8_.num_named_barrier, 0
	.set _ZN2at6native12_GLOBAL__N_135CatArrayBatchedCopy_alignedK_contigINS1_10OpaqueTypeILj16EEEjLi3ELi128ELi1ELi8EEEvPT_NS1_25CatArrInputTensorMetadataIS5_T0_XT2_EXT3_EEENS1_16TensorSizeStrideIS8_Lj4EEEiS8_.private_seg_size, 0
	.set _ZN2at6native12_GLOBAL__N_135CatArrayBatchedCopy_alignedK_contigINS1_10OpaqueTypeILj16EEEjLi3ELi128ELi1ELi8EEEvPT_NS1_25CatArrInputTensorMetadataIS5_T0_XT2_EXT3_EEENS1_16TensorSizeStrideIS8_Lj4EEEiS8_.uses_vcc, 1
	.set _ZN2at6native12_GLOBAL__N_135CatArrayBatchedCopy_alignedK_contigINS1_10OpaqueTypeILj16EEEjLi3ELi128ELi1ELi8EEEvPT_NS1_25CatArrInputTensorMetadataIS5_T0_XT2_EXT3_EEENS1_16TensorSizeStrideIS8_Lj4EEEiS8_.uses_flat_scratch, 0
	.set _ZN2at6native12_GLOBAL__N_135CatArrayBatchedCopy_alignedK_contigINS1_10OpaqueTypeILj16EEEjLi3ELi128ELi1ELi8EEEvPT_NS1_25CatArrInputTensorMetadataIS5_T0_XT2_EXT3_EEENS1_16TensorSizeStrideIS8_Lj4EEEiS8_.has_dyn_sized_stack, 0
	.set _ZN2at6native12_GLOBAL__N_135CatArrayBatchedCopy_alignedK_contigINS1_10OpaqueTypeILj16EEEjLi3ELi128ELi1ELi8EEEvPT_NS1_25CatArrInputTensorMetadataIS5_T0_XT2_EXT3_EEENS1_16TensorSizeStrideIS8_Lj4EEEiS8_.has_recursion, 0
	.set _ZN2at6native12_GLOBAL__N_135CatArrayBatchedCopy_alignedK_contigINS1_10OpaqueTypeILj16EEEjLi3ELi128ELi1ELi8EEEvPT_NS1_25CatArrInputTensorMetadataIS5_T0_XT2_EXT3_EEENS1_16TensorSizeStrideIS8_Lj4EEEiS8_.has_indirect_call, 0
	.section	.AMDGPU.csdata,"",@progbits
; Kernel info:
; codeLenInByte = 984
; TotalNumSgprs: 30
; NumVgprs: 18
; NumAgprs: 0
; TotalNumVgprs: 18
; ScratchSize: 0
; MemoryBound: 0
; FloatMode: 240
; IeeeMode: 1
; LDSByteSize: 0 bytes/workgroup (compile time only)
; SGPRBlocks: 3
; VGPRBlocks: 2
; NumSGPRsForWavesPerEU: 30
; NumVGPRsForWavesPerEU: 18
; AccumOffset: 20
; Occupancy: 8
; WaveLimiterHint : 1
; COMPUTE_PGM_RSRC2:SCRATCH_EN: 0
; COMPUTE_PGM_RSRC2:USER_SGPR: 2
; COMPUTE_PGM_RSRC2:TRAP_HANDLER: 0
; COMPUTE_PGM_RSRC2:TGID_X_EN: 1
; COMPUTE_PGM_RSRC2:TGID_Y_EN: 1
; COMPUTE_PGM_RSRC2:TGID_Z_EN: 0
; COMPUTE_PGM_RSRC2:TIDIG_COMP_CNT: 0
; COMPUTE_PGM_RSRC3_GFX90A:ACCUM_OFFSET: 4
; COMPUTE_PGM_RSRC3_GFX90A:TG_SPLIT: 0
	.section	.text._ZN2at6native12_GLOBAL__N_126CatArrayBatchedCopy_contigINS1_10OpaqueTypeILj16EEEjLi3ELi128ELi1EEEvPT_NS1_25CatArrInputTensorMetadataIS5_T0_XT2_EXT3_EEENS1_16TensorSizeStrideIS8_Lj4EEEiS8_,"axG",@progbits,_ZN2at6native12_GLOBAL__N_126CatArrayBatchedCopy_contigINS1_10OpaqueTypeILj16EEEjLi3ELi128ELi1EEEvPT_NS1_25CatArrInputTensorMetadataIS5_T0_XT2_EXT3_EEENS1_16TensorSizeStrideIS8_Lj4EEEiS8_,comdat
	.globl	_ZN2at6native12_GLOBAL__N_126CatArrayBatchedCopy_contigINS1_10OpaqueTypeILj16EEEjLi3ELi128ELi1EEEvPT_NS1_25CatArrInputTensorMetadataIS5_T0_XT2_EXT3_EEENS1_16TensorSizeStrideIS8_Lj4EEEiS8_ ; -- Begin function _ZN2at6native12_GLOBAL__N_126CatArrayBatchedCopy_contigINS1_10OpaqueTypeILj16EEEjLi3ELi128ELi1EEEvPT_NS1_25CatArrInputTensorMetadataIS5_T0_XT2_EXT3_EEENS1_16TensorSizeStrideIS8_Lj4EEEiS8_
	.p2align	8
	.type	_ZN2at6native12_GLOBAL__N_126CatArrayBatchedCopy_contigINS1_10OpaqueTypeILj16EEEjLi3ELi128ELi1EEEvPT_NS1_25CatArrInputTensorMetadataIS5_T0_XT2_EXT3_EEENS1_16TensorSizeStrideIS8_Lj4EEEiS8_,@function
_ZN2at6native12_GLOBAL__N_126CatArrayBatchedCopy_contigINS1_10OpaqueTypeILj16EEEjLi3ELi128ELi1EEEvPT_NS1_25CatArrInputTensorMetadataIS5_T0_XT2_EXT3_EEENS1_16TensorSizeStrideIS8_Lj4EEEiS8_: ; @_ZN2at6native12_GLOBAL__N_126CatArrayBatchedCopy_contigINS1_10OpaqueTypeILj16EEEjLi3ELi128ELi1EEEvPT_NS1_25CatArrInputTensorMetadataIS5_T0_XT2_EXT3_EEENS1_16TensorSizeStrideIS8_Lj4EEEiS8_
; %bb.0:
	s_mov_b32 s4, s3
	s_load_dword s3, s[0:1], 0xadc
	s_add_u32 s10, s0, 0xad0
	s_mov_b32 s5, 0
	s_addc_u32 s11, s1, 0
	s_lshl_b64 s[8:9], s[4:5], 2
	s_waitcnt lgkmcnt(0)
	s_and_b32 s15, s3, 0xffff
	s_add_u32 s4, s0, s8
	s_addc_u32 s5, s1, s9
	s_load_dword s12, s[4:5], 0x808
	s_mul_i32 s2, s2, s15
	v_add_u32_e32 v0, s2, v0
	s_add_u32 s13, s4, 8
	s_addc_u32 s14, s5, 0
	s_waitcnt lgkmcnt(0)
	v_cmp_gt_u32_e32 vcc, s12, v0
	s_and_saveexec_b64 s[2:3], vcc
	s_cbranch_execz .LBB93_3
; %bb.1:
	s_load_dwordx2 s[16:17], s[0:1], 0xac8
	s_load_dwordx4 s[4:7], s[0:1], 0xab8
	s_load_dwordx2 s[2:3], s[0:1], 0x0
	s_load_dwordx2 s[18:19], s[0:1], 0xaac
	s_add_u32 s0, s13, s8
	s_addc_u32 s1, s14, s9
	s_waitcnt lgkmcnt(0)
	s_sub_u32 s7, 0, s8
	s_subb_u32 s8, 0, s9
	s_add_u32 s20, s0, s7
	s_addc_u32 s21, s1, s8
	s_load_dwordx2 s[8:9], s[0:1], 0x0
	s_load_dword s22, s[20:21], 0x600
	s_load_dword s23, s[20:21], 0x400
	s_cmp_eq_u32 s16, 2
	s_load_dword s0, s[10:11], 0x0
	s_mov_b32 s13, s6
	s_waitcnt lgkmcnt(0)
	s_cselect_b32 s14, s22, s19
	v_cvt_f32_u32_e32 v1, s14
	s_cmp_eq_u32 s16, 1
	s_cselect_b32 s11, s22, s18
	v_cvt_f32_u32_e32 v2, s11
	v_rcp_iflag_f32_e32 v1, v1
	s_mul_i32 s15, s0, s15
	s_sub_i32 s0, 0, s14
	v_rcp_iflag_f32_e32 v2, v2
	v_mul_f32_e32 v1, 0x4f7ffffe, v1
	v_cvt_u32_f32_e32 v1, v1
	s_mov_b64 s[6:7], 0
	v_mul_f32_e32 v2, 0x4f7ffffe, v2
	v_cvt_u32_f32_e32 v4, v2
	v_mul_lo_u32 v3, s0, v1
	v_mul_hi_u32 v3, v1, v3
	s_sub_i32 s0, 0, s11
	v_add_u32_e32 v2, v1, v3
	v_mul_lo_u32 v3, s0, v4
	v_mul_hi_u32 v3, v4, v3
	s_mul_i32 s10, s23, s17
	v_mov_b32_e32 v1, 0
	v_add_u32_e32 v3, v4, v3
.LBB93_2:                               ; =>This Inner Loop Header: Depth=1
	v_lshl_add_u64 v[4:5], v[0:1], 4, s[8:9]
	global_load_dwordx4 v[4:7], v[4:5], off
	v_mul_hi_u32 v8, v2, v0
	v_mul_lo_u32 v10, s14, v8
	v_not_b32_e32 v11, v8
	v_sub_u32_e32 v13, v0, v10
	v_add_u32_e32 v12, 1, v8
	v_mad_u64_u32 v[10:11], s[0:1], s14, v11, v[0:1]
	v_cmp_le_u32_e32 vcc, s14, v13
	v_mov_b32_e32 v9, v1
	s_nop 0
	v_cndmask_b32_e32 v8, v8, v12, vcc
	v_cndmask_b32_e32 v10, v13, v10, vcc
	v_add_u32_e32 v11, 1, v8
	v_cmp_le_u32_e32 vcc, s14, v10
	s_nop 1
	v_cndmask_b32_e32 v8, v8, v11, vcc
	v_mul_hi_u32 v10, v8, v3
	v_mul_lo_u32 v12, v10, s11
	v_sub_u32_e32 v12, v8, v12
	v_mul_lo_u32 v11, v8, s14
	v_add_u32_e32 v13, 1, v10
	v_cmp_le_u32_e64 s[0:1], s11, v12
	v_sub_u32_e32 v11, v0, v11
	v_add_u32_e32 v0, s15, v0
	v_cndmask_b32_e64 v10, v10, v13, s[0:1]
	v_subrev_u32_e32 v13, s11, v12
	v_cmp_le_u32_e32 vcc, s12, v0
	v_cndmask_b32_e64 v12, v12, v13, s[0:1]
	s_or_b64 s[6:7], vcc, s[6:7]
	v_add_u32_e32 v13, 1, v10
	v_cmp_le_u32_e32 vcc, s11, v12
	v_mul_lo_u32 v11, v11, s13
	s_nop 0
	v_cndmask_b32_e32 v10, v10, v13, vcc
	v_mul_lo_u32 v12, v10, s11
	v_mul_lo_u32 v10, v10, s4
	v_sub_u32_e32 v8, v8, v12
	v_add_u32_e32 v10, s10, v10
	v_mul_lo_u32 v8, v8, s5
	v_add3_u32 v8, v10, v11, v8
	v_lshl_add_u64 v[8:9], v[8:9], 4, s[2:3]
	s_waitcnt vmcnt(0)
	global_store_dwordx4 v[8:9], v[4:7], off
	s_andn2_b64 exec, exec, s[6:7]
	s_cbranch_execnz .LBB93_2
.LBB93_3:
	s_endpgm
	.section	.rodata,"a",@progbits
	.p2align	6, 0x0
	.amdhsa_kernel _ZN2at6native12_GLOBAL__N_126CatArrayBatchedCopy_contigINS1_10OpaqueTypeILj16EEEjLi3ELi128ELi1EEEvPT_NS1_25CatArrInputTensorMetadataIS5_T0_XT2_EXT3_EEENS1_16TensorSizeStrideIS8_Lj4EEEiS8_
		.amdhsa_group_segment_fixed_size 0
		.amdhsa_private_segment_fixed_size 0
		.amdhsa_kernarg_size 3024
		.amdhsa_user_sgpr_count 2
		.amdhsa_user_sgpr_dispatch_ptr 0
		.amdhsa_user_sgpr_queue_ptr 0
		.amdhsa_user_sgpr_kernarg_segment_ptr 1
		.amdhsa_user_sgpr_dispatch_id 0
		.amdhsa_user_sgpr_kernarg_preload_length 0
		.amdhsa_user_sgpr_kernarg_preload_offset 0
		.amdhsa_user_sgpr_private_segment_size 0
		.amdhsa_uses_dynamic_stack 0
		.amdhsa_enable_private_segment 0
		.amdhsa_system_sgpr_workgroup_id_x 1
		.amdhsa_system_sgpr_workgroup_id_y 1
		.amdhsa_system_sgpr_workgroup_id_z 0
		.amdhsa_system_sgpr_workgroup_info 0
		.amdhsa_system_vgpr_workitem_id 0
		.amdhsa_next_free_vgpr 14
		.amdhsa_next_free_sgpr 24
		.amdhsa_accum_offset 16
		.amdhsa_reserve_vcc 1
		.amdhsa_float_round_mode_32 0
		.amdhsa_float_round_mode_16_64 0
		.amdhsa_float_denorm_mode_32 3
		.amdhsa_float_denorm_mode_16_64 3
		.amdhsa_dx10_clamp 1
		.amdhsa_ieee_mode 1
		.amdhsa_fp16_overflow 0
		.amdhsa_tg_split 0
		.amdhsa_exception_fp_ieee_invalid_op 0
		.amdhsa_exception_fp_denorm_src 0
		.amdhsa_exception_fp_ieee_div_zero 0
		.amdhsa_exception_fp_ieee_overflow 0
		.amdhsa_exception_fp_ieee_underflow 0
		.amdhsa_exception_fp_ieee_inexact 0
		.amdhsa_exception_int_div_zero 0
	.end_amdhsa_kernel
	.section	.text._ZN2at6native12_GLOBAL__N_126CatArrayBatchedCopy_contigINS1_10OpaqueTypeILj16EEEjLi3ELi128ELi1EEEvPT_NS1_25CatArrInputTensorMetadataIS5_T0_XT2_EXT3_EEENS1_16TensorSizeStrideIS8_Lj4EEEiS8_,"axG",@progbits,_ZN2at6native12_GLOBAL__N_126CatArrayBatchedCopy_contigINS1_10OpaqueTypeILj16EEEjLi3ELi128ELi1EEEvPT_NS1_25CatArrInputTensorMetadataIS5_T0_XT2_EXT3_EEENS1_16TensorSizeStrideIS8_Lj4EEEiS8_,comdat
.Lfunc_end93:
	.size	_ZN2at6native12_GLOBAL__N_126CatArrayBatchedCopy_contigINS1_10OpaqueTypeILj16EEEjLi3ELi128ELi1EEEvPT_NS1_25CatArrInputTensorMetadataIS5_T0_XT2_EXT3_EEENS1_16TensorSizeStrideIS8_Lj4EEEiS8_, .Lfunc_end93-_ZN2at6native12_GLOBAL__N_126CatArrayBatchedCopy_contigINS1_10OpaqueTypeILj16EEEjLi3ELi128ELi1EEEvPT_NS1_25CatArrInputTensorMetadataIS5_T0_XT2_EXT3_EEENS1_16TensorSizeStrideIS8_Lj4EEEiS8_
                                        ; -- End function
	.set _ZN2at6native12_GLOBAL__N_126CatArrayBatchedCopy_contigINS1_10OpaqueTypeILj16EEEjLi3ELi128ELi1EEEvPT_NS1_25CatArrInputTensorMetadataIS5_T0_XT2_EXT3_EEENS1_16TensorSizeStrideIS8_Lj4EEEiS8_.num_vgpr, 14
	.set _ZN2at6native12_GLOBAL__N_126CatArrayBatchedCopy_contigINS1_10OpaqueTypeILj16EEEjLi3ELi128ELi1EEEvPT_NS1_25CatArrInputTensorMetadataIS5_T0_XT2_EXT3_EEENS1_16TensorSizeStrideIS8_Lj4EEEiS8_.num_agpr, 0
	.set _ZN2at6native12_GLOBAL__N_126CatArrayBatchedCopy_contigINS1_10OpaqueTypeILj16EEEjLi3ELi128ELi1EEEvPT_NS1_25CatArrInputTensorMetadataIS5_T0_XT2_EXT3_EEENS1_16TensorSizeStrideIS8_Lj4EEEiS8_.numbered_sgpr, 24
	.set _ZN2at6native12_GLOBAL__N_126CatArrayBatchedCopy_contigINS1_10OpaqueTypeILj16EEEjLi3ELi128ELi1EEEvPT_NS1_25CatArrInputTensorMetadataIS5_T0_XT2_EXT3_EEENS1_16TensorSizeStrideIS8_Lj4EEEiS8_.num_named_barrier, 0
	.set _ZN2at6native12_GLOBAL__N_126CatArrayBatchedCopy_contigINS1_10OpaqueTypeILj16EEEjLi3ELi128ELi1EEEvPT_NS1_25CatArrInputTensorMetadataIS5_T0_XT2_EXT3_EEENS1_16TensorSizeStrideIS8_Lj4EEEiS8_.private_seg_size, 0
	.set _ZN2at6native12_GLOBAL__N_126CatArrayBatchedCopy_contigINS1_10OpaqueTypeILj16EEEjLi3ELi128ELi1EEEvPT_NS1_25CatArrInputTensorMetadataIS5_T0_XT2_EXT3_EEENS1_16TensorSizeStrideIS8_Lj4EEEiS8_.uses_vcc, 1
	.set _ZN2at6native12_GLOBAL__N_126CatArrayBatchedCopy_contigINS1_10OpaqueTypeILj16EEEjLi3ELi128ELi1EEEvPT_NS1_25CatArrInputTensorMetadataIS5_T0_XT2_EXT3_EEENS1_16TensorSizeStrideIS8_Lj4EEEiS8_.uses_flat_scratch, 0
	.set _ZN2at6native12_GLOBAL__N_126CatArrayBatchedCopy_contigINS1_10OpaqueTypeILj16EEEjLi3ELi128ELi1EEEvPT_NS1_25CatArrInputTensorMetadataIS5_T0_XT2_EXT3_EEENS1_16TensorSizeStrideIS8_Lj4EEEiS8_.has_dyn_sized_stack, 0
	.set _ZN2at6native12_GLOBAL__N_126CatArrayBatchedCopy_contigINS1_10OpaqueTypeILj16EEEjLi3ELi128ELi1EEEvPT_NS1_25CatArrInputTensorMetadataIS5_T0_XT2_EXT3_EEENS1_16TensorSizeStrideIS8_Lj4EEEiS8_.has_recursion, 0
	.set _ZN2at6native12_GLOBAL__N_126CatArrayBatchedCopy_contigINS1_10OpaqueTypeILj16EEEjLi3ELi128ELi1EEEvPT_NS1_25CatArrInputTensorMetadataIS5_T0_XT2_EXT3_EEENS1_16TensorSizeStrideIS8_Lj4EEEiS8_.has_indirect_call, 0
	.section	.AMDGPU.csdata,"",@progbits
; Kernel info:
; codeLenInByte = 572
; TotalNumSgprs: 30
; NumVgprs: 14
; NumAgprs: 0
; TotalNumVgprs: 14
; ScratchSize: 0
; MemoryBound: 0
; FloatMode: 240
; IeeeMode: 1
; LDSByteSize: 0 bytes/workgroup (compile time only)
; SGPRBlocks: 3
; VGPRBlocks: 1
; NumSGPRsForWavesPerEU: 30
; NumVGPRsForWavesPerEU: 14
; AccumOffset: 16
; Occupancy: 8
; WaveLimiterHint : 1
; COMPUTE_PGM_RSRC2:SCRATCH_EN: 0
; COMPUTE_PGM_RSRC2:USER_SGPR: 2
; COMPUTE_PGM_RSRC2:TRAP_HANDLER: 0
; COMPUTE_PGM_RSRC2:TGID_X_EN: 1
; COMPUTE_PGM_RSRC2:TGID_Y_EN: 1
; COMPUTE_PGM_RSRC2:TGID_Z_EN: 0
; COMPUTE_PGM_RSRC2:TIDIG_COMP_CNT: 0
; COMPUTE_PGM_RSRC3_GFX90A:ACCUM_OFFSET: 3
; COMPUTE_PGM_RSRC3_GFX90A:TG_SPLIT: 0
	.section	.text._ZN2at6native12_GLOBAL__N_119CatArrayBatchedCopyINS1_10OpaqueTypeILj16EEEjLi3ELi128ELi1EEEvPT_NS1_25CatArrInputTensorMetadataIS5_T0_XT2_EXT3_EEENS1_16TensorSizeStrideIS8_Lj4EEEiS8_,"axG",@progbits,_ZN2at6native12_GLOBAL__N_119CatArrayBatchedCopyINS1_10OpaqueTypeILj16EEEjLi3ELi128ELi1EEEvPT_NS1_25CatArrInputTensorMetadataIS5_T0_XT2_EXT3_EEENS1_16TensorSizeStrideIS8_Lj4EEEiS8_,comdat
	.globl	_ZN2at6native12_GLOBAL__N_119CatArrayBatchedCopyINS1_10OpaqueTypeILj16EEEjLi3ELi128ELi1EEEvPT_NS1_25CatArrInputTensorMetadataIS5_T0_XT2_EXT3_EEENS1_16TensorSizeStrideIS8_Lj4EEEiS8_ ; -- Begin function _ZN2at6native12_GLOBAL__N_119CatArrayBatchedCopyINS1_10OpaqueTypeILj16EEEjLi3ELi128ELi1EEEvPT_NS1_25CatArrInputTensorMetadataIS5_T0_XT2_EXT3_EEENS1_16TensorSizeStrideIS8_Lj4EEEiS8_
	.p2align	8
	.type	_ZN2at6native12_GLOBAL__N_119CatArrayBatchedCopyINS1_10OpaqueTypeILj16EEEjLi3ELi128ELi1EEEvPT_NS1_25CatArrInputTensorMetadataIS5_T0_XT2_EXT3_EEENS1_16TensorSizeStrideIS8_Lj4EEEiS8_,@function
_ZN2at6native12_GLOBAL__N_119CatArrayBatchedCopyINS1_10OpaqueTypeILj16EEEjLi3ELi128ELi1EEEvPT_NS1_25CatArrInputTensorMetadataIS5_T0_XT2_EXT3_EEENS1_16TensorSizeStrideIS8_Lj4EEEiS8_: ; @_ZN2at6native12_GLOBAL__N_119CatArrayBatchedCopyINS1_10OpaqueTypeILj16EEEjLi3ELi128ELi1EEEvPT_NS1_25CatArrInputTensorMetadataIS5_T0_XT2_EXT3_EEENS1_16TensorSizeStrideIS8_Lj4EEEiS8_
; %bb.0:
	s_mov_b32 s12, s3
	s_load_dword s3, s[0:1], 0xadc
	s_or_b32 s18, s0, 8
	s_add_u32 s16, s0, 0xad0
	s_mov_b32 s13, 0
	s_addc_u32 s17, s1, 0
	s_waitcnt lgkmcnt(0)
	s_and_b32 s21, s3, 0xffff
	s_lshl_b64 s[14:15], s[12:13], 2
	s_add_u32 s4, s18, s14
	s_addc_u32 s5, s1, s15
	s_load_dword s20, s[4:5], 0x800
	s_mul_i32 s2, s2, s21
	v_add_u32_e32 v0, s2, v0
	s_waitcnt lgkmcnt(0)
	v_cmp_gt_u32_e32 vcc, s20, v0
	s_and_saveexec_b64 s[2:3], vcc
	s_cbranch_execz .LBB94_5
; %bb.1:
	s_add_u32 s22, s18, s12
	s_addc_u32 s23, s1, 0
	v_mov_b32_e32 v1, 0
	global_load_ubyte v2, v1, s[22:23] offset:2560
	s_mov_b32 s19, s1
	s_load_dwordx2 s[24:25], s[0:1], 0xac8
	s_load_dwordx4 s[4:7], s[0:1], 0xab8
	s_load_dwordx4 s[8:11], s[18:19], 0xa90
	s_waitcnt lgkmcnt(0)
	s_load_dword s7, s[18:19], 0xa94
	s_load_dwordx2 s[2:3], s[0:1], 0x0
	s_load_dwordx2 s[26:27], s[0:1], 0xa8c
	;; [unrolled: 1-line block ×3, first 2 shown]
	s_load_dword s30, s[16:17], 0x0
	s_mul_i32 s16, s12, 7
	s_mul_hi_u32 s11, s12, 7
	s_mov_b64 s[12:13], 0
	s_mov_b32 s9, s10
	s_waitcnt vmcnt(0)
	v_and_b32_e32 v2, 1, v2
	v_cmp_eq_u32_e32 vcc, 1, v2
	s_xor_b64 s[0:1], vcc, -1
	s_add_u32 s16, s22, s16
	s_addc_u32 s17, s23, s11
	s_sub_u32 s10, 0, s14
	s_subb_u32 s11, 0, s15
	s_add_u32 s14, s16, s10
	s_addc_u32 s15, s17, s11
	s_load_dwordx2 s[10:11], s[16:17], 0x0
	s_load_dword s18, s[14:15], 0x400
	s_load_dword s19, s[14:15], 0x600
	s_cmp_eq_u32 s24, 2
	s_waitcnt lgkmcnt(0)
	s_mul_i32 s14, s30, s21
	v_cndmask_b32_e64 v2, 0, 1, s[0:1]
	s_mul_i32 s15, s18, s25
	s_cselect_b32 s16, s19, s29
	s_cselect_b32 s17, s19, s27
	s_cmp_eq_u32 s24, 1
	s_cselect_b32 s18, s19, s28
	s_cselect_b32 s19, s19, s26
	v_cvt_f32_u32_e32 v3, s16
	v_cvt_f32_u32_e32 v4, s17
	;; [unrolled: 1-line block ×4, first 2 shown]
	v_rcp_iflag_f32_e32 v3, v3
	v_rcp_iflag_f32_e32 v4, v4
	;; [unrolled: 1-line block ×4, first 2 shown]
	v_mul_f32_e32 v3, 0x4f7ffffe, v3
	v_mul_f32_e32 v4, 0x4f7ffffe, v4
	v_cvt_u32_f32_e32 v3, v3
	v_mul_f32_e32 v5, 0x4f7ffffe, v5
	v_cvt_u32_f32_e32 v7, v4
	;; [unrolled: 2-line block ×3, first 2 shown]
	v_cvt_u32_f32_e32 v8, v4
	s_sub_i32 s21, 0, s16
	s_sub_i32 s22, 0, s17
	;; [unrolled: 1-line block ×4, first 2 shown]
	v_mul_lo_u32 v4, s21, v3
	v_mul_lo_u32 v5, s22, v7
	v_mul_hi_u32 v4, v3, v4
	v_mul_lo_u32 v9, s0, v6
	v_mul_hi_u32 v5, v7, v5
	v_mul_lo_u32 v10, s1, v8
	v_add_u32_e32 v4, v3, v4
	v_mul_hi_u32 v3, v6, v9
	v_add_u32_e32 v5, v7, v5
	v_mul_hi_u32 v7, v8, v10
	v_add_u32_e32 v6, v6, v3
	v_add_u32_e32 v7, v8, v7
	v_cmp_ne_u32_e64 s[0:1], 1, v2
	s_branch .LBB94_3
.LBB94_2:                               ;   in Loop: Header=BB94_3 Depth=1
	v_lshl_add_u64 v[2:3], v[2:3], 4, s[10:11]
	global_load_dwordx4 v[8:11], v[2:3], off
	v_mul_hi_u32 v12, v4, v0
	v_mad_u64_u32 v[2:3], s[24:25], s21, v12, v[0:1]
	v_not_b32_e32 v13, v12
	v_add_u32_e32 v3, 1, v12
	v_cmp_le_u32_e32 vcc, s16, v2
	s_nop 1
	v_cndmask_b32_e32 v3, v12, v3, vcc
	v_mad_u64_u32 v[12:13], s[24:25], s16, v13, v[0:1]
	v_cndmask_b32_e32 v2, v2, v12, vcc
	v_add_u32_e32 v12, 1, v3
	v_cmp_le_u32_e32 vcc, s16, v2
	s_nop 1
	v_cndmask_b32_e32 v12, v3, v12, vcc
	v_mad_u64_u32 v[2:3], s[24:25], s21, v12, v[0:1]
	v_mul_hi_u32 v3, v12, v6
	v_mul_lo_u32 v13, v3, s18
	v_sub_u32_e32 v13, v12, v13
	v_add_u32_e32 v14, 1, v3
	v_cmp_le_u32_e32 vcc, s18, v13
	v_add_u32_e32 v0, s14, v0
	s_nop 0
	v_cndmask_b32_e32 v3, v3, v14, vcc
	v_subrev_u32_e32 v14, s18, v13
	v_cndmask_b32_e32 v13, v13, v14, vcc
	v_add_u32_e32 v14, 1, v3
	v_cmp_le_u32_e32 vcc, s18, v13
	s_nop 1
	v_cndmask_b32_e32 v3, v3, v14, vcc
	v_mul_lo_u32 v13, v3, s18
	v_sub_u32_e32 v12, v12, v13
	v_mul_lo_u32 v13, v12, s5
	v_mul_lo_u32 v12, v3, s4
	v_mad_u64_u32 v[2:3], s[24:25], v2, s6, v[12:13]
	v_add3_u32 v2, v2, v13, s15
	v_mov_b32_e32 v3, v1
	v_cmp_le_u32_e32 vcc, s20, v0
	v_lshl_add_u64 v[2:3], v[2:3], 4, s[2:3]
	s_or_b64 s[12:13], vcc, s[12:13]
	s_waitcnt vmcnt(0)
	global_store_dwordx4 v[2:3], v[8:11], off
	s_andn2_b64 exec, exec, s[12:13]
	s_cbranch_execz .LBB94_5
.LBB94_3:                               ; =>This Inner Loop Header: Depth=1
	s_and_b64 vcc, exec, s[0:1]
	v_mov_b64_e32 v[2:3], v[0:1]
	s_cbranch_vccnz .LBB94_2
; %bb.4:                                ;   in Loop: Header=BB94_3 Depth=1
	v_mul_hi_u32 v8, v5, v0
	v_mad_u64_u32 v[2:3], s[24:25], s22, v8, v[0:1]
	v_not_b32_e32 v9, v8
	v_add_u32_e32 v3, 1, v8
	v_cmp_le_u32_e32 vcc, s17, v2
	s_nop 1
	v_cndmask_b32_e32 v3, v8, v3, vcc
	v_mad_u64_u32 v[8:9], s[24:25], s17, v9, v[0:1]
	v_cndmask_b32_e32 v2, v2, v8, vcc
	v_add_u32_e32 v8, 1, v3
	v_cmp_le_u32_e32 vcc, s17, v2
	s_nop 1
	v_cndmask_b32_e32 v8, v3, v8, vcc
	v_mad_u64_u32 v[2:3], s[24:25], s22, v8, v[0:1]
	v_mul_hi_u32 v3, v8, v7
	v_mul_lo_u32 v9, v3, s19
	v_sub_u32_e32 v9, v8, v9
	v_add_u32_e32 v10, 1, v3
	v_cmp_le_u32_e32 vcc, s19, v9
	v_mul_lo_u32 v2, v2, s9
	s_nop 0
	v_cndmask_b32_e32 v3, v3, v10, vcc
	v_subrev_u32_e32 v10, s19, v9
	v_cndmask_b32_e32 v9, v9, v10, vcc
	v_add_u32_e32 v10, 1, v3
	v_cmp_le_u32_e32 vcc, s19, v9
	s_nop 1
	v_cndmask_b32_e32 v3, v3, v10, vcc
	v_mul_lo_u32 v9, v3, s19
	v_sub_u32_e32 v8, v8, v9
	v_mul_lo_u32 v8, v8, s7
	v_mul_lo_u32 v3, v3, s8
	v_add3_u32 v2, v2, v3, v8
	v_mov_b32_e32 v3, v1
	s_branch .LBB94_2
.LBB94_5:
	s_endpgm
	.section	.rodata,"a",@progbits
	.p2align	6, 0x0
	.amdhsa_kernel _ZN2at6native12_GLOBAL__N_119CatArrayBatchedCopyINS1_10OpaqueTypeILj16EEEjLi3ELi128ELi1EEEvPT_NS1_25CatArrInputTensorMetadataIS5_T0_XT2_EXT3_EEENS1_16TensorSizeStrideIS8_Lj4EEEiS8_
		.amdhsa_group_segment_fixed_size 0
		.amdhsa_private_segment_fixed_size 0
		.amdhsa_kernarg_size 3024
		.amdhsa_user_sgpr_count 2
		.amdhsa_user_sgpr_dispatch_ptr 0
		.amdhsa_user_sgpr_queue_ptr 0
		.amdhsa_user_sgpr_kernarg_segment_ptr 1
		.amdhsa_user_sgpr_dispatch_id 0
		.amdhsa_user_sgpr_kernarg_preload_length 0
		.amdhsa_user_sgpr_kernarg_preload_offset 0
		.amdhsa_user_sgpr_private_segment_size 0
		.amdhsa_uses_dynamic_stack 0
		.amdhsa_enable_private_segment 0
		.amdhsa_system_sgpr_workgroup_id_x 1
		.amdhsa_system_sgpr_workgroup_id_y 1
		.amdhsa_system_sgpr_workgroup_id_z 0
		.amdhsa_system_sgpr_workgroup_info 0
		.amdhsa_system_vgpr_workitem_id 0
		.amdhsa_next_free_vgpr 15
		.amdhsa_next_free_sgpr 31
		.amdhsa_accum_offset 16
		.amdhsa_reserve_vcc 1
		.amdhsa_float_round_mode_32 0
		.amdhsa_float_round_mode_16_64 0
		.amdhsa_float_denorm_mode_32 3
		.amdhsa_float_denorm_mode_16_64 3
		.amdhsa_dx10_clamp 1
		.amdhsa_ieee_mode 1
		.amdhsa_fp16_overflow 0
		.amdhsa_tg_split 0
		.amdhsa_exception_fp_ieee_invalid_op 0
		.amdhsa_exception_fp_denorm_src 0
		.amdhsa_exception_fp_ieee_div_zero 0
		.amdhsa_exception_fp_ieee_overflow 0
		.amdhsa_exception_fp_ieee_underflow 0
		.amdhsa_exception_fp_ieee_inexact 0
		.amdhsa_exception_int_div_zero 0
	.end_amdhsa_kernel
	.section	.text._ZN2at6native12_GLOBAL__N_119CatArrayBatchedCopyINS1_10OpaqueTypeILj16EEEjLi3ELi128ELi1EEEvPT_NS1_25CatArrInputTensorMetadataIS5_T0_XT2_EXT3_EEENS1_16TensorSizeStrideIS8_Lj4EEEiS8_,"axG",@progbits,_ZN2at6native12_GLOBAL__N_119CatArrayBatchedCopyINS1_10OpaqueTypeILj16EEEjLi3ELi128ELi1EEEvPT_NS1_25CatArrInputTensorMetadataIS5_T0_XT2_EXT3_EEENS1_16TensorSizeStrideIS8_Lj4EEEiS8_,comdat
.Lfunc_end94:
	.size	_ZN2at6native12_GLOBAL__N_119CatArrayBatchedCopyINS1_10OpaqueTypeILj16EEEjLi3ELi128ELi1EEEvPT_NS1_25CatArrInputTensorMetadataIS5_T0_XT2_EXT3_EEENS1_16TensorSizeStrideIS8_Lj4EEEiS8_, .Lfunc_end94-_ZN2at6native12_GLOBAL__N_119CatArrayBatchedCopyINS1_10OpaqueTypeILj16EEEjLi3ELi128ELi1EEEvPT_NS1_25CatArrInputTensorMetadataIS5_T0_XT2_EXT3_EEENS1_16TensorSizeStrideIS8_Lj4EEEiS8_
                                        ; -- End function
	.set _ZN2at6native12_GLOBAL__N_119CatArrayBatchedCopyINS1_10OpaqueTypeILj16EEEjLi3ELi128ELi1EEEvPT_NS1_25CatArrInputTensorMetadataIS5_T0_XT2_EXT3_EEENS1_16TensorSizeStrideIS8_Lj4EEEiS8_.num_vgpr, 15
	.set _ZN2at6native12_GLOBAL__N_119CatArrayBatchedCopyINS1_10OpaqueTypeILj16EEEjLi3ELi128ELi1EEEvPT_NS1_25CatArrInputTensorMetadataIS5_T0_XT2_EXT3_EEENS1_16TensorSizeStrideIS8_Lj4EEEiS8_.num_agpr, 0
	.set _ZN2at6native12_GLOBAL__N_119CatArrayBatchedCopyINS1_10OpaqueTypeILj16EEEjLi3ELi128ELi1EEEvPT_NS1_25CatArrInputTensorMetadataIS5_T0_XT2_EXT3_EEENS1_16TensorSizeStrideIS8_Lj4EEEiS8_.numbered_sgpr, 31
	.set _ZN2at6native12_GLOBAL__N_119CatArrayBatchedCopyINS1_10OpaqueTypeILj16EEEjLi3ELi128ELi1EEEvPT_NS1_25CatArrInputTensorMetadataIS5_T0_XT2_EXT3_EEENS1_16TensorSizeStrideIS8_Lj4EEEiS8_.num_named_barrier, 0
	.set _ZN2at6native12_GLOBAL__N_119CatArrayBatchedCopyINS1_10OpaqueTypeILj16EEEjLi3ELi128ELi1EEEvPT_NS1_25CatArrInputTensorMetadataIS5_T0_XT2_EXT3_EEENS1_16TensorSizeStrideIS8_Lj4EEEiS8_.private_seg_size, 0
	.set _ZN2at6native12_GLOBAL__N_119CatArrayBatchedCopyINS1_10OpaqueTypeILj16EEEjLi3ELi128ELi1EEEvPT_NS1_25CatArrInputTensorMetadataIS5_T0_XT2_EXT3_EEENS1_16TensorSizeStrideIS8_Lj4EEEiS8_.uses_vcc, 1
	.set _ZN2at6native12_GLOBAL__N_119CatArrayBatchedCopyINS1_10OpaqueTypeILj16EEEjLi3ELi128ELi1EEEvPT_NS1_25CatArrInputTensorMetadataIS5_T0_XT2_EXT3_EEENS1_16TensorSizeStrideIS8_Lj4EEEiS8_.uses_flat_scratch, 0
	.set _ZN2at6native12_GLOBAL__N_119CatArrayBatchedCopyINS1_10OpaqueTypeILj16EEEjLi3ELi128ELi1EEEvPT_NS1_25CatArrInputTensorMetadataIS5_T0_XT2_EXT3_EEENS1_16TensorSizeStrideIS8_Lj4EEEiS8_.has_dyn_sized_stack, 0
	.set _ZN2at6native12_GLOBAL__N_119CatArrayBatchedCopyINS1_10OpaqueTypeILj16EEEjLi3ELi128ELi1EEEvPT_NS1_25CatArrInputTensorMetadataIS5_T0_XT2_EXT3_EEENS1_16TensorSizeStrideIS8_Lj4EEEiS8_.has_recursion, 0
	.set _ZN2at6native12_GLOBAL__N_119CatArrayBatchedCopyINS1_10OpaqueTypeILj16EEEjLi3ELi128ELi1EEEvPT_NS1_25CatArrInputTensorMetadataIS5_T0_XT2_EXT3_EEENS1_16TensorSizeStrideIS8_Lj4EEEiS8_.has_indirect_call, 0
	.section	.AMDGPU.csdata,"",@progbits
; Kernel info:
; codeLenInByte = 928
; TotalNumSgprs: 37
; NumVgprs: 15
; NumAgprs: 0
; TotalNumVgprs: 15
; ScratchSize: 0
; MemoryBound: 0
; FloatMode: 240
; IeeeMode: 1
; LDSByteSize: 0 bytes/workgroup (compile time only)
; SGPRBlocks: 4
; VGPRBlocks: 1
; NumSGPRsForWavesPerEU: 37
; NumVGPRsForWavesPerEU: 15
; AccumOffset: 16
; Occupancy: 8
; WaveLimiterHint : 1
; COMPUTE_PGM_RSRC2:SCRATCH_EN: 0
; COMPUTE_PGM_RSRC2:USER_SGPR: 2
; COMPUTE_PGM_RSRC2:TRAP_HANDLER: 0
; COMPUTE_PGM_RSRC2:TGID_X_EN: 1
; COMPUTE_PGM_RSRC2:TGID_Y_EN: 1
; COMPUTE_PGM_RSRC2:TGID_Z_EN: 0
; COMPUTE_PGM_RSRC2:TIDIG_COMP_CNT: 0
; COMPUTE_PGM_RSRC3_GFX90A:ACCUM_OFFSET: 3
; COMPUTE_PGM_RSRC3_GFX90A:TG_SPLIT: 0
	.section	.text._ZN2at6native12_GLOBAL__N_130CatArrayBatchedCopy_vectorizedINS1_10OpaqueTypeILj16EEEjLi4ELi128ELi1ELi16ELi1EEEvPcNS1_25CatArrInputTensorMetadataIT_T0_XT2_EXT3_EEENS1_16TensorSizeStrideIS8_Lj4EEEiS8_,"axG",@progbits,_ZN2at6native12_GLOBAL__N_130CatArrayBatchedCopy_vectorizedINS1_10OpaqueTypeILj16EEEjLi4ELi128ELi1ELi16ELi1EEEvPcNS1_25CatArrInputTensorMetadataIT_T0_XT2_EXT3_EEENS1_16TensorSizeStrideIS8_Lj4EEEiS8_,comdat
	.globl	_ZN2at6native12_GLOBAL__N_130CatArrayBatchedCopy_vectorizedINS1_10OpaqueTypeILj16EEEjLi4ELi128ELi1ELi16ELi1EEEvPcNS1_25CatArrInputTensorMetadataIT_T0_XT2_EXT3_EEENS1_16TensorSizeStrideIS8_Lj4EEEiS8_ ; -- Begin function _ZN2at6native12_GLOBAL__N_130CatArrayBatchedCopy_vectorizedINS1_10OpaqueTypeILj16EEEjLi4ELi128ELi1ELi16ELi1EEEvPcNS1_25CatArrInputTensorMetadataIT_T0_XT2_EXT3_EEENS1_16TensorSizeStrideIS8_Lj4EEEiS8_
	.p2align	8
	.type	_ZN2at6native12_GLOBAL__N_130CatArrayBatchedCopy_vectorizedINS1_10OpaqueTypeILj16EEEjLi4ELi128ELi1ELi16ELi1EEEvPcNS1_25CatArrInputTensorMetadataIT_T0_XT2_EXT3_EEENS1_16TensorSizeStrideIS8_Lj4EEEiS8_,@function
_ZN2at6native12_GLOBAL__N_130CatArrayBatchedCopy_vectorizedINS1_10OpaqueTypeILj16EEEjLi4ELi128ELi1ELi16ELi1EEEvPcNS1_25CatArrInputTensorMetadataIT_T0_XT2_EXT3_EEENS1_16TensorSizeStrideIS8_Lj4EEEiS8_: ; @_ZN2at6native12_GLOBAL__N_130CatArrayBatchedCopy_vectorizedINS1_10OpaqueTypeILj16EEEjLi4ELi128ELi1ELi16ELi1EEEvPcNS1_25CatArrInputTensorMetadataIT_T0_XT2_EXT3_EEENS1_16TensorSizeStrideIS8_Lj4EEEiS8_
; %bb.0:
	s_mov_b32 s8, s3
	s_load_dword s3, s[0:1], 0xadc
	s_add_u32 s10, s0, 0xad0
	s_mov_b32 s9, 0
	s_addc_u32 s11, s1, 0
	s_lshl_b64 s[12:13], s[8:9], 2
	s_waitcnt lgkmcnt(0)
	s_and_b32 s15, s3, 0xffff
	s_add_u32 s4, s0, s12
	s_addc_u32 s5, s1, s13
	s_load_dword s14, s[4:5], 0x808
	s_mul_i32 s2, s2, s15
	v_add_u32_e32 v0, s2, v0
	s_add_u32 s2, s4, 8
	s_addc_u32 s3, s5, 0
	s_waitcnt lgkmcnt(0)
	v_cmp_gt_u32_e32 vcc, s14, v0
	s_and_saveexec_b64 s[4:5], vcc
	s_cbranch_execz .LBB95_3
; %bb.1:
	s_add_u32 s22, s2, s12
	s_addc_u32 s23, s3, s13
	s_load_dwordx4 s[4:7], s[0:1], 0xab8
	s_load_dwordx2 s[20:21], s[0:1], 0xac8
	s_sub_u32 s2, 0, s12
	s_subb_u32 s3, 0, s13
	s_add_u32 s12, s22, s2
	s_addc_u32 s13, s23, s3
	s_load_dwordx2 s[2:3], s[22:23], 0x0
	s_load_dword s8, s[12:13], 0x400
	s_load_dword s26, s[12:13], 0x600
	s_load_dwordx2 s[24:25], s[0:1], 0x0
	s_load_dwordx4 s[16:19], s[0:1], 0xaac
	s_waitcnt lgkmcnt(0)
	s_load_dword s19, s[10:11], 0x0
	s_mul_i32 s8, s8, s21
	s_lshl_b64 s[8:9], s[8:9], 4
	s_mul_i32 s26, s26, s21
	s_cmp_eq_u32 s20, 3
                                        ; kill: killed $sgpr10 killed $sgpr11
	s_cselect_b32 s10, s26, s18
	v_cvt_f32_u32_e32 v1, s10
	s_cmp_eq_u32 s20, 2
                                        ; kill: killed $sgpr12 killed $sgpr13
	s_cselect_b32 s12, s26, s17
	s_cmp_eq_u32 s20, 1
	v_rcp_iflag_f32_e32 v1, v1
	v_cvt_f32_u32_e32 v2, s12
	s_cselect_b32 s13, s26, s16
	s_add_u32 s8, s24, s8
	v_mul_f32_e32 v1, 0x4f7ffffe, v1
	v_cvt_u32_f32_e32 v1, v1
	s_waitcnt lgkmcnt(0)
	s_mul_i32 s11, s19, s15
	s_addc_u32 s9, s25, s9
	s_sub_i32 s15, 0, s10
	v_mul_lo_u32 v3, s15, v1
	v_rcp_iflag_f32_e32 v4, v2
	v_mul_hi_u32 v2, v1, v3
	v_cvt_f32_u32_e32 v3, s13
	v_add_u32_e32 v2, v1, v2
	v_mul_f32_e32 v1, 0x4f7ffffe, v4
	v_cvt_u32_f32_e32 v4, v1
	v_rcp_iflag_f32_e32 v3, v3
	s_sub_i32 s16, 0, s12
                                        ; kill: killed $sgpr0 killed $sgpr1
	s_mov_b64 s[0:1], 0
	v_mul_lo_u32 v5, s16, v4
	v_mul_f32_e32 v3, 0x4f7ffffe, v3
	v_cvt_u32_f32_e32 v6, v3
	v_mul_hi_u32 v3, v4, v5
	s_sub_i32 s16, 0, s13
	v_add_u32_e32 v3, v4, v3
	v_mul_lo_u32 v4, s16, v6
	v_mul_hi_u32 v4, v6, v4
	v_mov_b32_e32 v1, 0
	v_add_u32_e32 v4, v6, v4
                                        ; kill: killed $sgpr22 killed $sgpr23
.LBB95_2:                               ; =>This Inner Loop Header: Depth=1
	v_lshl_add_u64 v[6:7], v[0:1], 4, s[2:3]
	global_load_dwordx4 v[6:9], v[6:7], off
	v_mul_hi_u32 v5, v2, v0
	v_mul_lo_u32 v10, s10, v5
	v_not_b32_e32 v12, v5
	v_sub_u32_e32 v10, v0, v10
	v_add_u32_e32 v14, 1, v5
	v_mad_u64_u32 v[12:13], s[16:17], s10, v12, v[0:1]
	v_cmp_le_u32_e32 vcc, s10, v10
	v_mov_b32_e32 v11, v1
	s_nop 0
	v_cndmask_b32_e32 v5, v5, v14, vcc
	v_cndmask_b32_e32 v10, v10, v12, vcc
	v_add_u32_e32 v12, 1, v5
	v_cmp_le_u32_e32 vcc, s10, v10
	s_nop 1
	v_cndmask_b32_e32 v5, v5, v12, vcc
	v_mul_hi_u32 v14, v5, v3
	v_mad_u64_u32 v[12:13], s[16:17], s15, v5, v[0:1]
	v_add_u32_e32 v0, s11, v0
	v_mul_lo_u32 v13, v14, s12
	v_mul_lo_u32 v10, v12, s7
	v_cmp_le_u32_e32 vcc, s14, v0
	v_sub_u32_e32 v12, v5, v13
	v_add_u32_e32 v15, 1, v14
	s_or_b64 s[0:1], vcc, s[0:1]
	v_cmp_le_u32_e32 vcc, s12, v12
	s_nop 1
	v_cndmask_b32_e32 v13, v14, v15, vcc
	v_subrev_u32_e32 v14, s12, v12
	v_cndmask_b32_e32 v12, v12, v14, vcc
	v_add_u32_e32 v14, 1, v13
	v_cmp_le_u32_e32 vcc, s12, v12
	s_nop 1
	v_cndmask_b32_e32 v14, v13, v14, vcc
	v_mul_lo_u32 v12, v14, s12
	v_mul_hi_u32 v13, v14, v4
	v_sub_u32_e32 v5, v5, v12
	v_mul_lo_u32 v12, v13, s13
	v_sub_u32_e32 v12, v14, v12
	v_add_u32_e32 v15, 1, v13
	v_cmp_le_u32_e32 vcc, s13, v12
	v_mul_lo_u32 v5, v5, s6
	s_nop 0
	v_cndmask_b32_e32 v13, v13, v15, vcc
	v_subrev_u32_e32 v15, s13, v12
	v_cndmask_b32_e32 v12, v12, v15, vcc
	v_add_u32_e32 v15, 1, v13
	v_cmp_le_u32_e32 vcc, s13, v12
	s_nop 1
	v_cndmask_b32_e32 v12, v13, v15, vcc
	v_mul_lo_u32 v15, v12, s13
	v_mad_u64_u32 v[12:13], s[16:17], v12, s4, v[10:11]
	v_sub_u32_e32 v10, v14, v15
	v_mul_lo_u32 v10, v10, s5
	v_add3_u32 v10, v12, v5, v10
	v_lshl_add_u64 v[10:11], v[10:11], 4, s[8:9]
	s_waitcnt vmcnt(0)
	global_store_dwordx4 v[10:11], v[6:9], off
	s_andn2_b64 exec, exec, s[0:1]
	s_cbranch_execnz .LBB95_2
.LBB95_3:
	s_endpgm
	.section	.rodata,"a",@progbits
	.p2align	6, 0x0
	.amdhsa_kernel _ZN2at6native12_GLOBAL__N_130CatArrayBatchedCopy_vectorizedINS1_10OpaqueTypeILj16EEEjLi4ELi128ELi1ELi16ELi1EEEvPcNS1_25CatArrInputTensorMetadataIT_T0_XT2_EXT3_EEENS1_16TensorSizeStrideIS8_Lj4EEEiS8_
		.amdhsa_group_segment_fixed_size 0
		.amdhsa_private_segment_fixed_size 0
		.amdhsa_kernarg_size 3024
		.amdhsa_user_sgpr_count 2
		.amdhsa_user_sgpr_dispatch_ptr 0
		.amdhsa_user_sgpr_queue_ptr 0
		.amdhsa_user_sgpr_kernarg_segment_ptr 1
		.amdhsa_user_sgpr_dispatch_id 0
		.amdhsa_user_sgpr_kernarg_preload_length 0
		.amdhsa_user_sgpr_kernarg_preload_offset 0
		.amdhsa_user_sgpr_private_segment_size 0
		.amdhsa_uses_dynamic_stack 0
		.amdhsa_enable_private_segment 0
		.amdhsa_system_sgpr_workgroup_id_x 1
		.amdhsa_system_sgpr_workgroup_id_y 1
		.amdhsa_system_sgpr_workgroup_id_z 0
		.amdhsa_system_sgpr_workgroup_info 0
		.amdhsa_system_vgpr_workitem_id 0
		.amdhsa_next_free_vgpr 16
		.amdhsa_next_free_sgpr 27
		.amdhsa_accum_offset 16
		.amdhsa_reserve_vcc 1
		.amdhsa_float_round_mode_32 0
		.amdhsa_float_round_mode_16_64 0
		.amdhsa_float_denorm_mode_32 3
		.amdhsa_float_denorm_mode_16_64 3
		.amdhsa_dx10_clamp 1
		.amdhsa_ieee_mode 1
		.amdhsa_fp16_overflow 0
		.amdhsa_tg_split 0
		.amdhsa_exception_fp_ieee_invalid_op 0
		.amdhsa_exception_fp_denorm_src 0
		.amdhsa_exception_fp_ieee_div_zero 0
		.amdhsa_exception_fp_ieee_overflow 0
		.amdhsa_exception_fp_ieee_underflow 0
		.amdhsa_exception_fp_ieee_inexact 0
		.amdhsa_exception_int_div_zero 0
	.end_amdhsa_kernel
	.section	.text._ZN2at6native12_GLOBAL__N_130CatArrayBatchedCopy_vectorizedINS1_10OpaqueTypeILj16EEEjLi4ELi128ELi1ELi16ELi1EEEvPcNS1_25CatArrInputTensorMetadataIT_T0_XT2_EXT3_EEENS1_16TensorSizeStrideIS8_Lj4EEEiS8_,"axG",@progbits,_ZN2at6native12_GLOBAL__N_130CatArrayBatchedCopy_vectorizedINS1_10OpaqueTypeILj16EEEjLi4ELi128ELi1ELi16ELi1EEEvPcNS1_25CatArrInputTensorMetadataIT_T0_XT2_EXT3_EEENS1_16TensorSizeStrideIS8_Lj4EEEiS8_,comdat
.Lfunc_end95:
	.size	_ZN2at6native12_GLOBAL__N_130CatArrayBatchedCopy_vectorizedINS1_10OpaqueTypeILj16EEEjLi4ELi128ELi1ELi16ELi1EEEvPcNS1_25CatArrInputTensorMetadataIT_T0_XT2_EXT3_EEENS1_16TensorSizeStrideIS8_Lj4EEEiS8_, .Lfunc_end95-_ZN2at6native12_GLOBAL__N_130CatArrayBatchedCopy_vectorizedINS1_10OpaqueTypeILj16EEEjLi4ELi128ELi1ELi16ELi1EEEvPcNS1_25CatArrInputTensorMetadataIT_T0_XT2_EXT3_EEENS1_16TensorSizeStrideIS8_Lj4EEEiS8_
                                        ; -- End function
	.set _ZN2at6native12_GLOBAL__N_130CatArrayBatchedCopy_vectorizedINS1_10OpaqueTypeILj16EEEjLi4ELi128ELi1ELi16ELi1EEEvPcNS1_25CatArrInputTensorMetadataIT_T0_XT2_EXT3_EEENS1_16TensorSizeStrideIS8_Lj4EEEiS8_.num_vgpr, 16
	.set _ZN2at6native12_GLOBAL__N_130CatArrayBatchedCopy_vectorizedINS1_10OpaqueTypeILj16EEEjLi4ELi128ELi1ELi16ELi1EEEvPcNS1_25CatArrInputTensorMetadataIT_T0_XT2_EXT3_EEENS1_16TensorSizeStrideIS8_Lj4EEEiS8_.num_agpr, 0
	.set _ZN2at6native12_GLOBAL__N_130CatArrayBatchedCopy_vectorizedINS1_10OpaqueTypeILj16EEEjLi4ELi128ELi1ELi16ELi1EEEvPcNS1_25CatArrInputTensorMetadataIT_T0_XT2_EXT3_EEENS1_16TensorSizeStrideIS8_Lj4EEEiS8_.numbered_sgpr, 27
	.set _ZN2at6native12_GLOBAL__N_130CatArrayBatchedCopy_vectorizedINS1_10OpaqueTypeILj16EEEjLi4ELi128ELi1ELi16ELi1EEEvPcNS1_25CatArrInputTensorMetadataIT_T0_XT2_EXT3_EEENS1_16TensorSizeStrideIS8_Lj4EEEiS8_.num_named_barrier, 0
	.set _ZN2at6native12_GLOBAL__N_130CatArrayBatchedCopy_vectorizedINS1_10OpaqueTypeILj16EEEjLi4ELi128ELi1ELi16ELi1EEEvPcNS1_25CatArrInputTensorMetadataIT_T0_XT2_EXT3_EEENS1_16TensorSizeStrideIS8_Lj4EEEiS8_.private_seg_size, 0
	.set _ZN2at6native12_GLOBAL__N_130CatArrayBatchedCopy_vectorizedINS1_10OpaqueTypeILj16EEEjLi4ELi128ELi1ELi16ELi1EEEvPcNS1_25CatArrInputTensorMetadataIT_T0_XT2_EXT3_EEENS1_16TensorSizeStrideIS8_Lj4EEEiS8_.uses_vcc, 1
	.set _ZN2at6native12_GLOBAL__N_130CatArrayBatchedCopy_vectorizedINS1_10OpaqueTypeILj16EEEjLi4ELi128ELi1ELi16ELi1EEEvPcNS1_25CatArrInputTensorMetadataIT_T0_XT2_EXT3_EEENS1_16TensorSizeStrideIS8_Lj4EEEiS8_.uses_flat_scratch, 0
	.set _ZN2at6native12_GLOBAL__N_130CatArrayBatchedCopy_vectorizedINS1_10OpaqueTypeILj16EEEjLi4ELi128ELi1ELi16ELi1EEEvPcNS1_25CatArrInputTensorMetadataIT_T0_XT2_EXT3_EEENS1_16TensorSizeStrideIS8_Lj4EEEiS8_.has_dyn_sized_stack, 0
	.set _ZN2at6native12_GLOBAL__N_130CatArrayBatchedCopy_vectorizedINS1_10OpaqueTypeILj16EEEjLi4ELi128ELi1ELi16ELi1EEEvPcNS1_25CatArrInputTensorMetadataIT_T0_XT2_EXT3_EEENS1_16TensorSizeStrideIS8_Lj4EEEiS8_.has_recursion, 0
	.set _ZN2at6native12_GLOBAL__N_130CatArrayBatchedCopy_vectorizedINS1_10OpaqueTypeILj16EEEjLi4ELi128ELi1ELi16ELi1EEEvPcNS1_25CatArrInputTensorMetadataIT_T0_XT2_EXT3_EEENS1_16TensorSizeStrideIS8_Lj4EEEiS8_.has_indirect_call, 0
	.section	.AMDGPU.csdata,"",@progbits
; Kernel info:
; codeLenInByte = 700
; TotalNumSgprs: 33
; NumVgprs: 16
; NumAgprs: 0
; TotalNumVgprs: 16
; ScratchSize: 0
; MemoryBound: 0
; FloatMode: 240
; IeeeMode: 1
; LDSByteSize: 0 bytes/workgroup (compile time only)
; SGPRBlocks: 4
; VGPRBlocks: 1
; NumSGPRsForWavesPerEU: 33
; NumVGPRsForWavesPerEU: 16
; AccumOffset: 16
; Occupancy: 8
; WaveLimiterHint : 1
; COMPUTE_PGM_RSRC2:SCRATCH_EN: 0
; COMPUTE_PGM_RSRC2:USER_SGPR: 2
; COMPUTE_PGM_RSRC2:TRAP_HANDLER: 0
; COMPUTE_PGM_RSRC2:TGID_X_EN: 1
; COMPUTE_PGM_RSRC2:TGID_Y_EN: 1
; COMPUTE_PGM_RSRC2:TGID_Z_EN: 0
; COMPUTE_PGM_RSRC2:TIDIG_COMP_CNT: 0
; COMPUTE_PGM_RSRC3_GFX90A:ACCUM_OFFSET: 3
; COMPUTE_PGM_RSRC3_GFX90A:TG_SPLIT: 0
	.section	.text._ZN2at6native12_GLOBAL__N_135CatArrayBatchedCopy_alignedK_contigINS1_10OpaqueTypeILj16EEEjLi4ELi128ELi1ELi16EEEvPT_NS1_25CatArrInputTensorMetadataIS5_T0_XT2_EXT3_EEENS1_16TensorSizeStrideIS8_Lj4EEEiS8_,"axG",@progbits,_ZN2at6native12_GLOBAL__N_135CatArrayBatchedCopy_alignedK_contigINS1_10OpaqueTypeILj16EEEjLi4ELi128ELi1ELi16EEEvPT_NS1_25CatArrInputTensorMetadataIS5_T0_XT2_EXT3_EEENS1_16TensorSizeStrideIS8_Lj4EEEiS8_,comdat
	.globl	_ZN2at6native12_GLOBAL__N_135CatArrayBatchedCopy_alignedK_contigINS1_10OpaqueTypeILj16EEEjLi4ELi128ELi1ELi16EEEvPT_NS1_25CatArrInputTensorMetadataIS5_T0_XT2_EXT3_EEENS1_16TensorSizeStrideIS8_Lj4EEEiS8_ ; -- Begin function _ZN2at6native12_GLOBAL__N_135CatArrayBatchedCopy_alignedK_contigINS1_10OpaqueTypeILj16EEEjLi4ELi128ELi1ELi16EEEvPT_NS1_25CatArrInputTensorMetadataIS5_T0_XT2_EXT3_EEENS1_16TensorSizeStrideIS8_Lj4EEEiS8_
	.p2align	8
	.type	_ZN2at6native12_GLOBAL__N_135CatArrayBatchedCopy_alignedK_contigINS1_10OpaqueTypeILj16EEEjLi4ELi128ELi1ELi16EEEvPT_NS1_25CatArrInputTensorMetadataIS5_T0_XT2_EXT3_EEENS1_16TensorSizeStrideIS8_Lj4EEEiS8_,@function
_ZN2at6native12_GLOBAL__N_135CatArrayBatchedCopy_alignedK_contigINS1_10OpaqueTypeILj16EEEjLi4ELi128ELi1ELi16EEEvPT_NS1_25CatArrInputTensorMetadataIS5_T0_XT2_EXT3_EEENS1_16TensorSizeStrideIS8_Lj4EEEiS8_: ; @_ZN2at6native12_GLOBAL__N_135CatArrayBatchedCopy_alignedK_contigINS1_10OpaqueTypeILj16EEEjLi4ELi128ELi1ELi16EEEvPT_NS1_25CatArrInputTensorMetadataIS5_T0_XT2_EXT3_EEENS1_16TensorSizeStrideIS8_Lj4EEEiS8_
; %bb.0:
	s_mov_b32 s4, s3
	s_load_dword s3, s[0:1], 0xadc
	s_add_u32 s14, s0, 0xad0
	s_mov_b32 s5, 0
	s_addc_u32 s15, s1, 0
	s_lshl_b64 s[12:13], s[4:5], 2
	s_waitcnt lgkmcnt(0)
	s_and_b32 s18, s3, 0xffff
	s_add_u32 s4, s0, s12
	s_addc_u32 s5, s1, s13
	s_load_dword s16, s[4:5], 0x808
	s_mul_i32 s2, s2, s18
	v_add_u32_e32 v2, s2, v0
	s_add_u32 s2, s4, 8
	s_addc_u32 s3, s5, 0
	s_waitcnt lgkmcnt(0)
	v_cmp_gt_u32_e32 vcc, s16, v2
	s_and_saveexec_b64 s[4:5], vcc
	s_cbranch_execz .LBB96_6
; %bb.1:
	s_add_u32 s20, s2, s12
	s_load_dwordx8 s[4:11], s[0:1], 0xaac
	s_addc_u32 s21, s3, s13
	s_sub_u32 s2, 0, s12
	s_subb_u32 s3, 0, s13
	s_add_u32 s22, s20, s2
	s_addc_u32 s23, s21, s3
	s_load_dword s19, s[0:1], 0xacc
	s_load_dwordx2 s[12:13], s[20:21], 0x0
	s_load_dword s17, s[22:23], 0x600
	s_load_dword s24, s[22:23], 0x400
	;; [unrolled: 1-line block ×3, first 2 shown]
	s_load_dwordx2 s[2:3], s[0:1], 0x0
	s_waitcnt lgkmcnt(0)
	s_cmp_eq_u32 s11, 3
	s_cselect_b32 s6, s17, s6
	v_cvt_f32_u32_e32 v0, s6
	s_cmp_eq_u32 s11, 2
	s_mul_i32 s14, s24, s19
	s_cselect_b32 s19, s17, s5
	v_rcp_iflag_f32_e32 v0, v0
	s_cmp_eq_u32 s11, 1
	s_cselect_b32 s20, s17, s4
	s_sub_i32 s15, 0, s6
	v_mul_f32_e32 v0, 0x4f7ffffe, v0
	v_cvt_u32_f32_e32 v0, v0
	v_cvt_f32_u32_e32 v1, s19
	s_sub_i32 s21, 0, s19
	v_mov_b32_e32 v5, 0
	v_mul_lo_u32 v3, s15, v0
	v_mul_hi_u32 v3, v0, v3
	v_add_u32_e32 v0, v0, v3
	v_cvt_f32_u32_e32 v3, s20
	v_rcp_iflag_f32_e32 v1, v1
	s_mul_i32 s18, s25, s18
	s_mov_b64 s[0:1], 0
	v_rcp_iflag_f32_e32 v3, v3
	v_mul_f32_e32 v1, 0x4f7ffffe, v1
	v_cvt_u32_f32_e32 v4, v1
	v_mov_b32_e32 v1, v5
	v_mul_f32_e32 v3, 0x4f7ffffe, v3
	v_cvt_u32_f32_e32 v7, v3
	v_mul_lo_u32 v6, s21, v4
	v_mul_hi_u32 v3, v4, v6
	s_sub_i32 s21, 0, s20
	v_add_u32_e32 v3, v4, v3
	v_mul_lo_u32 v4, s21, v7
	v_mul_hi_u32 v4, v7, v4
	v_add_u32_e32 v7, v7, v4
	v_add_u32_e32 v6, 1, v2
.LBB96_2:                               ; =>This Inner Loop Header: Depth=1
	v_add_u32_e32 v4, -1, v6
	v_lshl_add_u64 v[8:9], v[4:5], 4, s[12:13]
	global_load_dwordx4 v[8:11], v[8:9], off
	v_mul_hi_u32 v12, v0, v2
	v_add_u32_e32 v6, s18, v6
	v_mul_lo_u32 v13, s6, v12
	v_not_b32_e32 v12, v12
	v_mul_hi_u32 v14, v4, v0
	v_cmp_lt_u32_e32 vcc, s16, v6
	v_sub_u32_e32 v15, v2, v13
	v_mad_u64_u32 v[12:13], s[22:23], s6, v12, v[2:3]
	v_add_u32_e32 v13, 1, v14
	s_or_b64 s[0:1], vcc, s[0:1]
	v_cmp_le_u32_e32 vcc, s6, v15
	v_add_u32_e32 v2, s18, v2
	s_nop 0
	v_cndmask_b32_e32 v13, v14, v13, vcc
	v_cndmask_b32_e32 v12, v15, v12, vcc
	v_add_u32_e32 v14, 1, v13
	v_cmp_le_u32_e32 vcc, s6, v12
	s_nop 1
	v_cndmask_b32_e32 v14, v13, v14, vcc
	v_mul_hi_u32 v15, v14, v3
	v_mad_u64_u32 v[12:13], s[22:23], s15, v14, v[4:5]
	v_mul_lo_u32 v4, v15, s19
	v_sub_u32_e32 v4, v14, v4
	v_add_u32_e32 v13, 1, v15
	v_cmp_le_u32_e32 vcc, s19, v4
	v_mul_lo_u32 v12, v12, s10
	s_nop 0
	v_cndmask_b32_e32 v13, v15, v13, vcc
	v_subrev_u32_e32 v15, s19, v4
	v_cndmask_b32_e32 v4, v4, v15, vcc
	v_add_u32_e32 v15, 1, v13
	v_cmp_le_u32_e32 vcc, s19, v4
	s_nop 1
	v_cndmask_b32_e32 v4, v13, v15, vcc
	v_mul_lo_u32 v13, v4, s19
	v_mul_hi_u32 v15, v4, v7
	v_sub_u32_e32 v13, v14, v13
	v_mul_lo_u32 v14, v15, s20
	v_sub_u32_e32 v14, v4, v14
	v_add_u32_e32 v16, 1, v15
	v_cmp_le_u32_e32 vcc, s20, v14
	v_mul_lo_u32 v13, v13, s9
	s_nop 0
	v_cndmask_b32_e32 v15, v15, v16, vcc
	v_subrev_u32_e32 v16, s20, v14
	v_cndmask_b32_e32 v14, v14, v16, vcc
	v_add_u32_e32 v16, 1, v15
	v_cmp_le_u32_e32 vcc, s20, v14
	s_nop 1
	v_cndmask_b32_e32 v14, v15, v16, vcc
	v_mul_lo_u32 v15, v14, s20
	v_mul_lo_u32 v14, v14, s7
	v_sub_u32_e32 v4, v4, v15
	v_add3_u32 v12, v14, v12, v13
	v_mul_lo_u32 v4, v4, s8
	v_add3_u32 v4, v12, v4, s14
	v_lshl_add_u64 v[12:13], v[4:5], 4, s[2:3]
	s_waitcnt vmcnt(0)
	global_store_dwordx4 v[12:13], v[8:11], off
	s_andn2_b64 exec, exec, s[0:1]
	s_cbranch_execnz .LBB96_2
; %bb.3:
	s_or_b64 exec, exec, s[0:1]
	v_add_u32_e32 v2, -1, v6
	v_cmp_gt_u32_e32 vcc, s16, v2
	s_and_b64 exec, exec, vcc
	s_cbranch_execz .LBB96_6
; %bb.4:
	s_cmp_eq_u32 s11, 2
	s_cselect_b32 s5, s17, s5
	v_cvt_f32_u32_e32 v3, s5
	s_cmp_eq_u32 s11, 1
	s_cselect_b32 s4, s17, s4
	v_cvt_f32_u32_e32 v4, s4
	v_rcp_iflag_f32_e32 v3, v3
	s_sub_i32 s0, 0, s5
	s_sub_i32 s1, 0, s4
	v_rcp_iflag_f32_e32 v4, v4
	v_mul_f32_e32 v3, 0x4f7ffffe, v3
	v_cvt_u32_f32_e32 v3, v3
	v_mov_b32_e32 v5, 0
	v_mul_f32_e32 v4, 0x4f7ffffe, v4
	v_cvt_u32_f32_e32 v4, v4
	v_mul_lo_u32 v6, s0, v3
	v_mul_hi_u32 v6, v3, v6
	v_add_u32_e32 v10, v3, v6
	v_mul_lo_u32 v3, s1, v4
	v_mul_hi_u32 v3, v4, v3
	v_add_u32_e32 v11, v4, v3
	v_mov_b32_e32 v3, v5
	v_mad_u64_u32 v[6:7], s[0:1], v0, v2, 0
	v_lshl_add_u64 v[8:9], v[2:3], 4, s[12:13]
	s_mov_b64 s[0:1], 0
.LBB96_5:                               ; =>This Inner Loop Header: Depth=1
	global_load_dwordx4 v[12:15], v[8:9], off
	v_not_b32_e32 v3, v7
	v_mul_lo_u32 v4, s6, v7
	v_mad_u64_u32 v[16:17], s[12:13], s6, v3, v[2:3]
	v_sub_u32_e32 v3, v2, v4
	v_add_u32_e32 v18, 1, v7
	v_cmp_le_u32_e32 vcc, s6, v3
	v_lshl_add_u64 v[8:9], v[8:9], 0, 16
	s_nop 0
	v_cndmask_b32_e32 v4, v7, v18, vcc
	v_cndmask_b32_e32 v3, v3, v16, vcc
	v_add_u32_e32 v16, 1, v4
	v_cmp_le_u32_e32 vcc, s6, v3
	v_lshl_add_u64 v[6:7], v[6:7], 0, v[0:1]
	s_nop 0
	v_cndmask_b32_e32 v3, v4, v16, vcc
	v_mul_hi_u32 v4, v3, v10
	v_mad_u64_u32 v[16:17], s[12:13], s15, v3, v[2:3]
	v_add_u32_e32 v2, 1, v2
	v_mul_lo_u32 v17, v4, s5
	v_cmp_le_u32_e32 vcc, s16, v2
	v_sub_u32_e32 v17, v3, v17
	v_add_u32_e32 v18, 1, v4
	s_or_b64 s[0:1], vcc, s[0:1]
	v_cmp_le_u32_e32 vcc, s5, v17
	v_mul_lo_u32 v16, v16, s10
	s_nop 0
	v_cndmask_b32_e32 v4, v4, v18, vcc
	v_subrev_u32_e32 v18, s5, v17
	v_cndmask_b32_e32 v17, v17, v18, vcc
	v_add_u32_e32 v18, 1, v4
	v_cmp_le_u32_e32 vcc, s5, v17
	s_nop 1
	v_cndmask_b32_e32 v4, v4, v18, vcc
	v_mul_hi_u32 v17, v4, v11
	v_mul_lo_u32 v18, v4, s5
	v_mul_lo_u32 v19, v17, s4
	v_sub_u32_e32 v3, v3, v18
	v_sub_u32_e32 v18, v4, v19
	v_add_u32_e32 v20, 1, v17
	v_cmp_le_u32_e32 vcc, s4, v18
	v_subrev_u32_e32 v19, s4, v18
	v_mul_lo_u32 v3, v3, s9
	v_cndmask_b32_e32 v17, v17, v20, vcc
	v_cndmask_b32_e32 v18, v18, v19, vcc
	v_add_u32_e32 v19, 1, v17
	v_cmp_le_u32_e32 vcc, s4, v18
	s_nop 1
	v_cndmask_b32_e32 v17, v17, v19, vcc
	v_mul_lo_u32 v18, v17, s4
	v_mul_lo_u32 v17, v17, s7
	v_sub_u32_e32 v4, v4, v18
	v_add3_u32 v16, v16, s14, v17
	v_mul_lo_u32 v4, v4, s8
	v_add3_u32 v4, v16, v3, v4
	v_lshl_add_u64 v[16:17], v[4:5], 4, s[2:3]
	s_waitcnt vmcnt(0)
	global_store_dwordx4 v[16:17], v[12:15], off
	s_andn2_b64 exec, exec, s[0:1]
	s_cbranch_execnz .LBB96_5
.LBB96_6:
	s_endpgm
	.section	.rodata,"a",@progbits
	.p2align	6, 0x0
	.amdhsa_kernel _ZN2at6native12_GLOBAL__N_135CatArrayBatchedCopy_alignedK_contigINS1_10OpaqueTypeILj16EEEjLi4ELi128ELi1ELi16EEEvPT_NS1_25CatArrInputTensorMetadataIS5_T0_XT2_EXT3_EEENS1_16TensorSizeStrideIS8_Lj4EEEiS8_
		.amdhsa_group_segment_fixed_size 0
		.amdhsa_private_segment_fixed_size 0
		.amdhsa_kernarg_size 3024
		.amdhsa_user_sgpr_count 2
		.amdhsa_user_sgpr_dispatch_ptr 0
		.amdhsa_user_sgpr_queue_ptr 0
		.amdhsa_user_sgpr_kernarg_segment_ptr 1
		.amdhsa_user_sgpr_dispatch_id 0
		.amdhsa_user_sgpr_kernarg_preload_length 0
		.amdhsa_user_sgpr_kernarg_preload_offset 0
		.amdhsa_user_sgpr_private_segment_size 0
		.amdhsa_uses_dynamic_stack 0
		.amdhsa_enable_private_segment 0
		.amdhsa_system_sgpr_workgroup_id_x 1
		.amdhsa_system_sgpr_workgroup_id_y 1
		.amdhsa_system_sgpr_workgroup_id_z 0
		.amdhsa_system_sgpr_workgroup_info 0
		.amdhsa_system_vgpr_workitem_id 0
		.amdhsa_next_free_vgpr 21
		.amdhsa_next_free_sgpr 26
		.amdhsa_accum_offset 24
		.amdhsa_reserve_vcc 1
		.amdhsa_float_round_mode_32 0
		.amdhsa_float_round_mode_16_64 0
		.amdhsa_float_denorm_mode_32 3
		.amdhsa_float_denorm_mode_16_64 3
		.amdhsa_dx10_clamp 1
		.amdhsa_ieee_mode 1
		.amdhsa_fp16_overflow 0
		.amdhsa_tg_split 0
		.amdhsa_exception_fp_ieee_invalid_op 0
		.amdhsa_exception_fp_denorm_src 0
		.amdhsa_exception_fp_ieee_div_zero 0
		.amdhsa_exception_fp_ieee_overflow 0
		.amdhsa_exception_fp_ieee_underflow 0
		.amdhsa_exception_fp_ieee_inexact 0
		.amdhsa_exception_int_div_zero 0
	.end_amdhsa_kernel
	.section	.text._ZN2at6native12_GLOBAL__N_135CatArrayBatchedCopy_alignedK_contigINS1_10OpaqueTypeILj16EEEjLi4ELi128ELi1ELi16EEEvPT_NS1_25CatArrInputTensorMetadataIS5_T0_XT2_EXT3_EEENS1_16TensorSizeStrideIS8_Lj4EEEiS8_,"axG",@progbits,_ZN2at6native12_GLOBAL__N_135CatArrayBatchedCopy_alignedK_contigINS1_10OpaqueTypeILj16EEEjLi4ELi128ELi1ELi16EEEvPT_NS1_25CatArrInputTensorMetadataIS5_T0_XT2_EXT3_EEENS1_16TensorSizeStrideIS8_Lj4EEEiS8_,comdat
.Lfunc_end96:
	.size	_ZN2at6native12_GLOBAL__N_135CatArrayBatchedCopy_alignedK_contigINS1_10OpaqueTypeILj16EEEjLi4ELi128ELi1ELi16EEEvPT_NS1_25CatArrInputTensorMetadataIS5_T0_XT2_EXT3_EEENS1_16TensorSizeStrideIS8_Lj4EEEiS8_, .Lfunc_end96-_ZN2at6native12_GLOBAL__N_135CatArrayBatchedCopy_alignedK_contigINS1_10OpaqueTypeILj16EEEjLi4ELi128ELi1ELi16EEEvPT_NS1_25CatArrInputTensorMetadataIS5_T0_XT2_EXT3_EEENS1_16TensorSizeStrideIS8_Lj4EEEiS8_
                                        ; -- End function
	.set _ZN2at6native12_GLOBAL__N_135CatArrayBatchedCopy_alignedK_contigINS1_10OpaqueTypeILj16EEEjLi4ELi128ELi1ELi16EEEvPT_NS1_25CatArrInputTensorMetadataIS5_T0_XT2_EXT3_EEENS1_16TensorSizeStrideIS8_Lj4EEEiS8_.num_vgpr, 21
	.set _ZN2at6native12_GLOBAL__N_135CatArrayBatchedCopy_alignedK_contigINS1_10OpaqueTypeILj16EEEjLi4ELi128ELi1ELi16EEEvPT_NS1_25CatArrInputTensorMetadataIS5_T0_XT2_EXT3_EEENS1_16TensorSizeStrideIS8_Lj4EEEiS8_.num_agpr, 0
	.set _ZN2at6native12_GLOBAL__N_135CatArrayBatchedCopy_alignedK_contigINS1_10OpaqueTypeILj16EEEjLi4ELi128ELi1ELi16EEEvPT_NS1_25CatArrInputTensorMetadataIS5_T0_XT2_EXT3_EEENS1_16TensorSizeStrideIS8_Lj4EEEiS8_.numbered_sgpr, 26
	.set _ZN2at6native12_GLOBAL__N_135CatArrayBatchedCopy_alignedK_contigINS1_10OpaqueTypeILj16EEEjLi4ELi128ELi1ELi16EEEvPT_NS1_25CatArrInputTensorMetadataIS5_T0_XT2_EXT3_EEENS1_16TensorSizeStrideIS8_Lj4EEEiS8_.num_named_barrier, 0
	.set _ZN2at6native12_GLOBAL__N_135CatArrayBatchedCopy_alignedK_contigINS1_10OpaqueTypeILj16EEEjLi4ELi128ELi1ELi16EEEvPT_NS1_25CatArrInputTensorMetadataIS5_T0_XT2_EXT3_EEENS1_16TensorSizeStrideIS8_Lj4EEEiS8_.private_seg_size, 0
	.set _ZN2at6native12_GLOBAL__N_135CatArrayBatchedCopy_alignedK_contigINS1_10OpaqueTypeILj16EEEjLi4ELi128ELi1ELi16EEEvPT_NS1_25CatArrInputTensorMetadataIS5_T0_XT2_EXT3_EEENS1_16TensorSizeStrideIS8_Lj4EEEiS8_.uses_vcc, 1
	.set _ZN2at6native12_GLOBAL__N_135CatArrayBatchedCopy_alignedK_contigINS1_10OpaqueTypeILj16EEEjLi4ELi128ELi1ELi16EEEvPT_NS1_25CatArrInputTensorMetadataIS5_T0_XT2_EXT3_EEENS1_16TensorSizeStrideIS8_Lj4EEEiS8_.uses_flat_scratch, 0
	.set _ZN2at6native12_GLOBAL__N_135CatArrayBatchedCopy_alignedK_contigINS1_10OpaqueTypeILj16EEEjLi4ELi128ELi1ELi16EEEvPT_NS1_25CatArrInputTensorMetadataIS5_T0_XT2_EXT3_EEENS1_16TensorSizeStrideIS8_Lj4EEEiS8_.has_dyn_sized_stack, 0
	.set _ZN2at6native12_GLOBAL__N_135CatArrayBatchedCopy_alignedK_contigINS1_10OpaqueTypeILj16EEEjLi4ELi128ELi1ELi16EEEvPT_NS1_25CatArrInputTensorMetadataIS5_T0_XT2_EXT3_EEENS1_16TensorSizeStrideIS8_Lj4EEEiS8_.has_recursion, 0
	.set _ZN2at6native12_GLOBAL__N_135CatArrayBatchedCopy_alignedK_contigINS1_10OpaqueTypeILj16EEEjLi4ELi128ELi1ELi16EEEvPT_NS1_25CatArrInputTensorMetadataIS5_T0_XT2_EXT3_EEENS1_16TensorSizeStrideIS8_Lj4EEEiS8_.has_indirect_call, 0
	.section	.AMDGPU.csdata,"",@progbits
; Kernel info:
; codeLenInByte = 1172
; TotalNumSgprs: 32
; NumVgprs: 21
; NumAgprs: 0
; TotalNumVgprs: 21
; ScratchSize: 0
; MemoryBound: 0
; FloatMode: 240
; IeeeMode: 1
; LDSByteSize: 0 bytes/workgroup (compile time only)
; SGPRBlocks: 3
; VGPRBlocks: 2
; NumSGPRsForWavesPerEU: 32
; NumVGPRsForWavesPerEU: 21
; AccumOffset: 24
; Occupancy: 8
; WaveLimiterHint : 1
; COMPUTE_PGM_RSRC2:SCRATCH_EN: 0
; COMPUTE_PGM_RSRC2:USER_SGPR: 2
; COMPUTE_PGM_RSRC2:TRAP_HANDLER: 0
; COMPUTE_PGM_RSRC2:TGID_X_EN: 1
; COMPUTE_PGM_RSRC2:TGID_Y_EN: 1
; COMPUTE_PGM_RSRC2:TGID_Z_EN: 0
; COMPUTE_PGM_RSRC2:TIDIG_COMP_CNT: 0
; COMPUTE_PGM_RSRC3_GFX90A:ACCUM_OFFSET: 5
; COMPUTE_PGM_RSRC3_GFX90A:TG_SPLIT: 0
	.section	.text._ZN2at6native12_GLOBAL__N_135CatArrayBatchedCopy_alignedK_contigINS1_10OpaqueTypeILj16EEEjLi4ELi128ELi1ELi8EEEvPT_NS1_25CatArrInputTensorMetadataIS5_T0_XT2_EXT3_EEENS1_16TensorSizeStrideIS8_Lj4EEEiS8_,"axG",@progbits,_ZN2at6native12_GLOBAL__N_135CatArrayBatchedCopy_alignedK_contigINS1_10OpaqueTypeILj16EEEjLi4ELi128ELi1ELi8EEEvPT_NS1_25CatArrInputTensorMetadataIS5_T0_XT2_EXT3_EEENS1_16TensorSizeStrideIS8_Lj4EEEiS8_,comdat
	.globl	_ZN2at6native12_GLOBAL__N_135CatArrayBatchedCopy_alignedK_contigINS1_10OpaqueTypeILj16EEEjLi4ELi128ELi1ELi8EEEvPT_NS1_25CatArrInputTensorMetadataIS5_T0_XT2_EXT3_EEENS1_16TensorSizeStrideIS8_Lj4EEEiS8_ ; -- Begin function _ZN2at6native12_GLOBAL__N_135CatArrayBatchedCopy_alignedK_contigINS1_10OpaqueTypeILj16EEEjLi4ELi128ELi1ELi8EEEvPT_NS1_25CatArrInputTensorMetadataIS5_T0_XT2_EXT3_EEENS1_16TensorSizeStrideIS8_Lj4EEEiS8_
	.p2align	8
	.type	_ZN2at6native12_GLOBAL__N_135CatArrayBatchedCopy_alignedK_contigINS1_10OpaqueTypeILj16EEEjLi4ELi128ELi1ELi8EEEvPT_NS1_25CatArrInputTensorMetadataIS5_T0_XT2_EXT3_EEENS1_16TensorSizeStrideIS8_Lj4EEEiS8_,@function
_ZN2at6native12_GLOBAL__N_135CatArrayBatchedCopy_alignedK_contigINS1_10OpaqueTypeILj16EEEjLi4ELi128ELi1ELi8EEEvPT_NS1_25CatArrInputTensorMetadataIS5_T0_XT2_EXT3_EEENS1_16TensorSizeStrideIS8_Lj4EEEiS8_: ; @_ZN2at6native12_GLOBAL__N_135CatArrayBatchedCopy_alignedK_contigINS1_10OpaqueTypeILj16EEEjLi4ELi128ELi1ELi8EEEvPT_NS1_25CatArrInputTensorMetadataIS5_T0_XT2_EXT3_EEENS1_16TensorSizeStrideIS8_Lj4EEEiS8_
; %bb.0:
	s_mov_b32 s4, s3
	s_load_dword s3, s[0:1], 0xadc
	s_add_u32 s14, s0, 0xad0
	s_mov_b32 s5, 0
	s_addc_u32 s15, s1, 0
	s_lshl_b64 s[12:13], s[4:5], 2
	s_waitcnt lgkmcnt(0)
	s_and_b32 s18, s3, 0xffff
	s_add_u32 s4, s0, s12
	s_addc_u32 s5, s1, s13
	s_load_dword s16, s[4:5], 0x808
	s_mul_i32 s2, s2, s18
	v_add_u32_e32 v2, s2, v0
	s_add_u32 s2, s4, 8
	s_addc_u32 s3, s5, 0
	s_waitcnt lgkmcnt(0)
	v_cmp_gt_u32_e32 vcc, s16, v2
	s_and_saveexec_b64 s[4:5], vcc
	s_cbranch_execz .LBB97_6
; %bb.1:
	s_add_u32 s20, s2, s12
	s_load_dwordx8 s[4:11], s[0:1], 0xaac
	s_addc_u32 s21, s3, s13
	s_sub_u32 s2, 0, s12
	s_subb_u32 s3, 0, s13
	s_add_u32 s22, s20, s2
	s_addc_u32 s23, s21, s3
	s_load_dword s19, s[0:1], 0xacc
	s_load_dwordx2 s[12:13], s[20:21], 0x0
	s_load_dword s17, s[22:23], 0x600
	s_load_dword s24, s[22:23], 0x400
	;; [unrolled: 1-line block ×3, first 2 shown]
	s_load_dwordx2 s[2:3], s[0:1], 0x0
	s_waitcnt lgkmcnt(0)
	s_cmp_eq_u32 s11, 3
	s_cselect_b32 s6, s17, s6
	v_cvt_f32_u32_e32 v0, s6
	s_cmp_eq_u32 s11, 2
	s_mul_i32 s14, s24, s19
	s_cselect_b32 s19, s17, s5
	v_rcp_iflag_f32_e32 v0, v0
	s_cmp_eq_u32 s11, 1
	s_cselect_b32 s20, s17, s4
	s_sub_i32 s15, 0, s6
	v_mul_f32_e32 v0, 0x4f7ffffe, v0
	v_cvt_u32_f32_e32 v0, v0
	v_cvt_f32_u32_e32 v1, s19
	s_sub_i32 s21, 0, s19
	v_mov_b32_e32 v5, 0
	v_mul_lo_u32 v3, s15, v0
	v_mul_hi_u32 v3, v0, v3
	v_add_u32_e32 v0, v0, v3
	v_cvt_f32_u32_e32 v3, s20
	v_rcp_iflag_f32_e32 v1, v1
	s_mul_i32 s18, s25, s18
	s_mov_b64 s[0:1], 0
	v_rcp_iflag_f32_e32 v3, v3
	v_mul_f32_e32 v1, 0x4f7ffffe, v1
	v_cvt_u32_f32_e32 v4, v1
	v_mov_b32_e32 v1, v5
	v_mul_f32_e32 v3, 0x4f7ffffe, v3
	v_cvt_u32_f32_e32 v7, v3
	v_mul_lo_u32 v6, s21, v4
	v_mul_hi_u32 v3, v4, v6
	s_sub_i32 s21, 0, s20
	v_add_u32_e32 v3, v4, v3
	v_mul_lo_u32 v4, s21, v7
	v_mul_hi_u32 v4, v7, v4
	v_add_u32_e32 v7, v7, v4
	v_add_u32_e32 v6, 1, v2
.LBB97_2:                               ; =>This Inner Loop Header: Depth=1
	v_add_u32_e32 v4, -1, v6
	v_lshl_add_u64 v[8:9], v[4:5], 4, s[12:13]
	global_load_dwordx4 v[8:11], v[8:9], off
	v_mul_hi_u32 v12, v0, v2
	v_add_u32_e32 v6, s18, v6
	v_mul_lo_u32 v13, s6, v12
	v_not_b32_e32 v12, v12
	v_mul_hi_u32 v14, v4, v0
	v_cmp_lt_u32_e32 vcc, s16, v6
	v_sub_u32_e32 v15, v2, v13
	v_mad_u64_u32 v[12:13], s[22:23], s6, v12, v[2:3]
	v_add_u32_e32 v13, 1, v14
	s_or_b64 s[0:1], vcc, s[0:1]
	v_cmp_le_u32_e32 vcc, s6, v15
	v_add_u32_e32 v2, s18, v2
	s_nop 0
	v_cndmask_b32_e32 v13, v14, v13, vcc
	v_cndmask_b32_e32 v12, v15, v12, vcc
	v_add_u32_e32 v14, 1, v13
	v_cmp_le_u32_e32 vcc, s6, v12
	s_nop 1
	v_cndmask_b32_e32 v14, v13, v14, vcc
	v_mul_hi_u32 v15, v14, v3
	v_mad_u64_u32 v[12:13], s[22:23], s15, v14, v[4:5]
	v_mul_lo_u32 v4, v15, s19
	v_sub_u32_e32 v4, v14, v4
	v_add_u32_e32 v13, 1, v15
	v_cmp_le_u32_e32 vcc, s19, v4
	v_mul_lo_u32 v12, v12, s10
	s_nop 0
	v_cndmask_b32_e32 v13, v15, v13, vcc
	v_subrev_u32_e32 v15, s19, v4
	v_cndmask_b32_e32 v4, v4, v15, vcc
	v_add_u32_e32 v15, 1, v13
	v_cmp_le_u32_e32 vcc, s19, v4
	s_nop 1
	v_cndmask_b32_e32 v4, v13, v15, vcc
	v_mul_lo_u32 v13, v4, s19
	v_mul_hi_u32 v15, v4, v7
	v_sub_u32_e32 v13, v14, v13
	v_mul_lo_u32 v14, v15, s20
	v_sub_u32_e32 v14, v4, v14
	v_add_u32_e32 v16, 1, v15
	v_cmp_le_u32_e32 vcc, s20, v14
	v_mul_lo_u32 v13, v13, s9
	s_nop 0
	v_cndmask_b32_e32 v15, v15, v16, vcc
	v_subrev_u32_e32 v16, s20, v14
	v_cndmask_b32_e32 v14, v14, v16, vcc
	v_add_u32_e32 v16, 1, v15
	v_cmp_le_u32_e32 vcc, s20, v14
	s_nop 1
	v_cndmask_b32_e32 v14, v15, v16, vcc
	v_mul_lo_u32 v15, v14, s20
	v_mul_lo_u32 v14, v14, s7
	v_sub_u32_e32 v4, v4, v15
	v_add3_u32 v12, v14, v12, v13
	v_mul_lo_u32 v4, v4, s8
	v_add3_u32 v4, v12, v4, s14
	v_lshl_add_u64 v[12:13], v[4:5], 4, s[2:3]
	s_waitcnt vmcnt(0)
	global_store_dwordx4 v[12:13], v[8:11], off
	s_andn2_b64 exec, exec, s[0:1]
	s_cbranch_execnz .LBB97_2
; %bb.3:
	s_or_b64 exec, exec, s[0:1]
	v_add_u32_e32 v2, -1, v6
	v_cmp_gt_u32_e32 vcc, s16, v2
	s_and_b64 exec, exec, vcc
	s_cbranch_execz .LBB97_6
; %bb.4:
	s_cmp_eq_u32 s11, 2
	s_cselect_b32 s5, s17, s5
	v_cvt_f32_u32_e32 v3, s5
	s_cmp_eq_u32 s11, 1
	s_cselect_b32 s4, s17, s4
	v_cvt_f32_u32_e32 v4, s4
	v_rcp_iflag_f32_e32 v3, v3
	s_sub_i32 s0, 0, s5
	s_sub_i32 s1, 0, s4
	v_rcp_iflag_f32_e32 v4, v4
	v_mul_f32_e32 v3, 0x4f7ffffe, v3
	v_cvt_u32_f32_e32 v3, v3
	v_mov_b32_e32 v5, 0
	v_mul_f32_e32 v4, 0x4f7ffffe, v4
	v_cvt_u32_f32_e32 v4, v4
	v_mul_lo_u32 v6, s0, v3
	v_mul_hi_u32 v6, v3, v6
	v_add_u32_e32 v10, v3, v6
	v_mul_lo_u32 v3, s1, v4
	v_mul_hi_u32 v3, v4, v3
	v_add_u32_e32 v11, v4, v3
	v_mov_b32_e32 v3, v5
	v_mad_u64_u32 v[6:7], s[0:1], v0, v2, 0
	v_lshl_add_u64 v[8:9], v[2:3], 4, s[12:13]
	s_mov_b64 s[0:1], 0
.LBB97_5:                               ; =>This Inner Loop Header: Depth=1
	global_load_dwordx4 v[12:15], v[8:9], off
	v_not_b32_e32 v3, v7
	v_mul_lo_u32 v4, s6, v7
	v_mad_u64_u32 v[16:17], s[12:13], s6, v3, v[2:3]
	v_sub_u32_e32 v3, v2, v4
	v_add_u32_e32 v18, 1, v7
	v_cmp_le_u32_e32 vcc, s6, v3
	v_lshl_add_u64 v[8:9], v[8:9], 0, 16
	s_nop 0
	v_cndmask_b32_e32 v4, v7, v18, vcc
	v_cndmask_b32_e32 v3, v3, v16, vcc
	v_add_u32_e32 v16, 1, v4
	v_cmp_le_u32_e32 vcc, s6, v3
	v_lshl_add_u64 v[6:7], v[6:7], 0, v[0:1]
	s_nop 0
	v_cndmask_b32_e32 v3, v4, v16, vcc
	v_mul_hi_u32 v4, v3, v10
	v_mad_u64_u32 v[16:17], s[12:13], s15, v3, v[2:3]
	v_add_u32_e32 v2, 1, v2
	v_mul_lo_u32 v17, v4, s5
	v_cmp_le_u32_e32 vcc, s16, v2
	v_sub_u32_e32 v17, v3, v17
	v_add_u32_e32 v18, 1, v4
	s_or_b64 s[0:1], vcc, s[0:1]
	v_cmp_le_u32_e32 vcc, s5, v17
	v_mul_lo_u32 v16, v16, s10
	s_nop 0
	v_cndmask_b32_e32 v4, v4, v18, vcc
	v_subrev_u32_e32 v18, s5, v17
	v_cndmask_b32_e32 v17, v17, v18, vcc
	v_add_u32_e32 v18, 1, v4
	v_cmp_le_u32_e32 vcc, s5, v17
	s_nop 1
	v_cndmask_b32_e32 v4, v4, v18, vcc
	v_mul_hi_u32 v17, v4, v11
	v_mul_lo_u32 v18, v4, s5
	v_mul_lo_u32 v19, v17, s4
	v_sub_u32_e32 v3, v3, v18
	v_sub_u32_e32 v18, v4, v19
	v_add_u32_e32 v20, 1, v17
	v_cmp_le_u32_e32 vcc, s4, v18
	v_subrev_u32_e32 v19, s4, v18
	v_mul_lo_u32 v3, v3, s9
	v_cndmask_b32_e32 v17, v17, v20, vcc
	v_cndmask_b32_e32 v18, v18, v19, vcc
	v_add_u32_e32 v19, 1, v17
	v_cmp_le_u32_e32 vcc, s4, v18
	s_nop 1
	v_cndmask_b32_e32 v17, v17, v19, vcc
	v_mul_lo_u32 v18, v17, s4
	v_mul_lo_u32 v17, v17, s7
	v_sub_u32_e32 v4, v4, v18
	v_add3_u32 v16, v16, s14, v17
	v_mul_lo_u32 v4, v4, s8
	v_add3_u32 v4, v16, v3, v4
	v_lshl_add_u64 v[16:17], v[4:5], 4, s[2:3]
	s_waitcnt vmcnt(0)
	global_store_dwordx4 v[16:17], v[12:15], off
	s_andn2_b64 exec, exec, s[0:1]
	s_cbranch_execnz .LBB97_5
.LBB97_6:
	s_endpgm
	.section	.rodata,"a",@progbits
	.p2align	6, 0x0
	.amdhsa_kernel _ZN2at6native12_GLOBAL__N_135CatArrayBatchedCopy_alignedK_contigINS1_10OpaqueTypeILj16EEEjLi4ELi128ELi1ELi8EEEvPT_NS1_25CatArrInputTensorMetadataIS5_T0_XT2_EXT3_EEENS1_16TensorSizeStrideIS8_Lj4EEEiS8_
		.amdhsa_group_segment_fixed_size 0
		.amdhsa_private_segment_fixed_size 0
		.amdhsa_kernarg_size 3024
		.amdhsa_user_sgpr_count 2
		.amdhsa_user_sgpr_dispatch_ptr 0
		.amdhsa_user_sgpr_queue_ptr 0
		.amdhsa_user_sgpr_kernarg_segment_ptr 1
		.amdhsa_user_sgpr_dispatch_id 0
		.amdhsa_user_sgpr_kernarg_preload_length 0
		.amdhsa_user_sgpr_kernarg_preload_offset 0
		.amdhsa_user_sgpr_private_segment_size 0
		.amdhsa_uses_dynamic_stack 0
		.amdhsa_enable_private_segment 0
		.amdhsa_system_sgpr_workgroup_id_x 1
		.amdhsa_system_sgpr_workgroup_id_y 1
		.amdhsa_system_sgpr_workgroup_id_z 0
		.amdhsa_system_sgpr_workgroup_info 0
		.amdhsa_system_vgpr_workitem_id 0
		.amdhsa_next_free_vgpr 21
		.amdhsa_next_free_sgpr 26
		.amdhsa_accum_offset 24
		.amdhsa_reserve_vcc 1
		.amdhsa_float_round_mode_32 0
		.amdhsa_float_round_mode_16_64 0
		.amdhsa_float_denorm_mode_32 3
		.amdhsa_float_denorm_mode_16_64 3
		.amdhsa_dx10_clamp 1
		.amdhsa_ieee_mode 1
		.amdhsa_fp16_overflow 0
		.amdhsa_tg_split 0
		.amdhsa_exception_fp_ieee_invalid_op 0
		.amdhsa_exception_fp_denorm_src 0
		.amdhsa_exception_fp_ieee_div_zero 0
		.amdhsa_exception_fp_ieee_overflow 0
		.amdhsa_exception_fp_ieee_underflow 0
		.amdhsa_exception_fp_ieee_inexact 0
		.amdhsa_exception_int_div_zero 0
	.end_amdhsa_kernel
	.section	.text._ZN2at6native12_GLOBAL__N_135CatArrayBatchedCopy_alignedK_contigINS1_10OpaqueTypeILj16EEEjLi4ELi128ELi1ELi8EEEvPT_NS1_25CatArrInputTensorMetadataIS5_T0_XT2_EXT3_EEENS1_16TensorSizeStrideIS8_Lj4EEEiS8_,"axG",@progbits,_ZN2at6native12_GLOBAL__N_135CatArrayBatchedCopy_alignedK_contigINS1_10OpaqueTypeILj16EEEjLi4ELi128ELi1ELi8EEEvPT_NS1_25CatArrInputTensorMetadataIS5_T0_XT2_EXT3_EEENS1_16TensorSizeStrideIS8_Lj4EEEiS8_,comdat
.Lfunc_end97:
	.size	_ZN2at6native12_GLOBAL__N_135CatArrayBatchedCopy_alignedK_contigINS1_10OpaqueTypeILj16EEEjLi4ELi128ELi1ELi8EEEvPT_NS1_25CatArrInputTensorMetadataIS5_T0_XT2_EXT3_EEENS1_16TensorSizeStrideIS8_Lj4EEEiS8_, .Lfunc_end97-_ZN2at6native12_GLOBAL__N_135CatArrayBatchedCopy_alignedK_contigINS1_10OpaqueTypeILj16EEEjLi4ELi128ELi1ELi8EEEvPT_NS1_25CatArrInputTensorMetadataIS5_T0_XT2_EXT3_EEENS1_16TensorSizeStrideIS8_Lj4EEEiS8_
                                        ; -- End function
	.set _ZN2at6native12_GLOBAL__N_135CatArrayBatchedCopy_alignedK_contigINS1_10OpaqueTypeILj16EEEjLi4ELi128ELi1ELi8EEEvPT_NS1_25CatArrInputTensorMetadataIS5_T0_XT2_EXT3_EEENS1_16TensorSizeStrideIS8_Lj4EEEiS8_.num_vgpr, 21
	.set _ZN2at6native12_GLOBAL__N_135CatArrayBatchedCopy_alignedK_contigINS1_10OpaqueTypeILj16EEEjLi4ELi128ELi1ELi8EEEvPT_NS1_25CatArrInputTensorMetadataIS5_T0_XT2_EXT3_EEENS1_16TensorSizeStrideIS8_Lj4EEEiS8_.num_agpr, 0
	.set _ZN2at6native12_GLOBAL__N_135CatArrayBatchedCopy_alignedK_contigINS1_10OpaqueTypeILj16EEEjLi4ELi128ELi1ELi8EEEvPT_NS1_25CatArrInputTensorMetadataIS5_T0_XT2_EXT3_EEENS1_16TensorSizeStrideIS8_Lj4EEEiS8_.numbered_sgpr, 26
	.set _ZN2at6native12_GLOBAL__N_135CatArrayBatchedCopy_alignedK_contigINS1_10OpaqueTypeILj16EEEjLi4ELi128ELi1ELi8EEEvPT_NS1_25CatArrInputTensorMetadataIS5_T0_XT2_EXT3_EEENS1_16TensorSizeStrideIS8_Lj4EEEiS8_.num_named_barrier, 0
	.set _ZN2at6native12_GLOBAL__N_135CatArrayBatchedCopy_alignedK_contigINS1_10OpaqueTypeILj16EEEjLi4ELi128ELi1ELi8EEEvPT_NS1_25CatArrInputTensorMetadataIS5_T0_XT2_EXT3_EEENS1_16TensorSizeStrideIS8_Lj4EEEiS8_.private_seg_size, 0
	.set _ZN2at6native12_GLOBAL__N_135CatArrayBatchedCopy_alignedK_contigINS1_10OpaqueTypeILj16EEEjLi4ELi128ELi1ELi8EEEvPT_NS1_25CatArrInputTensorMetadataIS5_T0_XT2_EXT3_EEENS1_16TensorSizeStrideIS8_Lj4EEEiS8_.uses_vcc, 1
	.set _ZN2at6native12_GLOBAL__N_135CatArrayBatchedCopy_alignedK_contigINS1_10OpaqueTypeILj16EEEjLi4ELi128ELi1ELi8EEEvPT_NS1_25CatArrInputTensorMetadataIS5_T0_XT2_EXT3_EEENS1_16TensorSizeStrideIS8_Lj4EEEiS8_.uses_flat_scratch, 0
	.set _ZN2at6native12_GLOBAL__N_135CatArrayBatchedCopy_alignedK_contigINS1_10OpaqueTypeILj16EEEjLi4ELi128ELi1ELi8EEEvPT_NS1_25CatArrInputTensorMetadataIS5_T0_XT2_EXT3_EEENS1_16TensorSizeStrideIS8_Lj4EEEiS8_.has_dyn_sized_stack, 0
	.set _ZN2at6native12_GLOBAL__N_135CatArrayBatchedCopy_alignedK_contigINS1_10OpaqueTypeILj16EEEjLi4ELi128ELi1ELi8EEEvPT_NS1_25CatArrInputTensorMetadataIS5_T0_XT2_EXT3_EEENS1_16TensorSizeStrideIS8_Lj4EEEiS8_.has_recursion, 0
	.set _ZN2at6native12_GLOBAL__N_135CatArrayBatchedCopy_alignedK_contigINS1_10OpaqueTypeILj16EEEjLi4ELi128ELi1ELi8EEEvPT_NS1_25CatArrInputTensorMetadataIS5_T0_XT2_EXT3_EEENS1_16TensorSizeStrideIS8_Lj4EEEiS8_.has_indirect_call, 0
	.section	.AMDGPU.csdata,"",@progbits
; Kernel info:
; codeLenInByte = 1172
; TotalNumSgprs: 32
; NumVgprs: 21
; NumAgprs: 0
; TotalNumVgprs: 21
; ScratchSize: 0
; MemoryBound: 0
; FloatMode: 240
; IeeeMode: 1
; LDSByteSize: 0 bytes/workgroup (compile time only)
; SGPRBlocks: 3
; VGPRBlocks: 2
; NumSGPRsForWavesPerEU: 32
; NumVGPRsForWavesPerEU: 21
; AccumOffset: 24
; Occupancy: 8
; WaveLimiterHint : 1
; COMPUTE_PGM_RSRC2:SCRATCH_EN: 0
; COMPUTE_PGM_RSRC2:USER_SGPR: 2
; COMPUTE_PGM_RSRC2:TRAP_HANDLER: 0
; COMPUTE_PGM_RSRC2:TGID_X_EN: 1
; COMPUTE_PGM_RSRC2:TGID_Y_EN: 1
; COMPUTE_PGM_RSRC2:TGID_Z_EN: 0
; COMPUTE_PGM_RSRC2:TIDIG_COMP_CNT: 0
; COMPUTE_PGM_RSRC3_GFX90A:ACCUM_OFFSET: 5
; COMPUTE_PGM_RSRC3_GFX90A:TG_SPLIT: 0
	.section	.text._ZN2at6native12_GLOBAL__N_126CatArrayBatchedCopy_contigINS1_10OpaqueTypeILj16EEEjLi4ELi128ELi1EEEvPT_NS1_25CatArrInputTensorMetadataIS5_T0_XT2_EXT3_EEENS1_16TensorSizeStrideIS8_Lj4EEEiS8_,"axG",@progbits,_ZN2at6native12_GLOBAL__N_126CatArrayBatchedCopy_contigINS1_10OpaqueTypeILj16EEEjLi4ELi128ELi1EEEvPT_NS1_25CatArrInputTensorMetadataIS5_T0_XT2_EXT3_EEENS1_16TensorSizeStrideIS8_Lj4EEEiS8_,comdat
	.globl	_ZN2at6native12_GLOBAL__N_126CatArrayBatchedCopy_contigINS1_10OpaqueTypeILj16EEEjLi4ELi128ELi1EEEvPT_NS1_25CatArrInputTensorMetadataIS5_T0_XT2_EXT3_EEENS1_16TensorSizeStrideIS8_Lj4EEEiS8_ ; -- Begin function _ZN2at6native12_GLOBAL__N_126CatArrayBatchedCopy_contigINS1_10OpaqueTypeILj16EEEjLi4ELi128ELi1EEEvPT_NS1_25CatArrInputTensorMetadataIS5_T0_XT2_EXT3_EEENS1_16TensorSizeStrideIS8_Lj4EEEiS8_
	.p2align	8
	.type	_ZN2at6native12_GLOBAL__N_126CatArrayBatchedCopy_contigINS1_10OpaqueTypeILj16EEEjLi4ELi128ELi1EEEvPT_NS1_25CatArrInputTensorMetadataIS5_T0_XT2_EXT3_EEENS1_16TensorSizeStrideIS8_Lj4EEEiS8_,@function
_ZN2at6native12_GLOBAL__N_126CatArrayBatchedCopy_contigINS1_10OpaqueTypeILj16EEEjLi4ELi128ELi1EEEvPT_NS1_25CatArrInputTensorMetadataIS5_T0_XT2_EXT3_EEENS1_16TensorSizeStrideIS8_Lj4EEEiS8_: ; @_ZN2at6native12_GLOBAL__N_126CatArrayBatchedCopy_contigINS1_10OpaqueTypeILj16EEEjLi4ELi128ELi1EEEvPT_NS1_25CatArrInputTensorMetadataIS5_T0_XT2_EXT3_EEENS1_16TensorSizeStrideIS8_Lj4EEEiS8_
; %bb.0:
	s_mov_b32 s4, s3
	s_load_dword s3, s[0:1], 0xadc
	s_add_u32 s16, s0, 0xad0
	s_mov_b32 s5, 0
	s_addc_u32 s17, s1, 0
	s_lshl_b64 s[14:15], s[4:5], 2
	s_waitcnt lgkmcnt(0)
	s_and_b32 s19, s3, 0xffff
	s_add_u32 s4, s0, s14
	s_addc_u32 s5, s1, s15
	s_load_dword s18, s[4:5], 0x808
	s_mul_i32 s2, s2, s19
	v_add_u32_e32 v0, s2, v0
	s_add_u32 s20, s4, 8
	s_addc_u32 s21, s5, 0
	s_waitcnt lgkmcnt(0)
	v_cmp_gt_u32_e32 vcc, s18, v0
	s_and_saveexec_b64 s[2:3], vcc
	s_cbranch_execz .LBB98_3
; %bb.1:
	s_add_u32 s20, s20, s14
	s_load_dwordx2 s[2:3], s[0:1], 0xabc
	s_load_dwordx4 s[4:7], s[0:1], 0xab8
	s_load_dwordx2 s[12:13], s[0:1], 0x0
	s_load_dwordx4 s[8:11], s[0:1], 0xaac
	s_addc_u32 s21, s21, s15
	s_waitcnt lgkmcnt(0)
	s_sub_u32 s5, 0, s14
	s_subb_u32 s6, 0, s15
	s_add_u32 s22, s20, s5
	s_addc_u32 s23, s21, s6
	s_load_dwordx2 s[24:25], s[0:1], 0xac8
	s_load_dwordx2 s[14:15], s[20:21], 0x0
	s_load_dword s11, s[22:23], 0x600
	s_load_dword s26, s[22:23], 0x400
	s_mov_b32 s5, s7
	s_waitcnt lgkmcnt(0)
	s_cmp_eq_u32 s24, 3
	s_load_dword s16, s[16:17], 0x0
	s_cselect_b32 s6, s11, s10
	v_cvt_f32_u32_e32 v1, s6
	s_cmp_eq_u32 s24, 2
	s_cselect_b32 s9, s11, s9
	v_cvt_f32_u32_e32 v2, s9
	v_rcp_iflag_f32_e32 v1, v1
	s_cmp_eq_u32 s24, 1
	s_cselect_b32 s8, s11, s8
	s_sub_i32 s11, 0, s6
	v_mul_f32_e32 v1, 0x4f7ffffe, v1
	v_cvt_u32_f32_e32 v1, v1
	v_rcp_iflag_f32_e32 v4, v2
	s_waitcnt lgkmcnt(0)
	s_mul_i32 s10, s16, s19
	s_sub_i32 s16, 0, s9
	v_mul_lo_u32 v3, s11, v1
	v_mul_hi_u32 v2, v1, v3
	v_cvt_f32_u32_e32 v3, s8
	v_add_u32_e32 v2, v1, v2
	v_mul_f32_e32 v1, 0x4f7ffffe, v4
	v_cvt_u32_f32_e32 v4, v1
	v_rcp_iflag_f32_e32 v3, v3
	s_mov_b64 s[0:1], 0
	s_mul_i32 s7, s26, s25
	v_mul_lo_u32 v5, s16, v4
	v_mul_f32_e32 v3, 0x4f7ffffe, v3
	v_cvt_u32_f32_e32 v6, v3
	v_mul_hi_u32 v3, v4, v5
	s_sub_i32 s16, 0, s8
	v_add_u32_e32 v3, v4, v3
	v_mul_lo_u32 v4, s16, v6
	v_mul_hi_u32 v4, v6, v4
	v_mov_b32_e32 v1, 0
	v_add_u32_e32 v4, v6, v4
.LBB98_2:                               ; =>This Inner Loop Header: Depth=1
	v_lshl_add_u64 v[6:7], v[0:1], 4, s[14:15]
	global_load_dwordx4 v[6:9], v[6:7], off
	v_mul_hi_u32 v5, v2, v0
	v_mul_lo_u32 v10, s6, v5
	v_not_b32_e32 v12, v5
	v_sub_u32_e32 v10, v0, v10
	v_add_u32_e32 v14, 1, v5
	v_mad_u64_u32 v[12:13], s[16:17], s6, v12, v[0:1]
	v_cmp_le_u32_e32 vcc, s6, v10
	v_mov_b32_e32 v11, v1
	s_nop 0
	v_cndmask_b32_e32 v5, v5, v14, vcc
	v_cndmask_b32_e32 v10, v10, v12, vcc
	v_add_u32_e32 v12, 1, v5
	v_cmp_le_u32_e32 vcc, s6, v10
	s_nop 1
	v_cndmask_b32_e32 v5, v5, v12, vcc
	v_mul_hi_u32 v10, v5, v3
	v_mad_u64_u32 v[12:13], s[16:17], s11, v5, v[0:1]
	v_add_u32_e32 v0, s10, v0
	v_mul_lo_u32 v13, v10, s9
	v_cmp_le_u32_e32 vcc, s18, v0
	v_sub_u32_e32 v13, v5, v13
	v_add_u32_e32 v14, 1, v10
	s_or_b64 s[0:1], vcc, s[0:1]
	v_cmp_le_u32_e32 vcc, s9, v13
	v_mul_lo_u32 v12, v12, s5
	s_nop 0
	v_cndmask_b32_e32 v10, v10, v14, vcc
	v_subrev_u32_e32 v14, s9, v13
	v_cndmask_b32_e32 v13, v13, v14, vcc
	v_add_u32_e32 v14, 1, v10
	v_cmp_le_u32_e32 vcc, s9, v13
	s_nop 1
	v_cndmask_b32_e32 v10, v10, v14, vcc
	v_mul_hi_u32 v13, v10, v4
	v_mul_lo_u32 v14, v10, s9
	v_mul_lo_u32 v15, v13, s8
	v_sub_u32_e32 v5, v5, v14
	v_sub_u32_e32 v14, v10, v15
	v_add_u32_e32 v16, 1, v13
	v_cmp_le_u32_e32 vcc, s8, v14
	v_subrev_u32_e32 v15, s8, v14
	v_mul_lo_u32 v5, v5, s3
	v_cndmask_b32_e32 v13, v13, v16, vcc
	v_cndmask_b32_e32 v14, v14, v15, vcc
	v_add_u32_e32 v15, 1, v13
	v_cmp_le_u32_e32 vcc, s8, v14
	s_nop 1
	v_cndmask_b32_e32 v13, v13, v15, vcc
	v_mul_lo_u32 v14, v13, s8
	v_mul_lo_u32 v13, v13, s4
	v_sub_u32_e32 v10, v10, v14
	v_add3_u32 v12, v12, s7, v13
	v_mul_lo_u32 v10, v10, s2
	v_add3_u32 v10, v12, v5, v10
	v_lshl_add_u64 v[10:11], v[10:11], 4, s[12:13]
	s_waitcnt vmcnt(0)
	global_store_dwordx4 v[10:11], v[6:9], off
	s_andn2_b64 exec, exec, s[0:1]
	s_cbranch_execnz .LBB98_2
.LBB98_3:
	s_endpgm
	.section	.rodata,"a",@progbits
	.p2align	6, 0x0
	.amdhsa_kernel _ZN2at6native12_GLOBAL__N_126CatArrayBatchedCopy_contigINS1_10OpaqueTypeILj16EEEjLi4ELi128ELi1EEEvPT_NS1_25CatArrInputTensorMetadataIS5_T0_XT2_EXT3_EEENS1_16TensorSizeStrideIS8_Lj4EEEiS8_
		.amdhsa_group_segment_fixed_size 0
		.amdhsa_private_segment_fixed_size 0
		.amdhsa_kernarg_size 3024
		.amdhsa_user_sgpr_count 2
		.amdhsa_user_sgpr_dispatch_ptr 0
		.amdhsa_user_sgpr_queue_ptr 0
		.amdhsa_user_sgpr_kernarg_segment_ptr 1
		.amdhsa_user_sgpr_dispatch_id 0
		.amdhsa_user_sgpr_kernarg_preload_length 0
		.amdhsa_user_sgpr_kernarg_preload_offset 0
		.amdhsa_user_sgpr_private_segment_size 0
		.amdhsa_uses_dynamic_stack 0
		.amdhsa_enable_private_segment 0
		.amdhsa_system_sgpr_workgroup_id_x 1
		.amdhsa_system_sgpr_workgroup_id_y 1
		.amdhsa_system_sgpr_workgroup_id_z 0
		.amdhsa_system_sgpr_workgroup_info 0
		.amdhsa_system_vgpr_workitem_id 0
		.amdhsa_next_free_vgpr 17
		.amdhsa_next_free_sgpr 27
		.amdhsa_accum_offset 20
		.amdhsa_reserve_vcc 1
		.amdhsa_float_round_mode_32 0
		.amdhsa_float_round_mode_16_64 0
		.amdhsa_float_denorm_mode_32 3
		.amdhsa_float_denorm_mode_16_64 3
		.amdhsa_dx10_clamp 1
		.amdhsa_ieee_mode 1
		.amdhsa_fp16_overflow 0
		.amdhsa_tg_split 0
		.amdhsa_exception_fp_ieee_invalid_op 0
		.amdhsa_exception_fp_denorm_src 0
		.amdhsa_exception_fp_ieee_div_zero 0
		.amdhsa_exception_fp_ieee_overflow 0
		.amdhsa_exception_fp_ieee_underflow 0
		.amdhsa_exception_fp_ieee_inexact 0
		.amdhsa_exception_int_div_zero 0
	.end_amdhsa_kernel
	.section	.text._ZN2at6native12_GLOBAL__N_126CatArrayBatchedCopy_contigINS1_10OpaqueTypeILj16EEEjLi4ELi128ELi1EEEvPT_NS1_25CatArrInputTensorMetadataIS5_T0_XT2_EXT3_EEENS1_16TensorSizeStrideIS8_Lj4EEEiS8_,"axG",@progbits,_ZN2at6native12_GLOBAL__N_126CatArrayBatchedCopy_contigINS1_10OpaqueTypeILj16EEEjLi4ELi128ELi1EEEvPT_NS1_25CatArrInputTensorMetadataIS5_T0_XT2_EXT3_EEENS1_16TensorSizeStrideIS8_Lj4EEEiS8_,comdat
.Lfunc_end98:
	.size	_ZN2at6native12_GLOBAL__N_126CatArrayBatchedCopy_contigINS1_10OpaqueTypeILj16EEEjLi4ELi128ELi1EEEvPT_NS1_25CatArrInputTensorMetadataIS5_T0_XT2_EXT3_EEENS1_16TensorSizeStrideIS8_Lj4EEEiS8_, .Lfunc_end98-_ZN2at6native12_GLOBAL__N_126CatArrayBatchedCopy_contigINS1_10OpaqueTypeILj16EEEjLi4ELi128ELi1EEEvPT_NS1_25CatArrInputTensorMetadataIS5_T0_XT2_EXT3_EEENS1_16TensorSizeStrideIS8_Lj4EEEiS8_
                                        ; -- End function
	.set _ZN2at6native12_GLOBAL__N_126CatArrayBatchedCopy_contigINS1_10OpaqueTypeILj16EEEjLi4ELi128ELi1EEEvPT_NS1_25CatArrInputTensorMetadataIS5_T0_XT2_EXT3_EEENS1_16TensorSizeStrideIS8_Lj4EEEiS8_.num_vgpr, 17
	.set _ZN2at6native12_GLOBAL__N_126CatArrayBatchedCopy_contigINS1_10OpaqueTypeILj16EEEjLi4ELi128ELi1EEEvPT_NS1_25CatArrInputTensorMetadataIS5_T0_XT2_EXT3_EEENS1_16TensorSizeStrideIS8_Lj4EEEiS8_.num_agpr, 0
	.set _ZN2at6native12_GLOBAL__N_126CatArrayBatchedCopy_contigINS1_10OpaqueTypeILj16EEEjLi4ELi128ELi1EEEvPT_NS1_25CatArrInputTensorMetadataIS5_T0_XT2_EXT3_EEENS1_16TensorSizeStrideIS8_Lj4EEEiS8_.numbered_sgpr, 27
	.set _ZN2at6native12_GLOBAL__N_126CatArrayBatchedCopy_contigINS1_10OpaqueTypeILj16EEEjLi4ELi128ELi1EEEvPT_NS1_25CatArrInputTensorMetadataIS5_T0_XT2_EXT3_EEENS1_16TensorSizeStrideIS8_Lj4EEEiS8_.num_named_barrier, 0
	.set _ZN2at6native12_GLOBAL__N_126CatArrayBatchedCopy_contigINS1_10OpaqueTypeILj16EEEjLi4ELi128ELi1EEEvPT_NS1_25CatArrInputTensorMetadataIS5_T0_XT2_EXT3_EEENS1_16TensorSizeStrideIS8_Lj4EEEiS8_.private_seg_size, 0
	.set _ZN2at6native12_GLOBAL__N_126CatArrayBatchedCopy_contigINS1_10OpaqueTypeILj16EEEjLi4ELi128ELi1EEEvPT_NS1_25CatArrInputTensorMetadataIS5_T0_XT2_EXT3_EEENS1_16TensorSizeStrideIS8_Lj4EEEiS8_.uses_vcc, 1
	.set _ZN2at6native12_GLOBAL__N_126CatArrayBatchedCopy_contigINS1_10OpaqueTypeILj16EEEjLi4ELi128ELi1EEEvPT_NS1_25CatArrInputTensorMetadataIS5_T0_XT2_EXT3_EEENS1_16TensorSizeStrideIS8_Lj4EEEiS8_.uses_flat_scratch, 0
	.set _ZN2at6native12_GLOBAL__N_126CatArrayBatchedCopy_contigINS1_10OpaqueTypeILj16EEEjLi4ELi128ELi1EEEvPT_NS1_25CatArrInputTensorMetadataIS5_T0_XT2_EXT3_EEENS1_16TensorSizeStrideIS8_Lj4EEEiS8_.has_dyn_sized_stack, 0
	.set _ZN2at6native12_GLOBAL__N_126CatArrayBatchedCopy_contigINS1_10OpaqueTypeILj16EEEjLi4ELi128ELi1EEEvPT_NS1_25CatArrInputTensorMetadataIS5_T0_XT2_EXT3_EEENS1_16TensorSizeStrideIS8_Lj4EEEiS8_.has_recursion, 0
	.set _ZN2at6native12_GLOBAL__N_126CatArrayBatchedCopy_contigINS1_10OpaqueTypeILj16EEEjLi4ELi128ELi1EEEvPT_NS1_25CatArrInputTensorMetadataIS5_T0_XT2_EXT3_EEENS1_16TensorSizeStrideIS8_Lj4EEEiS8_.has_indirect_call, 0
	.section	.AMDGPU.csdata,"",@progbits
; Kernel info:
; codeLenInByte = 704
; TotalNumSgprs: 33
; NumVgprs: 17
; NumAgprs: 0
; TotalNumVgprs: 17
; ScratchSize: 0
; MemoryBound: 0
; FloatMode: 240
; IeeeMode: 1
; LDSByteSize: 0 bytes/workgroup (compile time only)
; SGPRBlocks: 4
; VGPRBlocks: 2
; NumSGPRsForWavesPerEU: 33
; NumVGPRsForWavesPerEU: 17
; AccumOffset: 20
; Occupancy: 8
; WaveLimiterHint : 1
; COMPUTE_PGM_RSRC2:SCRATCH_EN: 0
; COMPUTE_PGM_RSRC2:USER_SGPR: 2
; COMPUTE_PGM_RSRC2:TRAP_HANDLER: 0
; COMPUTE_PGM_RSRC2:TGID_X_EN: 1
; COMPUTE_PGM_RSRC2:TGID_Y_EN: 1
; COMPUTE_PGM_RSRC2:TGID_Z_EN: 0
; COMPUTE_PGM_RSRC2:TIDIG_COMP_CNT: 0
; COMPUTE_PGM_RSRC3_GFX90A:ACCUM_OFFSET: 4
; COMPUTE_PGM_RSRC3_GFX90A:TG_SPLIT: 0
	.section	.text._ZN2at6native12_GLOBAL__N_119CatArrayBatchedCopyINS1_10OpaqueTypeILj16EEEjLi4ELi128ELi1EEEvPT_NS1_25CatArrInputTensorMetadataIS5_T0_XT2_EXT3_EEENS1_16TensorSizeStrideIS8_Lj4EEEiS8_,"axG",@progbits,_ZN2at6native12_GLOBAL__N_119CatArrayBatchedCopyINS1_10OpaqueTypeILj16EEEjLi4ELi128ELi1EEEvPT_NS1_25CatArrInputTensorMetadataIS5_T0_XT2_EXT3_EEENS1_16TensorSizeStrideIS8_Lj4EEEiS8_,comdat
	.globl	_ZN2at6native12_GLOBAL__N_119CatArrayBatchedCopyINS1_10OpaqueTypeILj16EEEjLi4ELi128ELi1EEEvPT_NS1_25CatArrInputTensorMetadataIS5_T0_XT2_EXT3_EEENS1_16TensorSizeStrideIS8_Lj4EEEiS8_ ; -- Begin function _ZN2at6native12_GLOBAL__N_119CatArrayBatchedCopyINS1_10OpaqueTypeILj16EEEjLi4ELi128ELi1EEEvPT_NS1_25CatArrInputTensorMetadataIS5_T0_XT2_EXT3_EEENS1_16TensorSizeStrideIS8_Lj4EEEiS8_
	.p2align	8
	.type	_ZN2at6native12_GLOBAL__N_119CatArrayBatchedCopyINS1_10OpaqueTypeILj16EEEjLi4ELi128ELi1EEEvPT_NS1_25CatArrInputTensorMetadataIS5_T0_XT2_EXT3_EEENS1_16TensorSizeStrideIS8_Lj4EEEiS8_,@function
_ZN2at6native12_GLOBAL__N_119CatArrayBatchedCopyINS1_10OpaqueTypeILj16EEEjLi4ELi128ELi1EEEvPT_NS1_25CatArrInputTensorMetadataIS5_T0_XT2_EXT3_EEENS1_16TensorSizeStrideIS8_Lj4EEEiS8_: ; @_ZN2at6native12_GLOBAL__N_119CatArrayBatchedCopyINS1_10OpaqueTypeILj16EEEjLi4ELi128ELi1EEEvPT_NS1_25CatArrInputTensorMetadataIS5_T0_XT2_EXT3_EEENS1_16TensorSizeStrideIS8_Lj4EEEiS8_
; %bb.0:
	s_mov_b32 s20, s3
	s_load_dword s3, s[0:1], 0xadc
	s_or_b32 s26, s0, 8
	s_add_u32 s28, s0, 0xad0
	s_mov_b32 s21, 0
	s_addc_u32 s29, s1, 0
	s_waitcnt lgkmcnt(0)
	s_and_b32 s31, s3, 0xffff
	s_lshl_b64 s[22:23], s[20:21], 2
	s_add_u32 s4, s26, s22
	s_addc_u32 s5, s1, s23
	s_load_dword s30, s[4:5], 0x800
	s_mul_i32 s2, s2, s31
	v_add_u32_e32 v0, s2, v0
	s_waitcnt lgkmcnt(0)
	v_cmp_gt_u32_e32 vcc, s30, v0
	s_and_saveexec_b64 s[2:3], vcc
	s_cbranch_execz .LBB99_5
; %bb.1:
	s_add_u32 s34, s26, s20
	s_addc_u32 s35, s1, 0
	v_mov_b32_e32 v1, 0
	global_load_ubyte v2, v1, s[34:35] offset:2560
	s_mov_b32 s27, s1
	s_load_dwordx2 s[24:25], s[0:1], 0xac8
	s_load_dwordx4 s[4:7], s[26:27], 0xa90
	s_load_dwordx2 s[2:3], s[0:1], 0x0
	s_load_dwordx4 s[12:15], s[0:1], 0xa8c
	s_load_dwordx4 s[8:11], s[0:1], 0xab8
	;; [unrolled: 1-line block ×3, first 2 shown]
                                        ; kill: killed $sgpr0 killed $sgpr1
	s_waitcnt lgkmcnt(0)
	s_mul_i32 s19, s20, 7
	s_load_dword s15, s[28:29], 0x0
                                        ; kill: killed $sgpr28 killed $sgpr29
	s_mul_hi_u32 s6, s20, 7
	s_mov_b32 s5, s7
	s_mov_b64 s[20:21], 0
	s_waitcnt lgkmcnt(0)
	s_mul_i32 s15, s15, s31
	s_waitcnt vmcnt(0)
	v_and_b32_e32 v2, 1, v2
	v_cmp_eq_u32_e32 vcc, 1, v2
	s_xor_b64 s[0:1], vcc, -1
	s_add_u32 s28, s34, s19
	s_addc_u32 s29, s35, s6
	s_sub_u32 s6, 0, s22
	s_subb_u32 s7, 0, s23
	s_add_u32 s34, s28, s6
	s_addc_u32 s35, s29, s7
	s_load_dwordx2 s[6:7], s[26:27], 0xa94
	s_load_dwordx2 s[22:23], s[28:29], 0x0
	s_load_dword s19, s[34:35], 0x400
	s_load_dword s33, s[34:35], 0x600
	s_cmp_eq_u32 s24, 3
	v_cndmask_b32_e64 v2, 0, 1, s[0:1]
	s_waitcnt lgkmcnt(0)
	s_mul_i32 s19, s19, s25
	s_cselect_b32 s18, s33, s18
	s_cselect_b32 s14, s33, s14
	s_cmp_eq_u32 s24, 2
	s_cselect_b32 s17, s33, s17
	s_cselect_b32 s13, s33, s13
	s_cmp_eq_u32 s24, 1
	v_cvt_f32_u32_e32 v3, s18
	v_cvt_f32_u32_e32 v4, s14
	s_cselect_b32 s16, s33, s16
	s_cselect_b32 s12, s33, s12
	v_cvt_f32_u32_e32 v5, s17
	v_cvt_f32_u32_e32 v6, s13
	;; [unrolled: 1-line block ×4, first 2 shown]
	v_rcp_iflag_f32_e32 v3, v3
	v_rcp_iflag_f32_e32 v4, v4
	;; [unrolled: 1-line block ×6, first 2 shown]
	v_mul_f32_e32 v3, 0x4f7ffffe, v3
	v_mul_f32_e32 v4, 0x4f7ffffe, v4
	v_cvt_u32_f32_e32 v3, v3
	v_mul_f32_e32 v5, 0x4f7ffffe, v5
	v_cvt_u32_f32_e32 v9, v4
	;; [unrolled: 2-line block ×5, first 2 shown]
	v_cvt_u32_f32_e32 v10, v4
	s_sub_i32 s24, 0, s18
	s_sub_i32 s25, 0, s14
	;; [unrolled: 1-line block ×4, first 2 shown]
	v_mul_lo_u32 v4, s24, v3
	v_mul_lo_u32 v5, s25, v9
	s_sub_i32 s26, 0, s16
	s_sub_i32 s27, 0, s12
	v_mul_hi_u32 v4, v3, v4
	v_mul_lo_u32 v11, s0, v6
	v_mul_hi_u32 v5, v9, v5
	v_mul_lo_u32 v12, s1, v7
	v_add_u32_e32 v4, v3, v4
	v_mul_hi_u32 v3, v6, v11
	v_mul_lo_u32 v11, s26, v8
	v_add_u32_e32 v5, v9, v5
	;; [unrolled: 3-line block ×3, first 2 shown]
	v_mul_hi_u32 v3, v8, v11
	v_add_u32_e32 v7, v7, v9
	v_mul_hi_u32 v9, v10, v12
	v_add_u32_e32 v8, v8, v3
	v_add_u32_e32 v9, v10, v9
	v_cmp_ne_u32_e64 s[0:1], 1, v2
	s_branch .LBB99_3
.LBB99_2:                               ;   in Loop: Header=BB99_3 Depth=1
	v_lshl_add_u64 v[2:3], v[2:3], 4, s[22:23]
	global_load_dwordx4 v[10:13], v[2:3], off
	v_mul_hi_u32 v14, v4, v0
	v_mad_u64_u32 v[2:3], s[26:27], s24, v14, v[0:1]
	v_not_b32_e32 v15, v14
	v_add_u32_e32 v3, 1, v14
	v_cmp_le_u32_e32 vcc, s18, v2
	s_nop 1
	v_cndmask_b32_e32 v3, v14, v3, vcc
	v_mad_u64_u32 v[14:15], s[26:27], s18, v15, v[0:1]
	v_cndmask_b32_e32 v2, v2, v14, vcc
	v_add_u32_e32 v14, 1, v3
	v_cmp_le_u32_e32 vcc, s18, v2
	s_nop 1
	v_cndmask_b32_e32 v2, v3, v14, vcc
	v_mul_hi_u32 v3, v2, v6
	v_mul_lo_u32 v14, v3, s17
	v_sub_u32_e32 v14, v2, v14
	v_add_u32_e32 v15, 1, v3
	v_cmp_le_u32_e32 vcc, s17, v14
	s_nop 1
	v_cndmask_b32_e32 v3, v3, v15, vcc
	v_subrev_u32_e32 v15, s17, v14
	v_cndmask_b32_e32 v14, v14, v15, vcc
	v_add_u32_e32 v15, 1, v3
	v_cmp_le_u32_e32 vcc, s17, v14
	s_nop 1
	v_cndmask_b32_e32 v14, v3, v15, vcc
	v_mul_lo_u32 v3, v14, s17
	v_sub_u32_e32 v3, v2, v3
	v_mul_lo_u32 v15, v3, s10
	v_mad_u64_u32 v[2:3], s[26:27], s24, v2, v[0:1]
	v_mul_hi_u32 v3, v14, v8
	v_mul_lo_u32 v16, v3, s16
	v_sub_u32_e32 v16, v14, v16
	v_add_u32_e32 v17, 1, v3
	v_cmp_le_u32_e32 vcc, s16, v16
	v_mul_lo_u32 v2, v2, s11
	v_add_u32_e32 v0, s15, v0
	v_cndmask_b32_e32 v3, v3, v17, vcc
	v_subrev_u32_e32 v17, s16, v16
	v_cndmask_b32_e32 v16, v16, v17, vcc
	v_add_u32_e32 v17, 1, v3
	v_cmp_le_u32_e32 vcc, s16, v16
	s_nop 1
	v_cndmask_b32_e32 v3, v3, v17, vcc
	v_mul_lo_u32 v16, v3, s16
	v_sub_u32_e32 v14, v14, v16
	v_mul_lo_u32 v3, v3, s8
	v_mul_lo_u32 v14, v14, s9
	v_add3_u32 v2, v3, v2, v15
	v_add3_u32 v2, v2, v14, s19
	v_mov_b32_e32 v3, v1
	v_cmp_le_u32_e32 vcc, s30, v0
	v_lshl_add_u64 v[2:3], v[2:3], 4, s[2:3]
	s_or_b64 s[20:21], vcc, s[20:21]
	s_waitcnt vmcnt(0)
	global_store_dwordx4 v[2:3], v[10:13], off
	s_andn2_b64 exec, exec, s[20:21]
	s_cbranch_execz .LBB99_5
.LBB99_3:                               ; =>This Inner Loop Header: Depth=1
	s_and_b64 vcc, exec, s[0:1]
	v_mov_b64_e32 v[2:3], v[0:1]
	s_cbranch_vccnz .LBB99_2
; %bb.4:                                ;   in Loop: Header=BB99_3 Depth=1
	v_mul_hi_u32 v10, v5, v0
	v_mad_u64_u32 v[2:3], s[26:27], s25, v10, v[0:1]
	v_not_b32_e32 v11, v10
	v_add_u32_e32 v3, 1, v10
	v_cmp_le_u32_e32 vcc, s14, v2
	s_nop 1
	v_cndmask_b32_e32 v3, v10, v3, vcc
	v_mad_u64_u32 v[10:11], s[26:27], s14, v11, v[0:1]
	v_cndmask_b32_e32 v2, v2, v10, vcc
	v_add_u32_e32 v10, 1, v3
	v_cmp_le_u32_e32 vcc, s14, v2
	s_nop 1
	v_cndmask_b32_e32 v2, v3, v10, vcc
	v_mul_hi_u32 v3, v2, v7
	v_mul_lo_u32 v10, v3, s13
	v_sub_u32_e32 v10, v2, v10
	v_add_u32_e32 v11, 1, v3
	v_cmp_le_u32_e32 vcc, s13, v10
	s_nop 1
	v_cndmask_b32_e32 v3, v3, v11, vcc
	v_subrev_u32_e32 v11, s13, v10
	v_cndmask_b32_e32 v10, v10, v11, vcc
	v_add_u32_e32 v11, 1, v3
	v_cmp_le_u32_e32 vcc, s13, v10
	s_nop 1
	v_cndmask_b32_e32 v10, v3, v11, vcc
	v_mul_lo_u32 v3, v10, s13
	v_sub_u32_e32 v3, v2, v3
	v_mul_lo_u32 v11, v3, s7
	v_mad_u64_u32 v[2:3], s[26:27], s25, v2, v[0:1]
	v_mul_hi_u32 v3, v10, v9
	v_mul_lo_u32 v12, v3, s12
	v_sub_u32_e32 v12, v10, v12
	v_add_u32_e32 v13, 1, v3
	v_cmp_le_u32_e32 vcc, s12, v12
	v_mul_lo_u32 v2, v2, s5
	s_nop 0
	v_cndmask_b32_e32 v3, v3, v13, vcc
	v_subrev_u32_e32 v13, s12, v12
	v_cndmask_b32_e32 v12, v12, v13, vcc
	v_add_u32_e32 v13, 1, v3
	v_cmp_le_u32_e32 vcc, s12, v12
	s_nop 1
	v_cndmask_b32_e32 v3, v3, v13, vcc
	v_mul_lo_u32 v12, v3, s12
	v_sub_u32_e32 v10, v10, v12
	v_mul_lo_u32 v10, v10, s6
	v_mad_u64_u32 v[2:3], s[26:27], v3, s4, v[2:3]
	v_add3_u32 v2, v2, v11, v10
	v_mov_b32_e32 v3, v1
	s_branch .LBB99_2
.LBB99_5:
	s_endpgm
	.section	.rodata,"a",@progbits
	.p2align	6, 0x0
	.amdhsa_kernel _ZN2at6native12_GLOBAL__N_119CatArrayBatchedCopyINS1_10OpaqueTypeILj16EEEjLi4ELi128ELi1EEEvPT_NS1_25CatArrInputTensorMetadataIS5_T0_XT2_EXT3_EEENS1_16TensorSizeStrideIS8_Lj4EEEiS8_
		.amdhsa_group_segment_fixed_size 0
		.amdhsa_private_segment_fixed_size 0
		.amdhsa_kernarg_size 3024
		.amdhsa_user_sgpr_count 2
		.amdhsa_user_sgpr_dispatch_ptr 0
		.amdhsa_user_sgpr_queue_ptr 0
		.amdhsa_user_sgpr_kernarg_segment_ptr 1
		.amdhsa_user_sgpr_dispatch_id 0
		.amdhsa_user_sgpr_kernarg_preload_length 0
		.amdhsa_user_sgpr_kernarg_preload_offset 0
		.amdhsa_user_sgpr_private_segment_size 0
		.amdhsa_uses_dynamic_stack 0
		.amdhsa_enable_private_segment 0
		.amdhsa_system_sgpr_workgroup_id_x 1
		.amdhsa_system_sgpr_workgroup_id_y 1
		.amdhsa_system_sgpr_workgroup_id_z 0
		.amdhsa_system_sgpr_workgroup_info 0
		.amdhsa_system_vgpr_workitem_id 0
		.amdhsa_next_free_vgpr 18
		.amdhsa_next_free_sgpr 36
		.amdhsa_accum_offset 20
		.amdhsa_reserve_vcc 1
		.amdhsa_float_round_mode_32 0
		.amdhsa_float_round_mode_16_64 0
		.amdhsa_float_denorm_mode_32 3
		.amdhsa_float_denorm_mode_16_64 3
		.amdhsa_dx10_clamp 1
		.amdhsa_ieee_mode 1
		.amdhsa_fp16_overflow 0
		.amdhsa_tg_split 0
		.amdhsa_exception_fp_ieee_invalid_op 0
		.amdhsa_exception_fp_denorm_src 0
		.amdhsa_exception_fp_ieee_div_zero 0
		.amdhsa_exception_fp_ieee_overflow 0
		.amdhsa_exception_fp_ieee_underflow 0
		.amdhsa_exception_fp_ieee_inexact 0
		.amdhsa_exception_int_div_zero 0
	.end_amdhsa_kernel
	.section	.text._ZN2at6native12_GLOBAL__N_119CatArrayBatchedCopyINS1_10OpaqueTypeILj16EEEjLi4ELi128ELi1EEEvPT_NS1_25CatArrInputTensorMetadataIS5_T0_XT2_EXT3_EEENS1_16TensorSizeStrideIS8_Lj4EEEiS8_,"axG",@progbits,_ZN2at6native12_GLOBAL__N_119CatArrayBatchedCopyINS1_10OpaqueTypeILj16EEEjLi4ELi128ELi1EEEvPT_NS1_25CatArrInputTensorMetadataIS5_T0_XT2_EXT3_EEENS1_16TensorSizeStrideIS8_Lj4EEEiS8_,comdat
.Lfunc_end99:
	.size	_ZN2at6native12_GLOBAL__N_119CatArrayBatchedCopyINS1_10OpaqueTypeILj16EEEjLi4ELi128ELi1EEEvPT_NS1_25CatArrInputTensorMetadataIS5_T0_XT2_EXT3_EEENS1_16TensorSizeStrideIS8_Lj4EEEiS8_, .Lfunc_end99-_ZN2at6native12_GLOBAL__N_119CatArrayBatchedCopyINS1_10OpaqueTypeILj16EEEjLi4ELi128ELi1EEEvPT_NS1_25CatArrInputTensorMetadataIS5_T0_XT2_EXT3_EEENS1_16TensorSizeStrideIS8_Lj4EEEiS8_
                                        ; -- End function
	.set _ZN2at6native12_GLOBAL__N_119CatArrayBatchedCopyINS1_10OpaqueTypeILj16EEEjLi4ELi128ELi1EEEvPT_NS1_25CatArrInputTensorMetadataIS5_T0_XT2_EXT3_EEENS1_16TensorSizeStrideIS8_Lj4EEEiS8_.num_vgpr, 18
	.set _ZN2at6native12_GLOBAL__N_119CatArrayBatchedCopyINS1_10OpaqueTypeILj16EEEjLi4ELi128ELi1EEEvPT_NS1_25CatArrInputTensorMetadataIS5_T0_XT2_EXT3_EEENS1_16TensorSizeStrideIS8_Lj4EEEiS8_.num_agpr, 0
	.set _ZN2at6native12_GLOBAL__N_119CatArrayBatchedCopyINS1_10OpaqueTypeILj16EEEjLi4ELi128ELi1EEEvPT_NS1_25CatArrInputTensorMetadataIS5_T0_XT2_EXT3_EEENS1_16TensorSizeStrideIS8_Lj4EEEiS8_.numbered_sgpr, 36
	.set _ZN2at6native12_GLOBAL__N_119CatArrayBatchedCopyINS1_10OpaqueTypeILj16EEEjLi4ELi128ELi1EEEvPT_NS1_25CatArrInputTensorMetadataIS5_T0_XT2_EXT3_EEENS1_16TensorSizeStrideIS8_Lj4EEEiS8_.num_named_barrier, 0
	.set _ZN2at6native12_GLOBAL__N_119CatArrayBatchedCopyINS1_10OpaqueTypeILj16EEEjLi4ELi128ELi1EEEvPT_NS1_25CatArrInputTensorMetadataIS5_T0_XT2_EXT3_EEENS1_16TensorSizeStrideIS8_Lj4EEEiS8_.private_seg_size, 0
	.set _ZN2at6native12_GLOBAL__N_119CatArrayBatchedCopyINS1_10OpaqueTypeILj16EEEjLi4ELi128ELi1EEEvPT_NS1_25CatArrInputTensorMetadataIS5_T0_XT2_EXT3_EEENS1_16TensorSizeStrideIS8_Lj4EEEiS8_.uses_vcc, 1
	.set _ZN2at6native12_GLOBAL__N_119CatArrayBatchedCopyINS1_10OpaqueTypeILj16EEEjLi4ELi128ELi1EEEvPT_NS1_25CatArrInputTensorMetadataIS5_T0_XT2_EXT3_EEENS1_16TensorSizeStrideIS8_Lj4EEEiS8_.uses_flat_scratch, 0
	.set _ZN2at6native12_GLOBAL__N_119CatArrayBatchedCopyINS1_10OpaqueTypeILj16EEEjLi4ELi128ELi1EEEvPT_NS1_25CatArrInputTensorMetadataIS5_T0_XT2_EXT3_EEENS1_16TensorSizeStrideIS8_Lj4EEEiS8_.has_dyn_sized_stack, 0
	.set _ZN2at6native12_GLOBAL__N_119CatArrayBatchedCopyINS1_10OpaqueTypeILj16EEEjLi4ELi128ELi1EEEvPT_NS1_25CatArrInputTensorMetadataIS5_T0_XT2_EXT3_EEENS1_16TensorSizeStrideIS8_Lj4EEEiS8_.has_recursion, 0
	.set _ZN2at6native12_GLOBAL__N_119CatArrayBatchedCopyINS1_10OpaqueTypeILj16EEEjLi4ELi128ELi1EEEvPT_NS1_25CatArrInputTensorMetadataIS5_T0_XT2_EXT3_EEENS1_16TensorSizeStrideIS8_Lj4EEEiS8_.has_indirect_call, 0
	.section	.AMDGPU.csdata,"",@progbits
; Kernel info:
; codeLenInByte = 1196
; TotalNumSgprs: 42
; NumVgprs: 18
; NumAgprs: 0
; TotalNumVgprs: 18
; ScratchSize: 0
; MemoryBound: 0
; FloatMode: 240
; IeeeMode: 1
; LDSByteSize: 0 bytes/workgroup (compile time only)
; SGPRBlocks: 5
; VGPRBlocks: 2
; NumSGPRsForWavesPerEU: 42
; NumVGPRsForWavesPerEU: 18
; AccumOffset: 20
; Occupancy: 8
; WaveLimiterHint : 1
; COMPUTE_PGM_RSRC2:SCRATCH_EN: 0
; COMPUTE_PGM_RSRC2:USER_SGPR: 2
; COMPUTE_PGM_RSRC2:TRAP_HANDLER: 0
; COMPUTE_PGM_RSRC2:TGID_X_EN: 1
; COMPUTE_PGM_RSRC2:TGID_Y_EN: 1
; COMPUTE_PGM_RSRC2:TGID_Z_EN: 0
; COMPUTE_PGM_RSRC2:TIDIG_COMP_CNT: 0
; COMPUTE_PGM_RSRC3_GFX90A:ACCUM_OFFSET: 4
; COMPUTE_PGM_RSRC3_GFX90A:TG_SPLIT: 0
	.section	.text._ZN2at6native12_GLOBAL__N_130CatArrayBatchedCopy_vectorizedINS1_10OpaqueTypeILj1EEEjLi1ELi64ELi64ELi16ELi16EEEvPcNS1_25CatArrInputTensorMetadataIT_T0_XT2_EXT3_EEENS1_16TensorSizeStrideIS8_Lj4EEEiS8_,"axG",@progbits,_ZN2at6native12_GLOBAL__N_130CatArrayBatchedCopy_vectorizedINS1_10OpaqueTypeILj1EEEjLi1ELi64ELi64ELi16ELi16EEEvPcNS1_25CatArrInputTensorMetadataIT_T0_XT2_EXT3_EEENS1_16TensorSizeStrideIS8_Lj4EEEiS8_,comdat
	.globl	_ZN2at6native12_GLOBAL__N_130CatArrayBatchedCopy_vectorizedINS1_10OpaqueTypeILj1EEEjLi1ELi64ELi64ELi16ELi16EEEvPcNS1_25CatArrInputTensorMetadataIT_T0_XT2_EXT3_EEENS1_16TensorSizeStrideIS8_Lj4EEEiS8_ ; -- Begin function _ZN2at6native12_GLOBAL__N_130CatArrayBatchedCopy_vectorizedINS1_10OpaqueTypeILj1EEEjLi1ELi64ELi64ELi16ELi16EEEvPcNS1_25CatArrInputTensorMetadataIT_T0_XT2_EXT3_EEENS1_16TensorSizeStrideIS8_Lj4EEEiS8_
	.p2align	8
	.type	_ZN2at6native12_GLOBAL__N_130CatArrayBatchedCopy_vectorizedINS1_10OpaqueTypeILj1EEEjLi1ELi64ELi64ELi16ELi16EEEvPcNS1_25CatArrInputTensorMetadataIT_T0_XT2_EXT3_EEENS1_16TensorSizeStrideIS8_Lj4EEEiS8_,@function
_ZN2at6native12_GLOBAL__N_130CatArrayBatchedCopy_vectorizedINS1_10OpaqueTypeILj1EEEjLi1ELi64ELi64ELi16ELi16EEEvPcNS1_25CatArrInputTensorMetadataIT_T0_XT2_EXT3_EEENS1_16TensorSizeStrideIS8_Lj4EEEiS8_: ; @_ZN2at6native12_GLOBAL__N_130CatArrayBatchedCopy_vectorizedINS1_10OpaqueTypeILj1EEEjLi1ELi64ELi64ELi16ELi16EEEvPcNS1_25CatArrInputTensorMetadataIT_T0_XT2_EXT3_EEENS1_16TensorSizeStrideIS8_Lj4EEEiS8_
; %bb.0:
	s_mov_b32 s6, s3
	s_load_dword s3, s[0:1], 0xd7c
	s_add_u32 s4, s0, 0xd70
	s_mov_b32 s7, 0
	s_addc_u32 s5, s1, 0
	s_lshl_b64 s[6:7], s[6:7], 2
	s_waitcnt lgkmcnt(0)
	s_and_b32 s9, s3, 0xffff
	s_add_u32 s10, s0, s6
	s_addc_u32 s11, s1, s7
	s_load_dword s8, s[10:11], 0x408
	s_mul_i32 s2, s2, s9
	v_add_u32_e32 v0, s2, v0
	s_add_u32 s2, s10, 8
	s_addc_u32 s3, s11, 0
	s_waitcnt lgkmcnt(0)
	s_lshr_b32 s8, s8, 4
	v_cmp_gt_u32_e32 vcc, s8, v0
	s_and_saveexec_b64 s[10:11], vcc
	s_cbranch_execz .LBB100_3
; %bb.1:
	s_load_dword s12, s[4:5], 0x0
	s_add_u32 s4, s2, s6
	s_addc_u32 s5, s3, s7
	s_sub_u32 s2, 0, s6
	s_subb_u32 s3, 0, s7
	s_add_u32 s6, s4, s2
	s_addc_u32 s7, s5, s3
	s_load_dword s13, s[6:7], 0x200
	s_load_dword s14, s[0:1], 0xd6c
	s_load_dwordx2 s[10:11], s[0:1], 0x0
	s_load_dwordx2 s[2:3], s[4:5], 0x0
	s_load_dword s15, s[0:1], 0xd58
	s_waitcnt lgkmcnt(0)
	s_mul_i32 s6, s12, s9
	s_mul_i32 s13, s13, s14
	s_and_b32 s4, s13, -16
	s_add_u32 s4, s10, s4
	s_mov_b64 s[0:1], 0
	s_addc_u32 s5, s11, 0
	v_mul_lo_u32 v2, s15, v0
	s_mul_i32 s7, s6, s15
	v_mov_b32_e32 v3, 0
.LBB100_2:                              ; =>This Inner Loop Header: Depth=1
	v_mov_b32_e32 v1, v3
	v_lshl_add_u64 v[4:5], v[0:1], 4, s[2:3]
	global_load_dwordx4 v[4:7], v[4:5], off
	v_add_u32_e32 v0, s6, v0
	v_cmp_le_u32_e32 vcc, s8, v0
	v_lshl_add_u64 v[8:9], v[2:3], 4, s[4:5]
	v_add_u32_e32 v2, s7, v2
	s_or_b64 s[0:1], vcc, s[0:1]
	s_waitcnt vmcnt(0)
	global_store_dwordx4 v[8:9], v[4:7], off
	s_andn2_b64 exec, exec, s[0:1]
	s_cbranch_execnz .LBB100_2
.LBB100_3:
	s_endpgm
	.section	.rodata,"a",@progbits
	.p2align	6, 0x0
	.amdhsa_kernel _ZN2at6native12_GLOBAL__N_130CatArrayBatchedCopy_vectorizedINS1_10OpaqueTypeILj1EEEjLi1ELi64ELi64ELi16ELi16EEEvPcNS1_25CatArrInputTensorMetadataIT_T0_XT2_EXT3_EEENS1_16TensorSizeStrideIS8_Lj4EEEiS8_
		.amdhsa_group_segment_fixed_size 0
		.amdhsa_private_segment_fixed_size 0
		.amdhsa_kernarg_size 3696
		.amdhsa_user_sgpr_count 2
		.amdhsa_user_sgpr_dispatch_ptr 0
		.amdhsa_user_sgpr_queue_ptr 0
		.amdhsa_user_sgpr_kernarg_segment_ptr 1
		.amdhsa_user_sgpr_dispatch_id 0
		.amdhsa_user_sgpr_kernarg_preload_length 0
		.amdhsa_user_sgpr_kernarg_preload_offset 0
		.amdhsa_user_sgpr_private_segment_size 0
		.amdhsa_uses_dynamic_stack 0
		.amdhsa_enable_private_segment 0
		.amdhsa_system_sgpr_workgroup_id_x 1
		.amdhsa_system_sgpr_workgroup_id_y 1
		.amdhsa_system_sgpr_workgroup_id_z 0
		.amdhsa_system_sgpr_workgroup_info 0
		.amdhsa_system_vgpr_workitem_id 0
		.amdhsa_next_free_vgpr 10
		.amdhsa_next_free_sgpr 16
		.amdhsa_accum_offset 12
		.amdhsa_reserve_vcc 1
		.amdhsa_float_round_mode_32 0
		.amdhsa_float_round_mode_16_64 0
		.amdhsa_float_denorm_mode_32 3
		.amdhsa_float_denorm_mode_16_64 3
		.amdhsa_dx10_clamp 1
		.amdhsa_ieee_mode 1
		.amdhsa_fp16_overflow 0
		.amdhsa_tg_split 0
		.amdhsa_exception_fp_ieee_invalid_op 0
		.amdhsa_exception_fp_denorm_src 0
		.amdhsa_exception_fp_ieee_div_zero 0
		.amdhsa_exception_fp_ieee_overflow 0
		.amdhsa_exception_fp_ieee_underflow 0
		.amdhsa_exception_fp_ieee_inexact 0
		.amdhsa_exception_int_div_zero 0
	.end_amdhsa_kernel
	.section	.text._ZN2at6native12_GLOBAL__N_130CatArrayBatchedCopy_vectorizedINS1_10OpaqueTypeILj1EEEjLi1ELi64ELi64ELi16ELi16EEEvPcNS1_25CatArrInputTensorMetadataIT_T0_XT2_EXT3_EEENS1_16TensorSizeStrideIS8_Lj4EEEiS8_,"axG",@progbits,_ZN2at6native12_GLOBAL__N_130CatArrayBatchedCopy_vectorizedINS1_10OpaqueTypeILj1EEEjLi1ELi64ELi64ELi16ELi16EEEvPcNS1_25CatArrInputTensorMetadataIT_T0_XT2_EXT3_EEENS1_16TensorSizeStrideIS8_Lj4EEEiS8_,comdat
.Lfunc_end100:
	.size	_ZN2at6native12_GLOBAL__N_130CatArrayBatchedCopy_vectorizedINS1_10OpaqueTypeILj1EEEjLi1ELi64ELi64ELi16ELi16EEEvPcNS1_25CatArrInputTensorMetadataIT_T0_XT2_EXT3_EEENS1_16TensorSizeStrideIS8_Lj4EEEiS8_, .Lfunc_end100-_ZN2at6native12_GLOBAL__N_130CatArrayBatchedCopy_vectorizedINS1_10OpaqueTypeILj1EEEjLi1ELi64ELi64ELi16ELi16EEEvPcNS1_25CatArrInputTensorMetadataIT_T0_XT2_EXT3_EEENS1_16TensorSizeStrideIS8_Lj4EEEiS8_
                                        ; -- End function
	.set _ZN2at6native12_GLOBAL__N_130CatArrayBatchedCopy_vectorizedINS1_10OpaqueTypeILj1EEEjLi1ELi64ELi64ELi16ELi16EEEvPcNS1_25CatArrInputTensorMetadataIT_T0_XT2_EXT3_EEENS1_16TensorSizeStrideIS8_Lj4EEEiS8_.num_vgpr, 10
	.set _ZN2at6native12_GLOBAL__N_130CatArrayBatchedCopy_vectorizedINS1_10OpaqueTypeILj1EEEjLi1ELi64ELi64ELi16ELi16EEEvPcNS1_25CatArrInputTensorMetadataIT_T0_XT2_EXT3_EEENS1_16TensorSizeStrideIS8_Lj4EEEiS8_.num_agpr, 0
	.set _ZN2at6native12_GLOBAL__N_130CatArrayBatchedCopy_vectorizedINS1_10OpaqueTypeILj1EEEjLi1ELi64ELi64ELi16ELi16EEEvPcNS1_25CatArrInputTensorMetadataIT_T0_XT2_EXT3_EEENS1_16TensorSizeStrideIS8_Lj4EEEiS8_.numbered_sgpr, 16
	.set _ZN2at6native12_GLOBAL__N_130CatArrayBatchedCopy_vectorizedINS1_10OpaqueTypeILj1EEEjLi1ELi64ELi64ELi16ELi16EEEvPcNS1_25CatArrInputTensorMetadataIT_T0_XT2_EXT3_EEENS1_16TensorSizeStrideIS8_Lj4EEEiS8_.num_named_barrier, 0
	.set _ZN2at6native12_GLOBAL__N_130CatArrayBatchedCopy_vectorizedINS1_10OpaqueTypeILj1EEEjLi1ELi64ELi64ELi16ELi16EEEvPcNS1_25CatArrInputTensorMetadataIT_T0_XT2_EXT3_EEENS1_16TensorSizeStrideIS8_Lj4EEEiS8_.private_seg_size, 0
	.set _ZN2at6native12_GLOBAL__N_130CatArrayBatchedCopy_vectorizedINS1_10OpaqueTypeILj1EEEjLi1ELi64ELi64ELi16ELi16EEEvPcNS1_25CatArrInputTensorMetadataIT_T0_XT2_EXT3_EEENS1_16TensorSizeStrideIS8_Lj4EEEiS8_.uses_vcc, 1
	.set _ZN2at6native12_GLOBAL__N_130CatArrayBatchedCopy_vectorizedINS1_10OpaqueTypeILj1EEEjLi1ELi64ELi64ELi16ELi16EEEvPcNS1_25CatArrInputTensorMetadataIT_T0_XT2_EXT3_EEENS1_16TensorSizeStrideIS8_Lj4EEEiS8_.uses_flat_scratch, 0
	.set _ZN2at6native12_GLOBAL__N_130CatArrayBatchedCopy_vectorizedINS1_10OpaqueTypeILj1EEEjLi1ELi64ELi64ELi16ELi16EEEvPcNS1_25CatArrInputTensorMetadataIT_T0_XT2_EXT3_EEENS1_16TensorSizeStrideIS8_Lj4EEEiS8_.has_dyn_sized_stack, 0
	.set _ZN2at6native12_GLOBAL__N_130CatArrayBatchedCopy_vectorizedINS1_10OpaqueTypeILj1EEEjLi1ELi64ELi64ELi16ELi16EEEvPcNS1_25CatArrInputTensorMetadataIT_T0_XT2_EXT3_EEENS1_16TensorSizeStrideIS8_Lj4EEEiS8_.has_recursion, 0
	.set _ZN2at6native12_GLOBAL__N_130CatArrayBatchedCopy_vectorizedINS1_10OpaqueTypeILj1EEEjLi1ELi64ELi64ELi16ELi16EEEvPcNS1_25CatArrInputTensorMetadataIT_T0_XT2_EXT3_EEENS1_16TensorSizeStrideIS8_Lj4EEEiS8_.has_indirect_call, 0
	.section	.AMDGPU.csdata,"",@progbits
; Kernel info:
; codeLenInByte = 280
; TotalNumSgprs: 22
; NumVgprs: 10
; NumAgprs: 0
; TotalNumVgprs: 10
; ScratchSize: 0
; MemoryBound: 0
; FloatMode: 240
; IeeeMode: 1
; LDSByteSize: 0 bytes/workgroup (compile time only)
; SGPRBlocks: 2
; VGPRBlocks: 1
; NumSGPRsForWavesPerEU: 22
; NumVGPRsForWavesPerEU: 10
; AccumOffset: 12
; Occupancy: 8
; WaveLimiterHint : 1
; COMPUTE_PGM_RSRC2:SCRATCH_EN: 0
; COMPUTE_PGM_RSRC2:USER_SGPR: 2
; COMPUTE_PGM_RSRC2:TRAP_HANDLER: 0
; COMPUTE_PGM_RSRC2:TGID_X_EN: 1
; COMPUTE_PGM_RSRC2:TGID_Y_EN: 1
; COMPUTE_PGM_RSRC2:TGID_Z_EN: 0
; COMPUTE_PGM_RSRC2:TIDIG_COMP_CNT: 0
; COMPUTE_PGM_RSRC3_GFX90A:ACCUM_OFFSET: 2
; COMPUTE_PGM_RSRC3_GFX90A:TG_SPLIT: 0
	.section	.text._ZN2at6native12_GLOBAL__N_135CatArrayBatchedCopy_alignedK_contigINS1_10OpaqueTypeILj1EEEjLi1ELi64ELi64ELi16EEEvPT_NS1_25CatArrInputTensorMetadataIS5_T0_XT2_EXT3_EEENS1_16TensorSizeStrideIS8_Lj4EEEiS8_,"axG",@progbits,_ZN2at6native12_GLOBAL__N_135CatArrayBatchedCopy_alignedK_contigINS1_10OpaqueTypeILj1EEEjLi1ELi64ELi64ELi16EEEvPT_NS1_25CatArrInputTensorMetadataIS5_T0_XT2_EXT3_EEENS1_16TensorSizeStrideIS8_Lj4EEEiS8_,comdat
	.globl	_ZN2at6native12_GLOBAL__N_135CatArrayBatchedCopy_alignedK_contigINS1_10OpaqueTypeILj1EEEjLi1ELi64ELi64ELi16EEEvPT_NS1_25CatArrInputTensorMetadataIS5_T0_XT2_EXT3_EEENS1_16TensorSizeStrideIS8_Lj4EEEiS8_ ; -- Begin function _ZN2at6native12_GLOBAL__N_135CatArrayBatchedCopy_alignedK_contigINS1_10OpaqueTypeILj1EEEjLi1ELi64ELi64ELi16EEEvPT_NS1_25CatArrInputTensorMetadataIS5_T0_XT2_EXT3_EEENS1_16TensorSizeStrideIS8_Lj4EEEiS8_
	.p2align	8
	.type	_ZN2at6native12_GLOBAL__N_135CatArrayBatchedCopy_alignedK_contigINS1_10OpaqueTypeILj1EEEjLi1ELi64ELi64ELi16EEEvPT_NS1_25CatArrInputTensorMetadataIS5_T0_XT2_EXT3_EEENS1_16TensorSizeStrideIS8_Lj4EEEiS8_,@function
_ZN2at6native12_GLOBAL__N_135CatArrayBatchedCopy_alignedK_contigINS1_10OpaqueTypeILj1EEEjLi1ELi64ELi64ELi16EEEvPT_NS1_25CatArrInputTensorMetadataIS5_T0_XT2_EXT3_EEENS1_16TensorSizeStrideIS8_Lj4EEEiS8_: ; @_ZN2at6native12_GLOBAL__N_135CatArrayBatchedCopy_alignedK_contigINS1_10OpaqueTypeILj1EEEjLi1ELi64ELi64ELi16EEEvPT_NS1_25CatArrInputTensorMetadataIS5_T0_XT2_EXT3_EEENS1_16TensorSizeStrideIS8_Lj4EEEiS8_
; %bb.0:
	s_mov_b32 s4, s3
	s_load_dword s3, s[0:1], 0xd7c
	s_add_u32 s8, s0, 0xd70
	s_addc_u32 s9, s1, 0
	s_mov_b32 s5, 0
	s_waitcnt lgkmcnt(0)
	s_and_b32 s13, s3, 0xffff
	s_mul_i32 s6, s2, s13
	s_lshl_b64 s[2:3], s[4:5], 2
	s_add_u32 s4, s0, s2
	s_addc_u32 s5, s1, s3
	s_load_dword s10, s[4:5], 0x408
	v_add_u32_e32 v16, s6, v0
	v_lshlrev_b32_e32 v0, 4, v16
	s_add_u32 s4, s4, 8
	s_addc_u32 s5, s5, 0
	s_waitcnt lgkmcnt(0)
	v_cmp_gt_u32_e32 vcc, s10, v0
	s_and_saveexec_b64 s[6:7], vcc
	s_cbranch_execz .LBB101_8
; %bb.1:
	s_add_u32 s6, s4, s2
	s_addc_u32 s7, s5, s3
	s_sub_u32 s2, 0, s2
	s_subb_u32 s3, 0, s3
	s_add_u32 s14, s6, s2
	s_addc_u32 s15, s7, s3
	s_load_dword s12, s[14:15], 0x200
	s_load_dword s16, s[0:1], 0xd6c
	s_load_dwordx2 s[2:3], s[0:1], 0x0
	s_load_dwordx2 s[4:5], s[6:7], 0x0
	s_load_dword s11, s[0:1], 0xd58
	v_add_u32_e32 v1, 16, v0
	s_mov_b64 s[0:1], 0
	s_waitcnt lgkmcnt(0)
	s_mul_i32 s12, s12, s16
	v_cmp_ge_u32_e32 vcc, s10, v1
	s_and_saveexec_b64 s[6:7], vcc
	s_cbranch_execz .LBB101_5
; %bb.2:
	s_load_dword s8, s[8:9], 0x0
	v_mul_lo_u32 v1, s11, v0
	v_add_u32_e32 v2, 2, v0
	v_add_u32_e32 v3, 3, v0
	;; [unrolled: 1-line block ×3, first 2 shown]
	s_waitcnt lgkmcnt(0)
	s_mul_i32 s9, s8, s13
	s_lshl_b32 s8, s9, 4
	s_mul_i32 s9, s9, s11
	v_add_u32_e32 v5, 5, v0
	v_add_u32_e32 v6, 6, v0
	;; [unrolled: 1-line block ×11, first 2 shown]
	v_mul_lo_u32 v16, s11, v16
	v_add_u32_e32 v1, s11, v1
	s_lshl_b32 s9, s9, 4
	v_mul_lo_u32 v2, s11, v2
	v_mul_lo_u32 v3, s11, v3
	v_mul_lo_u32 v4, s11, v4
	v_mul_lo_u32 v5, s11, v5
	v_mul_lo_u32 v6, s11, v6
	v_mul_lo_u32 v7, s11, v7
	v_mul_lo_u32 v8, s11, v8
	v_mul_lo_u32 v9, s11, v9
	v_mul_lo_u32 v10, s11, v10
	v_mul_lo_u32 v11, s11, v11
	v_mul_lo_u32 v12, s11, v12
	v_mul_lo_u32 v13, s11, v13
	v_mul_lo_u32 v14, s11, v14
	v_mul_lo_u32 v15, s11, v15
	v_lshlrev_b32_e32 v16, 4, v16
	s_mov_b32 s13, s12
.LBB101_3:                              ; =>This Inner Loop Header: Depth=1
	global_load_dwordx4 v[18:21], v0, s[4:5]
	v_add_u32_e32 v0, s8, v0
	v_add_u32_e32 v37, 16, v0
	;; [unrolled: 1-line block ×18, first 2 shown]
	s_add_i32 s13, s13, s9
	v_cmp_lt_u32_e32 vcc, s10, v37
	s_or_b64 s[0:1], vcc, s[0:1]
	s_waitcnt vmcnt(0)
	v_lshrrev_b32_e32 v37, 8, v18
	v_lshrrev_b32_e32 v38, 24, v18
	;; [unrolled: 1-line block ×8, first 2 shown]
	global_store_byte v17, v18, s[2:3]
	global_store_byte v22, v37, s[2:3]
	global_store_byte_d16_hi v23, v18, s[2:3]
	global_store_byte v24, v38, s[2:3]
	global_store_byte v25, v19, s[2:3]
	global_store_byte v26, v39, s[2:3]
	global_store_byte_d16_hi v27, v19, s[2:3]
	global_store_byte v28, v40, s[2:3]
	;; [unrolled: 4-line block ×4, first 2 shown]
	s_andn2_b64 exec, exec, s[0:1]
	s_cbranch_execnz .LBB101_3
; %bb.4:
	s_or_b64 exec, exec, s[0:1]
.LBB101_5:
	s_or_b64 exec, exec, s[6:7]
	v_cmp_gt_u32_e32 vcc, s10, v0
	s_and_b64 exec, exec, vcc
	s_cbranch_execz .LBB101_8
; %bb.6:
	v_mul_lo_u32 v2, v0, s11
	v_mov_b32_e32 v1, 0
	v_add_u32_e32 v2, s12, v2
	s_mov_b64 s[0:1], 0
.LBB101_7:                              ; =>This Inner Loop Header: Depth=1
	v_lshl_add_u64 v[4:5], s[4:5], 0, v[0:1]
	global_load_ubyte v3, v[4:5], off
	v_lshl_add_u64 v[0:1], v[0:1], 0, 1
	v_cmp_le_u32_e32 vcc, s10, v0
	s_or_b64 s[0:1], vcc, s[0:1]
	s_waitcnt vmcnt(0)
	global_store_byte v2, v3, s[2:3]
	v_add_u32_e32 v2, s11, v2
	s_andn2_b64 exec, exec, s[0:1]
	s_cbranch_execnz .LBB101_7
.LBB101_8:
	s_endpgm
	.section	.rodata,"a",@progbits
	.p2align	6, 0x0
	.amdhsa_kernel _ZN2at6native12_GLOBAL__N_135CatArrayBatchedCopy_alignedK_contigINS1_10OpaqueTypeILj1EEEjLi1ELi64ELi64ELi16EEEvPT_NS1_25CatArrInputTensorMetadataIS5_T0_XT2_EXT3_EEENS1_16TensorSizeStrideIS8_Lj4EEEiS8_
		.amdhsa_group_segment_fixed_size 0
		.amdhsa_private_segment_fixed_size 0
		.amdhsa_kernarg_size 3696
		.amdhsa_user_sgpr_count 2
		.amdhsa_user_sgpr_dispatch_ptr 0
		.amdhsa_user_sgpr_queue_ptr 0
		.amdhsa_user_sgpr_kernarg_segment_ptr 1
		.amdhsa_user_sgpr_dispatch_id 0
		.amdhsa_user_sgpr_kernarg_preload_length 0
		.amdhsa_user_sgpr_kernarg_preload_offset 0
		.amdhsa_user_sgpr_private_segment_size 0
		.amdhsa_uses_dynamic_stack 0
		.amdhsa_enable_private_segment 0
		.amdhsa_system_sgpr_workgroup_id_x 1
		.amdhsa_system_sgpr_workgroup_id_y 1
		.amdhsa_system_sgpr_workgroup_id_z 0
		.amdhsa_system_sgpr_workgroup_info 0
		.amdhsa_system_vgpr_workitem_id 0
		.amdhsa_next_free_vgpr 45
		.amdhsa_next_free_sgpr 17
		.amdhsa_accum_offset 48
		.amdhsa_reserve_vcc 1
		.amdhsa_float_round_mode_32 0
		.amdhsa_float_round_mode_16_64 0
		.amdhsa_float_denorm_mode_32 3
		.amdhsa_float_denorm_mode_16_64 3
		.amdhsa_dx10_clamp 1
		.amdhsa_ieee_mode 1
		.amdhsa_fp16_overflow 0
		.amdhsa_tg_split 0
		.amdhsa_exception_fp_ieee_invalid_op 0
		.amdhsa_exception_fp_denorm_src 0
		.amdhsa_exception_fp_ieee_div_zero 0
		.amdhsa_exception_fp_ieee_overflow 0
		.amdhsa_exception_fp_ieee_underflow 0
		.amdhsa_exception_fp_ieee_inexact 0
		.amdhsa_exception_int_div_zero 0
	.end_amdhsa_kernel
	.section	.text._ZN2at6native12_GLOBAL__N_135CatArrayBatchedCopy_alignedK_contigINS1_10OpaqueTypeILj1EEEjLi1ELi64ELi64ELi16EEEvPT_NS1_25CatArrInputTensorMetadataIS5_T0_XT2_EXT3_EEENS1_16TensorSizeStrideIS8_Lj4EEEiS8_,"axG",@progbits,_ZN2at6native12_GLOBAL__N_135CatArrayBatchedCopy_alignedK_contigINS1_10OpaqueTypeILj1EEEjLi1ELi64ELi64ELi16EEEvPT_NS1_25CatArrInputTensorMetadataIS5_T0_XT2_EXT3_EEENS1_16TensorSizeStrideIS8_Lj4EEEiS8_,comdat
.Lfunc_end101:
	.size	_ZN2at6native12_GLOBAL__N_135CatArrayBatchedCopy_alignedK_contigINS1_10OpaqueTypeILj1EEEjLi1ELi64ELi64ELi16EEEvPT_NS1_25CatArrInputTensorMetadataIS5_T0_XT2_EXT3_EEENS1_16TensorSizeStrideIS8_Lj4EEEiS8_, .Lfunc_end101-_ZN2at6native12_GLOBAL__N_135CatArrayBatchedCopy_alignedK_contigINS1_10OpaqueTypeILj1EEEjLi1ELi64ELi64ELi16EEEvPT_NS1_25CatArrInputTensorMetadataIS5_T0_XT2_EXT3_EEENS1_16TensorSizeStrideIS8_Lj4EEEiS8_
                                        ; -- End function
	.set _ZN2at6native12_GLOBAL__N_135CatArrayBatchedCopy_alignedK_contigINS1_10OpaqueTypeILj1EEEjLi1ELi64ELi64ELi16EEEvPT_NS1_25CatArrInputTensorMetadataIS5_T0_XT2_EXT3_EEENS1_16TensorSizeStrideIS8_Lj4EEEiS8_.num_vgpr, 45
	.set _ZN2at6native12_GLOBAL__N_135CatArrayBatchedCopy_alignedK_contigINS1_10OpaqueTypeILj1EEEjLi1ELi64ELi64ELi16EEEvPT_NS1_25CatArrInputTensorMetadataIS5_T0_XT2_EXT3_EEENS1_16TensorSizeStrideIS8_Lj4EEEiS8_.num_agpr, 0
	.set _ZN2at6native12_GLOBAL__N_135CatArrayBatchedCopy_alignedK_contigINS1_10OpaqueTypeILj1EEEjLi1ELi64ELi64ELi16EEEvPT_NS1_25CatArrInputTensorMetadataIS5_T0_XT2_EXT3_EEENS1_16TensorSizeStrideIS8_Lj4EEEiS8_.numbered_sgpr, 17
	.set _ZN2at6native12_GLOBAL__N_135CatArrayBatchedCopy_alignedK_contigINS1_10OpaqueTypeILj1EEEjLi1ELi64ELi64ELi16EEEvPT_NS1_25CatArrInputTensorMetadataIS5_T0_XT2_EXT3_EEENS1_16TensorSizeStrideIS8_Lj4EEEiS8_.num_named_barrier, 0
	.set _ZN2at6native12_GLOBAL__N_135CatArrayBatchedCopy_alignedK_contigINS1_10OpaqueTypeILj1EEEjLi1ELi64ELi64ELi16EEEvPT_NS1_25CatArrInputTensorMetadataIS5_T0_XT2_EXT3_EEENS1_16TensorSizeStrideIS8_Lj4EEEiS8_.private_seg_size, 0
	.set _ZN2at6native12_GLOBAL__N_135CatArrayBatchedCopy_alignedK_contigINS1_10OpaqueTypeILj1EEEjLi1ELi64ELi64ELi16EEEvPT_NS1_25CatArrInputTensorMetadataIS5_T0_XT2_EXT3_EEENS1_16TensorSizeStrideIS8_Lj4EEEiS8_.uses_vcc, 1
	.set _ZN2at6native12_GLOBAL__N_135CatArrayBatchedCopy_alignedK_contigINS1_10OpaqueTypeILj1EEEjLi1ELi64ELi64ELi16EEEvPT_NS1_25CatArrInputTensorMetadataIS5_T0_XT2_EXT3_EEENS1_16TensorSizeStrideIS8_Lj4EEEiS8_.uses_flat_scratch, 0
	.set _ZN2at6native12_GLOBAL__N_135CatArrayBatchedCopy_alignedK_contigINS1_10OpaqueTypeILj1EEEjLi1ELi64ELi64ELi16EEEvPT_NS1_25CatArrInputTensorMetadataIS5_T0_XT2_EXT3_EEENS1_16TensorSizeStrideIS8_Lj4EEEiS8_.has_dyn_sized_stack, 0
	.set _ZN2at6native12_GLOBAL__N_135CatArrayBatchedCopy_alignedK_contigINS1_10OpaqueTypeILj1EEEjLi1ELi64ELi64ELi16EEEvPT_NS1_25CatArrInputTensorMetadataIS5_T0_XT2_EXT3_EEENS1_16TensorSizeStrideIS8_Lj4EEEiS8_.has_recursion, 0
	.set _ZN2at6native12_GLOBAL__N_135CatArrayBatchedCopy_alignedK_contigINS1_10OpaqueTypeILj1EEEjLi1ELi64ELi64ELi16EEEvPT_NS1_25CatArrInputTensorMetadataIS5_T0_XT2_EXT3_EEENS1_16TensorSizeStrideIS8_Lj4EEEiS8_.has_indirect_call, 0
	.section	.AMDGPU.csdata,"",@progbits
; Kernel info:
; codeLenInByte = 776
; TotalNumSgprs: 23
; NumVgprs: 45
; NumAgprs: 0
; TotalNumVgprs: 45
; ScratchSize: 0
; MemoryBound: 0
; FloatMode: 240
; IeeeMode: 1
; LDSByteSize: 0 bytes/workgroup (compile time only)
; SGPRBlocks: 2
; VGPRBlocks: 5
; NumSGPRsForWavesPerEU: 23
; NumVGPRsForWavesPerEU: 45
; AccumOffset: 48
; Occupancy: 8
; WaveLimiterHint : 1
; COMPUTE_PGM_RSRC2:SCRATCH_EN: 0
; COMPUTE_PGM_RSRC2:USER_SGPR: 2
; COMPUTE_PGM_RSRC2:TRAP_HANDLER: 0
; COMPUTE_PGM_RSRC2:TGID_X_EN: 1
; COMPUTE_PGM_RSRC2:TGID_Y_EN: 1
; COMPUTE_PGM_RSRC2:TGID_Z_EN: 0
; COMPUTE_PGM_RSRC2:TIDIG_COMP_CNT: 0
; COMPUTE_PGM_RSRC3_GFX90A:ACCUM_OFFSET: 11
; COMPUTE_PGM_RSRC3_GFX90A:TG_SPLIT: 0
	.section	.text._ZN2at6native12_GLOBAL__N_135CatArrayBatchedCopy_alignedK_contigINS1_10OpaqueTypeILj1EEEjLi1ELi64ELi64ELi8EEEvPT_NS1_25CatArrInputTensorMetadataIS5_T0_XT2_EXT3_EEENS1_16TensorSizeStrideIS8_Lj4EEEiS8_,"axG",@progbits,_ZN2at6native12_GLOBAL__N_135CatArrayBatchedCopy_alignedK_contigINS1_10OpaqueTypeILj1EEEjLi1ELi64ELi64ELi8EEEvPT_NS1_25CatArrInputTensorMetadataIS5_T0_XT2_EXT3_EEENS1_16TensorSizeStrideIS8_Lj4EEEiS8_,comdat
	.globl	_ZN2at6native12_GLOBAL__N_135CatArrayBatchedCopy_alignedK_contigINS1_10OpaqueTypeILj1EEEjLi1ELi64ELi64ELi8EEEvPT_NS1_25CatArrInputTensorMetadataIS5_T0_XT2_EXT3_EEENS1_16TensorSizeStrideIS8_Lj4EEEiS8_ ; -- Begin function _ZN2at6native12_GLOBAL__N_135CatArrayBatchedCopy_alignedK_contigINS1_10OpaqueTypeILj1EEEjLi1ELi64ELi64ELi8EEEvPT_NS1_25CatArrInputTensorMetadataIS5_T0_XT2_EXT3_EEENS1_16TensorSizeStrideIS8_Lj4EEEiS8_
	.p2align	8
	.type	_ZN2at6native12_GLOBAL__N_135CatArrayBatchedCopy_alignedK_contigINS1_10OpaqueTypeILj1EEEjLi1ELi64ELi64ELi8EEEvPT_NS1_25CatArrInputTensorMetadataIS5_T0_XT2_EXT3_EEENS1_16TensorSizeStrideIS8_Lj4EEEiS8_,@function
_ZN2at6native12_GLOBAL__N_135CatArrayBatchedCopy_alignedK_contigINS1_10OpaqueTypeILj1EEEjLi1ELi64ELi64ELi8EEEvPT_NS1_25CatArrInputTensorMetadataIS5_T0_XT2_EXT3_EEENS1_16TensorSizeStrideIS8_Lj4EEEiS8_: ; @_ZN2at6native12_GLOBAL__N_135CatArrayBatchedCopy_alignedK_contigINS1_10OpaqueTypeILj1EEEjLi1ELi64ELi64ELi8EEEvPT_NS1_25CatArrInputTensorMetadataIS5_T0_XT2_EXT3_EEENS1_16TensorSizeStrideIS8_Lj4EEEiS8_
; %bb.0:
	s_mov_b32 s4, s3
	s_load_dword s3, s[0:1], 0xd7c
	s_add_u32 s8, s0, 0xd70
	s_addc_u32 s9, s1, 0
	s_mov_b32 s5, 0
	s_waitcnt lgkmcnt(0)
	s_and_b32 s13, s3, 0xffff
	s_mul_i32 s6, s2, s13
	s_lshl_b64 s[2:3], s[4:5], 2
	s_add_u32 s4, s0, s2
	s_addc_u32 s5, s1, s3
	s_load_dword s10, s[4:5], 0x408
	v_add_u32_e32 v1, s6, v0
	v_lshlrev_b32_e32 v0, 3, v1
	s_add_u32 s4, s4, 8
	s_addc_u32 s5, s5, 0
	s_waitcnt lgkmcnt(0)
	v_cmp_gt_u32_e32 vcc, s10, v0
	s_and_saveexec_b64 s[6:7], vcc
	s_cbranch_execz .LBB102_8
; %bb.1:
	s_add_u32 s6, s4, s2
	s_addc_u32 s7, s5, s3
	s_sub_u32 s2, 0, s2
	s_subb_u32 s3, 0, s3
	s_add_u32 s14, s6, s2
	s_addc_u32 s15, s7, s3
	s_load_dword s12, s[14:15], 0x200
	s_load_dword s16, s[0:1], 0xd6c
	s_load_dwordx2 s[2:3], s[0:1], 0x0
	s_load_dwordx2 s[4:5], s[6:7], 0x0
	s_load_dword s11, s[0:1], 0xd58
	v_add_u32_e32 v2, 8, v0
	s_mov_b64 s[0:1], 0
	s_waitcnt lgkmcnt(0)
	s_mul_i32 s12, s12, s16
	v_cmp_ge_u32_e32 vcc, s10, v2
	s_and_saveexec_b64 s[6:7], vcc
	s_cbranch_execz .LBB102_5
; %bb.2:
	s_load_dword s8, s[8:9], 0x0
	v_mul_lo_u32 v2, s11, v0
	v_add_u32_e32 v3, 2, v0
	v_add_u32_e32 v4, 3, v0
	;; [unrolled: 1-line block ×3, first 2 shown]
	s_waitcnt lgkmcnt(0)
	s_mul_i32 s9, s8, s13
	s_lshl_b32 s8, s9, 3
	s_mul_i32 s9, s9, s11
	v_add_u32_e32 v6, 5, v0
	v_add_u32_e32 v7, 6, v0
	;; [unrolled: 1-line block ×3, first 2 shown]
	v_mul_lo_u32 v1, s11, v1
	v_add_u32_e32 v2, s11, v2
	s_lshl_b32 s9, s9, 3
	v_mul_lo_u32 v3, s11, v3
	v_mul_lo_u32 v4, s11, v4
	;; [unrolled: 1-line block ×6, first 2 shown]
	v_lshlrev_b32_e32 v1, 3, v1
	s_mov_b32 s13, s12
.LBB102_3:                              ; =>This Inner Loop Header: Depth=1
	global_load_dwordx2 v[10:11], v0, s[4:5]
	v_add_u32_e32 v0, s8, v0
	v_add_u32_e32 v19, 8, v0
	;; [unrolled: 1-line block ×10, first 2 shown]
	s_add_i32 s13, s13, s9
	v_cmp_lt_u32_e32 vcc, s10, v19
	s_or_b64 s[0:1], vcc, s[0:1]
	s_waitcnt vmcnt(0)
	v_lshrrev_b32_e32 v19, 8, v10
	v_lshrrev_b32_e32 v20, 24, v10
	;; [unrolled: 1-line block ×4, first 2 shown]
	global_store_byte v9, v10, s[2:3]
	global_store_byte v12, v19, s[2:3]
	global_store_byte_d16_hi v13, v10, s[2:3]
	global_store_byte v14, v20, s[2:3]
	global_store_byte v15, v11, s[2:3]
	;; [unrolled: 1-line block ×3, first 2 shown]
	global_store_byte_d16_hi v17, v11, s[2:3]
	global_store_byte v18, v22, s[2:3]
	s_andn2_b64 exec, exec, s[0:1]
	s_cbranch_execnz .LBB102_3
; %bb.4:
	s_or_b64 exec, exec, s[0:1]
.LBB102_5:
	s_or_b64 exec, exec, s[6:7]
	v_cmp_gt_u32_e32 vcc, s10, v0
	s_and_b64 exec, exec, vcc
	s_cbranch_execz .LBB102_8
; %bb.6:
	v_mul_lo_u32 v2, v0, s11
	v_mov_b32_e32 v1, 0
	v_add_u32_e32 v2, s12, v2
	s_mov_b64 s[0:1], 0
.LBB102_7:                              ; =>This Inner Loop Header: Depth=1
	v_lshl_add_u64 v[4:5], s[4:5], 0, v[0:1]
	global_load_ubyte v3, v[4:5], off
	v_lshl_add_u64 v[0:1], v[0:1], 0, 1
	v_cmp_le_u32_e32 vcc, s10, v0
	s_or_b64 s[0:1], vcc, s[0:1]
	s_waitcnt vmcnt(0)
	global_store_byte v2, v3, s[2:3]
	v_add_u32_e32 v2, s11, v2
	s_andn2_b64 exec, exec, s[0:1]
	s_cbranch_execnz .LBB102_7
.LBB102_8:
	s_endpgm
	.section	.rodata,"a",@progbits
	.p2align	6, 0x0
	.amdhsa_kernel _ZN2at6native12_GLOBAL__N_135CatArrayBatchedCopy_alignedK_contigINS1_10OpaqueTypeILj1EEEjLi1ELi64ELi64ELi8EEEvPT_NS1_25CatArrInputTensorMetadataIS5_T0_XT2_EXT3_EEENS1_16TensorSizeStrideIS8_Lj4EEEiS8_
		.amdhsa_group_segment_fixed_size 0
		.amdhsa_private_segment_fixed_size 0
		.amdhsa_kernarg_size 3696
		.amdhsa_user_sgpr_count 2
		.amdhsa_user_sgpr_dispatch_ptr 0
		.amdhsa_user_sgpr_queue_ptr 0
		.amdhsa_user_sgpr_kernarg_segment_ptr 1
		.amdhsa_user_sgpr_dispatch_id 0
		.amdhsa_user_sgpr_kernarg_preload_length 0
		.amdhsa_user_sgpr_kernarg_preload_offset 0
		.amdhsa_user_sgpr_private_segment_size 0
		.amdhsa_uses_dynamic_stack 0
		.amdhsa_enable_private_segment 0
		.amdhsa_system_sgpr_workgroup_id_x 1
		.amdhsa_system_sgpr_workgroup_id_y 1
		.amdhsa_system_sgpr_workgroup_id_z 0
		.amdhsa_system_sgpr_workgroup_info 0
		.amdhsa_system_vgpr_workitem_id 0
		.amdhsa_next_free_vgpr 23
		.amdhsa_next_free_sgpr 17
		.amdhsa_accum_offset 24
		.amdhsa_reserve_vcc 1
		.amdhsa_float_round_mode_32 0
		.amdhsa_float_round_mode_16_64 0
		.amdhsa_float_denorm_mode_32 3
		.amdhsa_float_denorm_mode_16_64 3
		.amdhsa_dx10_clamp 1
		.amdhsa_ieee_mode 1
		.amdhsa_fp16_overflow 0
		.amdhsa_tg_split 0
		.amdhsa_exception_fp_ieee_invalid_op 0
		.amdhsa_exception_fp_denorm_src 0
		.amdhsa_exception_fp_ieee_div_zero 0
		.amdhsa_exception_fp_ieee_overflow 0
		.amdhsa_exception_fp_ieee_underflow 0
		.amdhsa_exception_fp_ieee_inexact 0
		.amdhsa_exception_int_div_zero 0
	.end_amdhsa_kernel
	.section	.text._ZN2at6native12_GLOBAL__N_135CatArrayBatchedCopy_alignedK_contigINS1_10OpaqueTypeILj1EEEjLi1ELi64ELi64ELi8EEEvPT_NS1_25CatArrInputTensorMetadataIS5_T0_XT2_EXT3_EEENS1_16TensorSizeStrideIS8_Lj4EEEiS8_,"axG",@progbits,_ZN2at6native12_GLOBAL__N_135CatArrayBatchedCopy_alignedK_contigINS1_10OpaqueTypeILj1EEEjLi1ELi64ELi64ELi8EEEvPT_NS1_25CatArrInputTensorMetadataIS5_T0_XT2_EXT3_EEENS1_16TensorSizeStrideIS8_Lj4EEEiS8_,comdat
.Lfunc_end102:
	.size	_ZN2at6native12_GLOBAL__N_135CatArrayBatchedCopy_alignedK_contigINS1_10OpaqueTypeILj1EEEjLi1ELi64ELi64ELi8EEEvPT_NS1_25CatArrInputTensorMetadataIS5_T0_XT2_EXT3_EEENS1_16TensorSizeStrideIS8_Lj4EEEiS8_, .Lfunc_end102-_ZN2at6native12_GLOBAL__N_135CatArrayBatchedCopy_alignedK_contigINS1_10OpaqueTypeILj1EEEjLi1ELi64ELi64ELi8EEEvPT_NS1_25CatArrInputTensorMetadataIS5_T0_XT2_EXT3_EEENS1_16TensorSizeStrideIS8_Lj4EEEiS8_
                                        ; -- End function
	.set _ZN2at6native12_GLOBAL__N_135CatArrayBatchedCopy_alignedK_contigINS1_10OpaqueTypeILj1EEEjLi1ELi64ELi64ELi8EEEvPT_NS1_25CatArrInputTensorMetadataIS5_T0_XT2_EXT3_EEENS1_16TensorSizeStrideIS8_Lj4EEEiS8_.num_vgpr, 23
	.set _ZN2at6native12_GLOBAL__N_135CatArrayBatchedCopy_alignedK_contigINS1_10OpaqueTypeILj1EEEjLi1ELi64ELi64ELi8EEEvPT_NS1_25CatArrInputTensorMetadataIS5_T0_XT2_EXT3_EEENS1_16TensorSizeStrideIS8_Lj4EEEiS8_.num_agpr, 0
	.set _ZN2at6native12_GLOBAL__N_135CatArrayBatchedCopy_alignedK_contigINS1_10OpaqueTypeILj1EEEjLi1ELi64ELi64ELi8EEEvPT_NS1_25CatArrInputTensorMetadataIS5_T0_XT2_EXT3_EEENS1_16TensorSizeStrideIS8_Lj4EEEiS8_.numbered_sgpr, 17
	.set _ZN2at6native12_GLOBAL__N_135CatArrayBatchedCopy_alignedK_contigINS1_10OpaqueTypeILj1EEEjLi1ELi64ELi64ELi8EEEvPT_NS1_25CatArrInputTensorMetadataIS5_T0_XT2_EXT3_EEENS1_16TensorSizeStrideIS8_Lj4EEEiS8_.num_named_barrier, 0
	.set _ZN2at6native12_GLOBAL__N_135CatArrayBatchedCopy_alignedK_contigINS1_10OpaqueTypeILj1EEEjLi1ELi64ELi64ELi8EEEvPT_NS1_25CatArrInputTensorMetadataIS5_T0_XT2_EXT3_EEENS1_16TensorSizeStrideIS8_Lj4EEEiS8_.private_seg_size, 0
	.set _ZN2at6native12_GLOBAL__N_135CatArrayBatchedCopy_alignedK_contigINS1_10OpaqueTypeILj1EEEjLi1ELi64ELi64ELi8EEEvPT_NS1_25CatArrInputTensorMetadataIS5_T0_XT2_EXT3_EEENS1_16TensorSizeStrideIS8_Lj4EEEiS8_.uses_vcc, 1
	.set _ZN2at6native12_GLOBAL__N_135CatArrayBatchedCopy_alignedK_contigINS1_10OpaqueTypeILj1EEEjLi1ELi64ELi64ELi8EEEvPT_NS1_25CatArrInputTensorMetadataIS5_T0_XT2_EXT3_EEENS1_16TensorSizeStrideIS8_Lj4EEEiS8_.uses_flat_scratch, 0
	.set _ZN2at6native12_GLOBAL__N_135CatArrayBatchedCopy_alignedK_contigINS1_10OpaqueTypeILj1EEEjLi1ELi64ELi64ELi8EEEvPT_NS1_25CatArrInputTensorMetadataIS5_T0_XT2_EXT3_EEENS1_16TensorSizeStrideIS8_Lj4EEEiS8_.has_dyn_sized_stack, 0
	.set _ZN2at6native12_GLOBAL__N_135CatArrayBatchedCopy_alignedK_contigINS1_10OpaqueTypeILj1EEEjLi1ELi64ELi64ELi8EEEvPT_NS1_25CatArrInputTensorMetadataIS5_T0_XT2_EXT3_EEENS1_16TensorSizeStrideIS8_Lj4EEEiS8_.has_recursion, 0
	.set _ZN2at6native12_GLOBAL__N_135CatArrayBatchedCopy_alignedK_contigINS1_10OpaqueTypeILj1EEEjLi1ELi64ELi64ELi8EEEvPT_NS1_25CatArrInputTensorMetadataIS5_T0_XT2_EXT3_EEENS1_16TensorSizeStrideIS8_Lj4EEEiS8_.has_indirect_call, 0
	.section	.AMDGPU.csdata,"",@progbits
; Kernel info:
; codeLenInByte = 568
; TotalNumSgprs: 23
; NumVgprs: 23
; NumAgprs: 0
; TotalNumVgprs: 23
; ScratchSize: 0
; MemoryBound: 0
; FloatMode: 240
; IeeeMode: 1
; LDSByteSize: 0 bytes/workgroup (compile time only)
; SGPRBlocks: 2
; VGPRBlocks: 2
; NumSGPRsForWavesPerEU: 23
; NumVGPRsForWavesPerEU: 23
; AccumOffset: 24
; Occupancy: 8
; WaveLimiterHint : 1
; COMPUTE_PGM_RSRC2:SCRATCH_EN: 0
; COMPUTE_PGM_RSRC2:USER_SGPR: 2
; COMPUTE_PGM_RSRC2:TRAP_HANDLER: 0
; COMPUTE_PGM_RSRC2:TGID_X_EN: 1
; COMPUTE_PGM_RSRC2:TGID_Y_EN: 1
; COMPUTE_PGM_RSRC2:TGID_Z_EN: 0
; COMPUTE_PGM_RSRC2:TIDIG_COMP_CNT: 0
; COMPUTE_PGM_RSRC3_GFX90A:ACCUM_OFFSET: 5
; COMPUTE_PGM_RSRC3_GFX90A:TG_SPLIT: 0
	.section	.text._ZN2at6native12_GLOBAL__N_126CatArrayBatchedCopy_contigINS1_10OpaqueTypeILj1EEEjLi1ELi64ELi64EEEvPT_NS1_25CatArrInputTensorMetadataIS5_T0_XT2_EXT3_EEENS1_16TensorSizeStrideIS8_Lj4EEEiS8_,"axG",@progbits,_ZN2at6native12_GLOBAL__N_126CatArrayBatchedCopy_contigINS1_10OpaqueTypeILj1EEEjLi1ELi64ELi64EEEvPT_NS1_25CatArrInputTensorMetadataIS5_T0_XT2_EXT3_EEENS1_16TensorSizeStrideIS8_Lj4EEEiS8_,comdat
	.globl	_ZN2at6native12_GLOBAL__N_126CatArrayBatchedCopy_contigINS1_10OpaqueTypeILj1EEEjLi1ELi64ELi64EEEvPT_NS1_25CatArrInputTensorMetadataIS5_T0_XT2_EXT3_EEENS1_16TensorSizeStrideIS8_Lj4EEEiS8_ ; -- Begin function _ZN2at6native12_GLOBAL__N_126CatArrayBatchedCopy_contigINS1_10OpaqueTypeILj1EEEjLi1ELi64ELi64EEEvPT_NS1_25CatArrInputTensorMetadataIS5_T0_XT2_EXT3_EEENS1_16TensorSizeStrideIS8_Lj4EEEiS8_
	.p2align	8
	.type	_ZN2at6native12_GLOBAL__N_126CatArrayBatchedCopy_contigINS1_10OpaqueTypeILj1EEEjLi1ELi64ELi64EEEvPT_NS1_25CatArrInputTensorMetadataIS5_T0_XT2_EXT3_EEENS1_16TensorSizeStrideIS8_Lj4EEEiS8_,@function
_ZN2at6native12_GLOBAL__N_126CatArrayBatchedCopy_contigINS1_10OpaqueTypeILj1EEEjLi1ELi64ELi64EEEvPT_NS1_25CatArrInputTensorMetadataIS5_T0_XT2_EXT3_EEENS1_16TensorSizeStrideIS8_Lj4EEEiS8_: ; @_ZN2at6native12_GLOBAL__N_126CatArrayBatchedCopy_contigINS1_10OpaqueTypeILj1EEEjLi1ELi64ELi64EEEvPT_NS1_25CatArrInputTensorMetadataIS5_T0_XT2_EXT3_EEENS1_16TensorSizeStrideIS8_Lj4EEEiS8_
; %bb.0:
	s_mov_b32 s6, s3
	s_load_dword s3, s[0:1], 0xd7c
	s_add_u32 s4, s0, 0xd70
	s_mov_b32 s7, 0
	s_addc_u32 s5, s1, 0
	s_lshl_b64 s[6:7], s[6:7], 2
	s_waitcnt lgkmcnt(0)
	s_and_b32 s9, s3, 0xffff
	s_add_u32 s10, s0, s6
	s_addc_u32 s11, s1, s7
	s_load_dword s8, s[10:11], 0x408
	s_mul_i32 s2, s2, s9
	v_add_u32_e32 v0, s2, v0
	s_add_u32 s2, s10, 8
	s_addc_u32 s3, s11, 0
	s_waitcnt lgkmcnt(0)
	v_cmp_gt_u32_e32 vcc, s8, v0
	s_and_saveexec_b64 s[10:11], vcc
	s_cbranch_execz .LBB103_3
; %bb.1:
	s_add_u32 s10, s2, s6
	s_addc_u32 s11, s3, s7
	s_sub_u32 s2, 0, s6
	s_subb_u32 s3, 0, s7
	s_add_u32 s6, s10, s2
	s_load_dword s12, s[4:5], 0x0
	s_addc_u32 s7, s11, s3
	s_load_dword s13, s[6:7], 0x200
	s_load_dword s14, s[0:1], 0xd6c
	s_load_dwordx2 s[2:3], s[10:11], 0x0
	s_load_dword s15, s[0:1], 0xd58
	s_load_dwordx2 s[4:5], s[0:1], 0x0
	s_mov_b64 s[0:1], 0
	s_waitcnt lgkmcnt(0)
	s_mul_i32 s13, s13, s14
	s_mul_i32 s6, s12, s9
	v_mul_lo_u32 v1, s15, v0
	v_add_u32_e32 v1, s13, v1
	s_mul_i32 s7, s6, s15
.LBB103_2:                              ; =>This Inner Loop Header: Depth=1
	global_load_ubyte v2, v0, s[2:3]
	v_add_u32_e32 v0, s6, v0
	v_cmp_le_u32_e32 vcc, s8, v0
	s_or_b64 s[0:1], vcc, s[0:1]
	s_waitcnt vmcnt(0)
	global_store_byte v1, v2, s[4:5]
	v_add_u32_e32 v1, s7, v1
	s_andn2_b64 exec, exec, s[0:1]
	s_cbranch_execnz .LBB103_2
.LBB103_3:
	s_endpgm
	.section	.rodata,"a",@progbits
	.p2align	6, 0x0
	.amdhsa_kernel _ZN2at6native12_GLOBAL__N_126CatArrayBatchedCopy_contigINS1_10OpaqueTypeILj1EEEjLi1ELi64ELi64EEEvPT_NS1_25CatArrInputTensorMetadataIS5_T0_XT2_EXT3_EEENS1_16TensorSizeStrideIS8_Lj4EEEiS8_
		.amdhsa_group_segment_fixed_size 0
		.amdhsa_private_segment_fixed_size 0
		.amdhsa_kernarg_size 3696
		.amdhsa_user_sgpr_count 2
		.amdhsa_user_sgpr_dispatch_ptr 0
		.amdhsa_user_sgpr_queue_ptr 0
		.amdhsa_user_sgpr_kernarg_segment_ptr 1
		.amdhsa_user_sgpr_dispatch_id 0
		.amdhsa_user_sgpr_kernarg_preload_length 0
		.amdhsa_user_sgpr_kernarg_preload_offset 0
		.amdhsa_user_sgpr_private_segment_size 0
		.amdhsa_uses_dynamic_stack 0
		.amdhsa_enable_private_segment 0
		.amdhsa_system_sgpr_workgroup_id_x 1
		.amdhsa_system_sgpr_workgroup_id_y 1
		.amdhsa_system_sgpr_workgroup_id_z 0
		.amdhsa_system_sgpr_workgroup_info 0
		.amdhsa_system_vgpr_workitem_id 0
		.amdhsa_next_free_vgpr 3
		.amdhsa_next_free_sgpr 16
		.amdhsa_accum_offset 4
		.amdhsa_reserve_vcc 1
		.amdhsa_float_round_mode_32 0
		.amdhsa_float_round_mode_16_64 0
		.amdhsa_float_denorm_mode_32 3
		.amdhsa_float_denorm_mode_16_64 3
		.amdhsa_dx10_clamp 1
		.amdhsa_ieee_mode 1
		.amdhsa_fp16_overflow 0
		.amdhsa_tg_split 0
		.amdhsa_exception_fp_ieee_invalid_op 0
		.amdhsa_exception_fp_denorm_src 0
		.amdhsa_exception_fp_ieee_div_zero 0
		.amdhsa_exception_fp_ieee_overflow 0
		.amdhsa_exception_fp_ieee_underflow 0
		.amdhsa_exception_fp_ieee_inexact 0
		.amdhsa_exception_int_div_zero 0
	.end_amdhsa_kernel
	.section	.text._ZN2at6native12_GLOBAL__N_126CatArrayBatchedCopy_contigINS1_10OpaqueTypeILj1EEEjLi1ELi64ELi64EEEvPT_NS1_25CatArrInputTensorMetadataIS5_T0_XT2_EXT3_EEENS1_16TensorSizeStrideIS8_Lj4EEEiS8_,"axG",@progbits,_ZN2at6native12_GLOBAL__N_126CatArrayBatchedCopy_contigINS1_10OpaqueTypeILj1EEEjLi1ELi64ELi64EEEvPT_NS1_25CatArrInputTensorMetadataIS5_T0_XT2_EXT3_EEENS1_16TensorSizeStrideIS8_Lj4EEEiS8_,comdat
.Lfunc_end103:
	.size	_ZN2at6native12_GLOBAL__N_126CatArrayBatchedCopy_contigINS1_10OpaqueTypeILj1EEEjLi1ELi64ELi64EEEvPT_NS1_25CatArrInputTensorMetadataIS5_T0_XT2_EXT3_EEENS1_16TensorSizeStrideIS8_Lj4EEEiS8_, .Lfunc_end103-_ZN2at6native12_GLOBAL__N_126CatArrayBatchedCopy_contigINS1_10OpaqueTypeILj1EEEjLi1ELi64ELi64EEEvPT_NS1_25CatArrInputTensorMetadataIS5_T0_XT2_EXT3_EEENS1_16TensorSizeStrideIS8_Lj4EEEiS8_
                                        ; -- End function
	.set _ZN2at6native12_GLOBAL__N_126CatArrayBatchedCopy_contigINS1_10OpaqueTypeILj1EEEjLi1ELi64ELi64EEEvPT_NS1_25CatArrInputTensorMetadataIS5_T0_XT2_EXT3_EEENS1_16TensorSizeStrideIS8_Lj4EEEiS8_.num_vgpr, 3
	.set _ZN2at6native12_GLOBAL__N_126CatArrayBatchedCopy_contigINS1_10OpaqueTypeILj1EEEjLi1ELi64ELi64EEEvPT_NS1_25CatArrInputTensorMetadataIS5_T0_XT2_EXT3_EEENS1_16TensorSizeStrideIS8_Lj4EEEiS8_.num_agpr, 0
	.set _ZN2at6native12_GLOBAL__N_126CatArrayBatchedCopy_contigINS1_10OpaqueTypeILj1EEEjLi1ELi64ELi64EEEvPT_NS1_25CatArrInputTensorMetadataIS5_T0_XT2_EXT3_EEENS1_16TensorSizeStrideIS8_Lj4EEEiS8_.numbered_sgpr, 16
	.set _ZN2at6native12_GLOBAL__N_126CatArrayBatchedCopy_contigINS1_10OpaqueTypeILj1EEEjLi1ELi64ELi64EEEvPT_NS1_25CatArrInputTensorMetadataIS5_T0_XT2_EXT3_EEENS1_16TensorSizeStrideIS8_Lj4EEEiS8_.num_named_barrier, 0
	.set _ZN2at6native12_GLOBAL__N_126CatArrayBatchedCopy_contigINS1_10OpaqueTypeILj1EEEjLi1ELi64ELi64EEEvPT_NS1_25CatArrInputTensorMetadataIS5_T0_XT2_EXT3_EEENS1_16TensorSizeStrideIS8_Lj4EEEiS8_.private_seg_size, 0
	.set _ZN2at6native12_GLOBAL__N_126CatArrayBatchedCopy_contigINS1_10OpaqueTypeILj1EEEjLi1ELi64ELi64EEEvPT_NS1_25CatArrInputTensorMetadataIS5_T0_XT2_EXT3_EEENS1_16TensorSizeStrideIS8_Lj4EEEiS8_.uses_vcc, 1
	.set _ZN2at6native12_GLOBAL__N_126CatArrayBatchedCopy_contigINS1_10OpaqueTypeILj1EEEjLi1ELi64ELi64EEEvPT_NS1_25CatArrInputTensorMetadataIS5_T0_XT2_EXT3_EEENS1_16TensorSizeStrideIS8_Lj4EEEiS8_.uses_flat_scratch, 0
	.set _ZN2at6native12_GLOBAL__N_126CatArrayBatchedCopy_contigINS1_10OpaqueTypeILj1EEEjLi1ELi64ELi64EEEvPT_NS1_25CatArrInputTensorMetadataIS5_T0_XT2_EXT3_EEENS1_16TensorSizeStrideIS8_Lj4EEEiS8_.has_dyn_sized_stack, 0
	.set _ZN2at6native12_GLOBAL__N_126CatArrayBatchedCopy_contigINS1_10OpaqueTypeILj1EEEjLi1ELi64ELi64EEEvPT_NS1_25CatArrInputTensorMetadataIS5_T0_XT2_EXT3_EEENS1_16TensorSizeStrideIS8_Lj4EEEiS8_.has_recursion, 0
	.set _ZN2at6native12_GLOBAL__N_126CatArrayBatchedCopy_contigINS1_10OpaqueTypeILj1EEEjLi1ELi64ELi64EEEvPT_NS1_25CatArrInputTensorMetadataIS5_T0_XT2_EXT3_EEENS1_16TensorSizeStrideIS8_Lj4EEEiS8_.has_indirect_call, 0
	.section	.AMDGPU.csdata,"",@progbits
; Kernel info:
; codeLenInByte = 244
; TotalNumSgprs: 22
; NumVgprs: 3
; NumAgprs: 0
; TotalNumVgprs: 3
; ScratchSize: 0
; MemoryBound: 0
; FloatMode: 240
; IeeeMode: 1
; LDSByteSize: 0 bytes/workgroup (compile time only)
; SGPRBlocks: 2
; VGPRBlocks: 0
; NumSGPRsForWavesPerEU: 22
; NumVGPRsForWavesPerEU: 3
; AccumOffset: 4
; Occupancy: 8
; WaveLimiterHint : 1
; COMPUTE_PGM_RSRC2:SCRATCH_EN: 0
; COMPUTE_PGM_RSRC2:USER_SGPR: 2
; COMPUTE_PGM_RSRC2:TRAP_HANDLER: 0
; COMPUTE_PGM_RSRC2:TGID_X_EN: 1
; COMPUTE_PGM_RSRC2:TGID_Y_EN: 1
; COMPUTE_PGM_RSRC2:TGID_Z_EN: 0
; COMPUTE_PGM_RSRC2:TIDIG_COMP_CNT: 0
; COMPUTE_PGM_RSRC3_GFX90A:ACCUM_OFFSET: 0
; COMPUTE_PGM_RSRC3_GFX90A:TG_SPLIT: 0
	.section	.text._ZN2at6native12_GLOBAL__N_119CatArrayBatchedCopyINS1_10OpaqueTypeILj1EEEjLi1ELi64ELi64EEEvPT_NS1_25CatArrInputTensorMetadataIS5_T0_XT2_EXT3_EEENS1_16TensorSizeStrideIS8_Lj4EEEiS8_,"axG",@progbits,_ZN2at6native12_GLOBAL__N_119CatArrayBatchedCopyINS1_10OpaqueTypeILj1EEEjLi1ELi64ELi64EEEvPT_NS1_25CatArrInputTensorMetadataIS5_T0_XT2_EXT3_EEENS1_16TensorSizeStrideIS8_Lj4EEEiS8_,comdat
	.globl	_ZN2at6native12_GLOBAL__N_119CatArrayBatchedCopyINS1_10OpaqueTypeILj1EEEjLi1ELi64ELi64EEEvPT_NS1_25CatArrInputTensorMetadataIS5_T0_XT2_EXT3_EEENS1_16TensorSizeStrideIS8_Lj4EEEiS8_ ; -- Begin function _ZN2at6native12_GLOBAL__N_119CatArrayBatchedCopyINS1_10OpaqueTypeILj1EEEjLi1ELi64ELi64EEEvPT_NS1_25CatArrInputTensorMetadataIS5_T0_XT2_EXT3_EEENS1_16TensorSizeStrideIS8_Lj4EEEiS8_
	.p2align	8
	.type	_ZN2at6native12_GLOBAL__N_119CatArrayBatchedCopyINS1_10OpaqueTypeILj1EEEjLi1ELi64ELi64EEEvPT_NS1_25CatArrInputTensorMetadataIS5_T0_XT2_EXT3_EEENS1_16TensorSizeStrideIS8_Lj4EEEiS8_,@function
_ZN2at6native12_GLOBAL__N_119CatArrayBatchedCopyINS1_10OpaqueTypeILj1EEEjLi1ELi64ELi64EEEvPT_NS1_25CatArrInputTensorMetadataIS5_T0_XT2_EXT3_EEENS1_16TensorSizeStrideIS8_Lj4EEEiS8_: ; @_ZN2at6native12_GLOBAL__N_119CatArrayBatchedCopyINS1_10OpaqueTypeILj1EEEjLi1ELi64ELi64EEEvPT_NS1_25CatArrInputTensorMetadataIS5_T0_XT2_EXT3_EEENS1_16TensorSizeStrideIS8_Lj4EEEiS8_
; %bb.0:
	s_load_dword s5, s[0:1], 0xd7c
	s_mov_b32 s4, s3
	s_or_b32 s3, s0, 8
	s_add_u32 s8, s0, 0xd70
	s_addc_u32 s9, s1, 0
	s_waitcnt lgkmcnt(0)
	s_and_b32 s13, s5, 0xffff
	s_mov_b32 s5, 0
	s_lshl_b64 s[6:7], s[4:5], 2
	s_add_u32 s10, s3, s6
	s_addc_u32 s11, s1, s7
	s_load_dword s12, s[10:11], 0x400
	s_mul_i32 s2, s2, s13
	v_add_u32_e32 v0, s2, v0
	s_waitcnt lgkmcnt(0)
	v_cmp_gt_u32_e32 vcc, s12, v0
	s_and_saveexec_b64 s[14:15], vcc
	s_cbranch_execz .LBB104_3
; %bb.1:
	s_mul_i32 s14, s4, 28
	s_mul_hi_u32 s2, s4, 28
	s_add_u32 s10, s10, s14
	s_addc_u32 s11, s11, s2
	s_add_u32 s14, s3, s4
	s_addc_u32 s15, s1, 0
	v_mov_b32_e32 v1, 0
	global_load_ubyte v1, v1, s[14:15] offset:1280
	s_load_dword s5, s[8:9], 0x0
	s_load_dword s16, s[0:1], 0xd6c
	;; [unrolled: 1-line block ×3, first 2 shown]
	s_load_dwordx2 s[2:3], s[0:1], 0x0
	s_load_dword s18, s[0:1], 0xd58
	s_waitcnt lgkmcnt(0)
	s_mul_i32 s8, s5, s13
	s_mul_hi_u32 s9, s4, 7
	s_mul_i32 s4, s4, 7
	s_mov_b64 s[0:1], 0
	v_mul_lo_u32 v2, s18, v0
	s_waitcnt vmcnt(0)
	v_readfirstlane_b32 s5, v1
	s_and_b32 s13, 1, s5
	s_add_u32 s10, s14, s4
	s_addc_u32 s11, s15, s9
	s_sub_u32 s4, 0, s6
	s_subb_u32 s5, 0, s7
	s_add_u32 s6, s10, s4
	s_addc_u32 s7, s11, s5
	s_load_dwordx2 s[4:5], s[10:11], 0x0
	s_load_dword s9, s[6:7], 0x200
	s_cmp_eq_u32 s13, 1
	s_cselect_b32 s6, 1, s17
	v_mul_lo_u32 v1, s6, v0
	s_mul_i32 s6, s8, s6
	s_waitcnt lgkmcnt(0)
	s_mul_i32 s9, s9, s16
	v_add_u32_e32 v2, s9, v2
	s_mul_i32 s7, s8, s18
.LBB104_2:                              ; =>This Inner Loop Header: Depth=1
	global_load_ubyte v3, v1, s[4:5]
	v_add_u32_e32 v0, s8, v0
	v_cmp_le_u32_e32 vcc, s12, v0
	v_add_u32_e32 v1, s6, v1
	s_or_b64 s[0:1], vcc, s[0:1]
	s_waitcnt vmcnt(0)
	global_store_byte v2, v3, s[2:3]
	v_add_u32_e32 v2, s7, v2
	s_andn2_b64 exec, exec, s[0:1]
	s_cbranch_execnz .LBB104_2
.LBB104_3:
	s_endpgm
	.section	.rodata,"a",@progbits
	.p2align	6, 0x0
	.amdhsa_kernel _ZN2at6native12_GLOBAL__N_119CatArrayBatchedCopyINS1_10OpaqueTypeILj1EEEjLi1ELi64ELi64EEEvPT_NS1_25CatArrInputTensorMetadataIS5_T0_XT2_EXT3_EEENS1_16TensorSizeStrideIS8_Lj4EEEiS8_
		.amdhsa_group_segment_fixed_size 0
		.amdhsa_private_segment_fixed_size 0
		.amdhsa_kernarg_size 3696
		.amdhsa_user_sgpr_count 2
		.amdhsa_user_sgpr_dispatch_ptr 0
		.amdhsa_user_sgpr_queue_ptr 0
		.amdhsa_user_sgpr_kernarg_segment_ptr 1
		.amdhsa_user_sgpr_dispatch_id 0
		.amdhsa_user_sgpr_kernarg_preload_length 0
		.amdhsa_user_sgpr_kernarg_preload_offset 0
		.amdhsa_user_sgpr_private_segment_size 0
		.amdhsa_uses_dynamic_stack 0
		.amdhsa_enable_private_segment 0
		.amdhsa_system_sgpr_workgroup_id_x 1
		.amdhsa_system_sgpr_workgroup_id_y 1
		.amdhsa_system_sgpr_workgroup_id_z 0
		.amdhsa_system_sgpr_workgroup_info 0
		.amdhsa_system_vgpr_workitem_id 0
		.amdhsa_next_free_vgpr 4
		.amdhsa_next_free_sgpr 19
		.amdhsa_accum_offset 4
		.amdhsa_reserve_vcc 1
		.amdhsa_float_round_mode_32 0
		.amdhsa_float_round_mode_16_64 0
		.amdhsa_float_denorm_mode_32 3
		.amdhsa_float_denorm_mode_16_64 3
		.amdhsa_dx10_clamp 1
		.amdhsa_ieee_mode 1
		.amdhsa_fp16_overflow 0
		.amdhsa_tg_split 0
		.amdhsa_exception_fp_ieee_invalid_op 0
		.amdhsa_exception_fp_denorm_src 0
		.amdhsa_exception_fp_ieee_div_zero 0
		.amdhsa_exception_fp_ieee_overflow 0
		.amdhsa_exception_fp_ieee_underflow 0
		.amdhsa_exception_fp_ieee_inexact 0
		.amdhsa_exception_int_div_zero 0
	.end_amdhsa_kernel
	.section	.text._ZN2at6native12_GLOBAL__N_119CatArrayBatchedCopyINS1_10OpaqueTypeILj1EEEjLi1ELi64ELi64EEEvPT_NS1_25CatArrInputTensorMetadataIS5_T0_XT2_EXT3_EEENS1_16TensorSizeStrideIS8_Lj4EEEiS8_,"axG",@progbits,_ZN2at6native12_GLOBAL__N_119CatArrayBatchedCopyINS1_10OpaqueTypeILj1EEEjLi1ELi64ELi64EEEvPT_NS1_25CatArrInputTensorMetadataIS5_T0_XT2_EXT3_EEENS1_16TensorSizeStrideIS8_Lj4EEEiS8_,comdat
.Lfunc_end104:
	.size	_ZN2at6native12_GLOBAL__N_119CatArrayBatchedCopyINS1_10OpaqueTypeILj1EEEjLi1ELi64ELi64EEEvPT_NS1_25CatArrInputTensorMetadataIS5_T0_XT2_EXT3_EEENS1_16TensorSizeStrideIS8_Lj4EEEiS8_, .Lfunc_end104-_ZN2at6native12_GLOBAL__N_119CatArrayBatchedCopyINS1_10OpaqueTypeILj1EEEjLi1ELi64ELi64EEEvPT_NS1_25CatArrInputTensorMetadataIS5_T0_XT2_EXT3_EEENS1_16TensorSizeStrideIS8_Lj4EEEiS8_
                                        ; -- End function
	.set _ZN2at6native12_GLOBAL__N_119CatArrayBatchedCopyINS1_10OpaqueTypeILj1EEEjLi1ELi64ELi64EEEvPT_NS1_25CatArrInputTensorMetadataIS5_T0_XT2_EXT3_EEENS1_16TensorSizeStrideIS8_Lj4EEEiS8_.num_vgpr, 4
	.set _ZN2at6native12_GLOBAL__N_119CatArrayBatchedCopyINS1_10OpaqueTypeILj1EEEjLi1ELi64ELi64EEEvPT_NS1_25CatArrInputTensorMetadataIS5_T0_XT2_EXT3_EEENS1_16TensorSizeStrideIS8_Lj4EEEiS8_.num_agpr, 0
	.set _ZN2at6native12_GLOBAL__N_119CatArrayBatchedCopyINS1_10OpaqueTypeILj1EEEjLi1ELi64ELi64EEEvPT_NS1_25CatArrInputTensorMetadataIS5_T0_XT2_EXT3_EEENS1_16TensorSizeStrideIS8_Lj4EEEiS8_.numbered_sgpr, 19
	.set _ZN2at6native12_GLOBAL__N_119CatArrayBatchedCopyINS1_10OpaqueTypeILj1EEEjLi1ELi64ELi64EEEvPT_NS1_25CatArrInputTensorMetadataIS5_T0_XT2_EXT3_EEENS1_16TensorSizeStrideIS8_Lj4EEEiS8_.num_named_barrier, 0
	.set _ZN2at6native12_GLOBAL__N_119CatArrayBatchedCopyINS1_10OpaqueTypeILj1EEEjLi1ELi64ELi64EEEvPT_NS1_25CatArrInputTensorMetadataIS5_T0_XT2_EXT3_EEENS1_16TensorSizeStrideIS8_Lj4EEEiS8_.private_seg_size, 0
	.set _ZN2at6native12_GLOBAL__N_119CatArrayBatchedCopyINS1_10OpaqueTypeILj1EEEjLi1ELi64ELi64EEEvPT_NS1_25CatArrInputTensorMetadataIS5_T0_XT2_EXT3_EEENS1_16TensorSizeStrideIS8_Lj4EEEiS8_.uses_vcc, 1
	.set _ZN2at6native12_GLOBAL__N_119CatArrayBatchedCopyINS1_10OpaqueTypeILj1EEEjLi1ELi64ELi64EEEvPT_NS1_25CatArrInputTensorMetadataIS5_T0_XT2_EXT3_EEENS1_16TensorSizeStrideIS8_Lj4EEEiS8_.uses_flat_scratch, 0
	.set _ZN2at6native12_GLOBAL__N_119CatArrayBatchedCopyINS1_10OpaqueTypeILj1EEEjLi1ELi64ELi64EEEvPT_NS1_25CatArrInputTensorMetadataIS5_T0_XT2_EXT3_EEENS1_16TensorSizeStrideIS8_Lj4EEEiS8_.has_dyn_sized_stack, 0
	.set _ZN2at6native12_GLOBAL__N_119CatArrayBatchedCopyINS1_10OpaqueTypeILj1EEEjLi1ELi64ELi64EEEvPT_NS1_25CatArrInputTensorMetadataIS5_T0_XT2_EXT3_EEENS1_16TensorSizeStrideIS8_Lj4EEEiS8_.has_recursion, 0
	.set _ZN2at6native12_GLOBAL__N_119CatArrayBatchedCopyINS1_10OpaqueTypeILj1EEEjLi1ELi64ELi64EEEvPT_NS1_25CatArrInputTensorMetadataIS5_T0_XT2_EXT3_EEENS1_16TensorSizeStrideIS8_Lj4EEEiS8_.has_indirect_call, 0
	.section	.AMDGPU.csdata,"",@progbits
; Kernel info:
; codeLenInByte = 332
; TotalNumSgprs: 25
; NumVgprs: 4
; NumAgprs: 0
; TotalNumVgprs: 4
; ScratchSize: 0
; MemoryBound: 0
; FloatMode: 240
; IeeeMode: 1
; LDSByteSize: 0 bytes/workgroup (compile time only)
; SGPRBlocks: 3
; VGPRBlocks: 0
; NumSGPRsForWavesPerEU: 25
; NumVGPRsForWavesPerEU: 4
; AccumOffset: 4
; Occupancy: 8
; WaveLimiterHint : 1
; COMPUTE_PGM_RSRC2:SCRATCH_EN: 0
; COMPUTE_PGM_RSRC2:USER_SGPR: 2
; COMPUTE_PGM_RSRC2:TRAP_HANDLER: 0
; COMPUTE_PGM_RSRC2:TGID_X_EN: 1
; COMPUTE_PGM_RSRC2:TGID_Y_EN: 1
; COMPUTE_PGM_RSRC2:TGID_Z_EN: 0
; COMPUTE_PGM_RSRC2:TIDIG_COMP_CNT: 0
; COMPUTE_PGM_RSRC3_GFX90A:ACCUM_OFFSET: 0
; COMPUTE_PGM_RSRC3_GFX90A:TG_SPLIT: 0
	.section	.text._ZN2at6native12_GLOBAL__N_130CatArrayBatchedCopy_vectorizedINS1_10OpaqueTypeILj1EEEjLi2ELi64ELi64ELi16ELi16EEEvPcNS1_25CatArrInputTensorMetadataIT_T0_XT2_EXT3_EEENS1_16TensorSizeStrideIS8_Lj4EEEiS8_,"axG",@progbits,_ZN2at6native12_GLOBAL__N_130CatArrayBatchedCopy_vectorizedINS1_10OpaqueTypeILj1EEEjLi2ELi64ELi64ELi16ELi16EEEvPcNS1_25CatArrInputTensorMetadataIT_T0_XT2_EXT3_EEENS1_16TensorSizeStrideIS8_Lj4EEEiS8_,comdat
	.globl	_ZN2at6native12_GLOBAL__N_130CatArrayBatchedCopy_vectorizedINS1_10OpaqueTypeILj1EEEjLi2ELi64ELi64ELi16ELi16EEEvPcNS1_25CatArrInputTensorMetadataIT_T0_XT2_EXT3_EEENS1_16TensorSizeStrideIS8_Lj4EEEiS8_ ; -- Begin function _ZN2at6native12_GLOBAL__N_130CatArrayBatchedCopy_vectorizedINS1_10OpaqueTypeILj1EEEjLi2ELi64ELi64ELi16ELi16EEEvPcNS1_25CatArrInputTensorMetadataIT_T0_XT2_EXT3_EEENS1_16TensorSizeStrideIS8_Lj4EEEiS8_
	.p2align	8
	.type	_ZN2at6native12_GLOBAL__N_130CatArrayBatchedCopy_vectorizedINS1_10OpaqueTypeILj1EEEjLi2ELi64ELi64ELi16ELi16EEEvPcNS1_25CatArrInputTensorMetadataIT_T0_XT2_EXT3_EEENS1_16TensorSizeStrideIS8_Lj4EEEiS8_,@function
_ZN2at6native12_GLOBAL__N_130CatArrayBatchedCopy_vectorizedINS1_10OpaqueTypeILj1EEEjLi2ELi64ELi64ELi16ELi16EEEvPcNS1_25CatArrInputTensorMetadataIT_T0_XT2_EXT3_EEENS1_16TensorSizeStrideIS8_Lj4EEEiS8_: ; @_ZN2at6native12_GLOBAL__N_130CatArrayBatchedCopy_vectorizedINS1_10OpaqueTypeILj1EEEjLi2ELi64ELi64ELi16ELi16EEEvPcNS1_25CatArrInputTensorMetadataIT_T0_XT2_EXT3_EEENS1_16TensorSizeStrideIS8_Lj4EEEiS8_
; %bb.0:
	s_mov_b32 s6, s3
	s_load_dword s3, s[0:1], 0xd7c
	s_add_u32 s4, s0, 0xd70
	s_mov_b32 s7, 0
	s_addc_u32 s5, s1, 0
	s_lshl_b64 s[6:7], s[6:7], 2
	s_waitcnt lgkmcnt(0)
	s_and_b32 s10, s3, 0xffff
	s_add_u32 s8, s0, s6
	s_addc_u32 s9, s1, s7
	s_load_dword s11, s[8:9], 0x408
	s_mul_i32 s2, s2, s10
	v_add_u32_e32 v0, s2, v0
	s_add_u32 s2, s8, 8
	s_addc_u32 s3, s9, 0
	s_waitcnt lgkmcnt(0)
	s_lshr_b32 s8, s11, 4
	v_cmp_gt_u32_e32 vcc, s8, v0
	s_and_saveexec_b64 s[12:13], vcc
	s_cbranch_execz .LBB105_3
; %bb.1:
	s_add_u32 s14, s2, s6
	s_addc_u32 s15, s3, s7
	s_sub_u32 s2, 0, s6
	s_subb_u32 s3, 0, s7
	s_load_dwordx2 s[12:13], s[0:1], 0xd68
	s_add_u32 s6, s14, s2
	s_addc_u32 s7, s15, s3
	s_load_dword s9, s[6:7], 0x200
	s_load_dword s11, s[6:7], 0x300
	s_load_dwordx2 s[2:3], s[0:1], 0xd58
	s_load_dword s16, s[0:1], 0xd4c
	s_waitcnt lgkmcnt(0)
	s_mul_i32 s9, s9, s13
	s_mul_i32 s11, s11, s13
	s_and_b32 s17, s9, -16
	s_lshr_b32 s6, s11, 4
	s_cmp_eq_u32 s12, 1
	s_cselect_b32 s9, s6, s16
	v_cvt_f32_u32_e32 v1, s9
	s_load_dword s11, s[4:5], 0x0
	s_load_dwordx2 s[6:7], s[0:1], 0x0
	s_mov_b64 s[4:5], 0
	s_load_dwordx2 s[0:1], s[14:15], 0x0
	v_rcp_iflag_f32_e32 v1, v1
	s_waitcnt lgkmcnt(0)
	s_mul_i32 s10, s11, s10
	s_add_u32 s6, s6, s17
	s_addc_u32 s7, s7, 0
	v_mul_f32_e32 v1, 0x4f7ffffe, v1
	v_cvt_u32_f32_e32 v1, v1
	s_sub_i32 s11, 0, s9
	v_mul_lo_u32 v2, s11, v1
	v_mul_hi_u32 v2, v1, v2
	v_add_u32_e32 v2, v1, v2
	v_mov_b32_e32 v1, 0
.LBB105_2:                              ; =>This Inner Loop Header: Depth=1
	v_lshl_add_u64 v[4:5], v[0:1], 4, s[0:1]
	global_load_dwordx4 v[4:7], v[4:5], off
	v_mul_hi_u32 v3, v2, v0
	v_mul_lo_u32 v8, s9, v3
	v_not_b32_e32 v9, v3
	v_sub_u32_e32 v11, v0, v8
	v_add_u32_e32 v10, 1, v3
	v_mad_u64_u32 v[8:9], s[12:13], s9, v9, v[0:1]
	v_cmp_le_u32_e32 vcc, s9, v11
	s_nop 1
	v_cndmask_b32_e32 v3, v3, v10, vcc
	v_cndmask_b32_e32 v8, v11, v8, vcc
	v_add_u32_e32 v9, 1, v3
	v_cmp_le_u32_e32 vcc, s9, v8
	s_nop 1
	v_cndmask_b32_e32 v3, v3, v9, vcc
	v_mad_u64_u32 v[8:9], s[12:13], s11, v3, v[0:1]
	v_mul_lo_u32 v10, v3, s2
	v_add_u32_e32 v0, s10, v0
	v_mad_u64_u32 v[8:9], s[12:13], v8, s3, v[10:11]
	v_cmp_le_u32_e32 vcc, s8, v0
	v_mov_b32_e32 v9, v1
	s_or_b64 s[4:5], vcc, s[4:5]
	v_lshl_add_u64 v[8:9], v[8:9], 4, s[6:7]
	s_waitcnt vmcnt(0)
	global_store_dwordx4 v[8:9], v[4:7], off
	s_andn2_b64 exec, exec, s[4:5]
	s_cbranch_execnz .LBB105_2
.LBB105_3:
	s_endpgm
	.section	.rodata,"a",@progbits
	.p2align	6, 0x0
	.amdhsa_kernel _ZN2at6native12_GLOBAL__N_130CatArrayBatchedCopy_vectorizedINS1_10OpaqueTypeILj1EEEjLi2ELi64ELi64ELi16ELi16EEEvPcNS1_25CatArrInputTensorMetadataIT_T0_XT2_EXT3_EEENS1_16TensorSizeStrideIS8_Lj4EEEiS8_
		.amdhsa_group_segment_fixed_size 0
		.amdhsa_private_segment_fixed_size 0
		.amdhsa_kernarg_size 3696
		.amdhsa_user_sgpr_count 2
		.amdhsa_user_sgpr_dispatch_ptr 0
		.amdhsa_user_sgpr_queue_ptr 0
		.amdhsa_user_sgpr_kernarg_segment_ptr 1
		.amdhsa_user_sgpr_dispatch_id 0
		.amdhsa_user_sgpr_kernarg_preload_length 0
		.amdhsa_user_sgpr_kernarg_preload_offset 0
		.amdhsa_user_sgpr_private_segment_size 0
		.amdhsa_uses_dynamic_stack 0
		.amdhsa_enable_private_segment 0
		.amdhsa_system_sgpr_workgroup_id_x 1
		.amdhsa_system_sgpr_workgroup_id_y 1
		.amdhsa_system_sgpr_workgroup_id_z 0
		.amdhsa_system_sgpr_workgroup_info 0
		.amdhsa_system_vgpr_workitem_id 0
		.amdhsa_next_free_vgpr 12
		.amdhsa_next_free_sgpr 18
		.amdhsa_accum_offset 12
		.amdhsa_reserve_vcc 1
		.amdhsa_float_round_mode_32 0
		.amdhsa_float_round_mode_16_64 0
		.amdhsa_float_denorm_mode_32 3
		.amdhsa_float_denorm_mode_16_64 3
		.amdhsa_dx10_clamp 1
		.amdhsa_ieee_mode 1
		.amdhsa_fp16_overflow 0
		.amdhsa_tg_split 0
		.amdhsa_exception_fp_ieee_invalid_op 0
		.amdhsa_exception_fp_denorm_src 0
		.amdhsa_exception_fp_ieee_div_zero 0
		.amdhsa_exception_fp_ieee_overflow 0
		.amdhsa_exception_fp_ieee_underflow 0
		.amdhsa_exception_fp_ieee_inexact 0
		.amdhsa_exception_int_div_zero 0
	.end_amdhsa_kernel
	.section	.text._ZN2at6native12_GLOBAL__N_130CatArrayBatchedCopy_vectorizedINS1_10OpaqueTypeILj1EEEjLi2ELi64ELi64ELi16ELi16EEEvPcNS1_25CatArrInputTensorMetadataIT_T0_XT2_EXT3_EEENS1_16TensorSizeStrideIS8_Lj4EEEiS8_,"axG",@progbits,_ZN2at6native12_GLOBAL__N_130CatArrayBatchedCopy_vectorizedINS1_10OpaqueTypeILj1EEEjLi2ELi64ELi64ELi16ELi16EEEvPcNS1_25CatArrInputTensorMetadataIT_T0_XT2_EXT3_EEENS1_16TensorSizeStrideIS8_Lj4EEEiS8_,comdat
.Lfunc_end105:
	.size	_ZN2at6native12_GLOBAL__N_130CatArrayBatchedCopy_vectorizedINS1_10OpaqueTypeILj1EEEjLi2ELi64ELi64ELi16ELi16EEEvPcNS1_25CatArrInputTensorMetadataIT_T0_XT2_EXT3_EEENS1_16TensorSizeStrideIS8_Lj4EEEiS8_, .Lfunc_end105-_ZN2at6native12_GLOBAL__N_130CatArrayBatchedCopy_vectorizedINS1_10OpaqueTypeILj1EEEjLi2ELi64ELi64ELi16ELi16EEEvPcNS1_25CatArrInputTensorMetadataIT_T0_XT2_EXT3_EEENS1_16TensorSizeStrideIS8_Lj4EEEiS8_
                                        ; -- End function
	.set _ZN2at6native12_GLOBAL__N_130CatArrayBatchedCopy_vectorizedINS1_10OpaqueTypeILj1EEEjLi2ELi64ELi64ELi16ELi16EEEvPcNS1_25CatArrInputTensorMetadataIT_T0_XT2_EXT3_EEENS1_16TensorSizeStrideIS8_Lj4EEEiS8_.num_vgpr, 12
	.set _ZN2at6native12_GLOBAL__N_130CatArrayBatchedCopy_vectorizedINS1_10OpaqueTypeILj1EEEjLi2ELi64ELi64ELi16ELi16EEEvPcNS1_25CatArrInputTensorMetadataIT_T0_XT2_EXT3_EEENS1_16TensorSizeStrideIS8_Lj4EEEiS8_.num_agpr, 0
	.set _ZN2at6native12_GLOBAL__N_130CatArrayBatchedCopy_vectorizedINS1_10OpaqueTypeILj1EEEjLi2ELi64ELi64ELi16ELi16EEEvPcNS1_25CatArrInputTensorMetadataIT_T0_XT2_EXT3_EEENS1_16TensorSizeStrideIS8_Lj4EEEiS8_.numbered_sgpr, 18
	.set _ZN2at6native12_GLOBAL__N_130CatArrayBatchedCopy_vectorizedINS1_10OpaqueTypeILj1EEEjLi2ELi64ELi64ELi16ELi16EEEvPcNS1_25CatArrInputTensorMetadataIT_T0_XT2_EXT3_EEENS1_16TensorSizeStrideIS8_Lj4EEEiS8_.num_named_barrier, 0
	.set _ZN2at6native12_GLOBAL__N_130CatArrayBatchedCopy_vectorizedINS1_10OpaqueTypeILj1EEEjLi2ELi64ELi64ELi16ELi16EEEvPcNS1_25CatArrInputTensorMetadataIT_T0_XT2_EXT3_EEENS1_16TensorSizeStrideIS8_Lj4EEEiS8_.private_seg_size, 0
	.set _ZN2at6native12_GLOBAL__N_130CatArrayBatchedCopy_vectorizedINS1_10OpaqueTypeILj1EEEjLi2ELi64ELi64ELi16ELi16EEEvPcNS1_25CatArrInputTensorMetadataIT_T0_XT2_EXT3_EEENS1_16TensorSizeStrideIS8_Lj4EEEiS8_.uses_vcc, 1
	.set _ZN2at6native12_GLOBAL__N_130CatArrayBatchedCopy_vectorizedINS1_10OpaqueTypeILj1EEEjLi2ELi64ELi64ELi16ELi16EEEvPcNS1_25CatArrInputTensorMetadataIT_T0_XT2_EXT3_EEENS1_16TensorSizeStrideIS8_Lj4EEEiS8_.uses_flat_scratch, 0
	.set _ZN2at6native12_GLOBAL__N_130CatArrayBatchedCopy_vectorizedINS1_10OpaqueTypeILj1EEEjLi2ELi64ELi64ELi16ELi16EEEvPcNS1_25CatArrInputTensorMetadataIT_T0_XT2_EXT3_EEENS1_16TensorSizeStrideIS8_Lj4EEEiS8_.has_dyn_sized_stack, 0
	.set _ZN2at6native12_GLOBAL__N_130CatArrayBatchedCopy_vectorizedINS1_10OpaqueTypeILj1EEEjLi2ELi64ELi64ELi16ELi16EEEvPcNS1_25CatArrInputTensorMetadataIT_T0_XT2_EXT3_EEENS1_16TensorSizeStrideIS8_Lj4EEEiS8_.has_recursion, 0
	.set _ZN2at6native12_GLOBAL__N_130CatArrayBatchedCopy_vectorizedINS1_10OpaqueTypeILj1EEEjLi2ELi64ELi64ELi16ELi16EEEvPcNS1_25CatArrInputTensorMetadataIT_T0_XT2_EXT3_EEENS1_16TensorSizeStrideIS8_Lj4EEEiS8_.has_indirect_call, 0
	.section	.AMDGPU.csdata,"",@progbits
; Kernel info:
; codeLenInByte = 436
; TotalNumSgprs: 24
; NumVgprs: 12
; NumAgprs: 0
; TotalNumVgprs: 12
; ScratchSize: 0
; MemoryBound: 0
; FloatMode: 240
; IeeeMode: 1
; LDSByteSize: 0 bytes/workgroup (compile time only)
; SGPRBlocks: 2
; VGPRBlocks: 1
; NumSGPRsForWavesPerEU: 24
; NumVGPRsForWavesPerEU: 12
; AccumOffset: 12
; Occupancy: 8
; WaveLimiterHint : 1
; COMPUTE_PGM_RSRC2:SCRATCH_EN: 0
; COMPUTE_PGM_RSRC2:USER_SGPR: 2
; COMPUTE_PGM_RSRC2:TRAP_HANDLER: 0
; COMPUTE_PGM_RSRC2:TGID_X_EN: 1
; COMPUTE_PGM_RSRC2:TGID_Y_EN: 1
; COMPUTE_PGM_RSRC2:TGID_Z_EN: 0
; COMPUTE_PGM_RSRC2:TIDIG_COMP_CNT: 0
; COMPUTE_PGM_RSRC3_GFX90A:ACCUM_OFFSET: 2
; COMPUTE_PGM_RSRC3_GFX90A:TG_SPLIT: 0
	.section	.text._ZN2at6native12_GLOBAL__N_135CatArrayBatchedCopy_alignedK_contigINS1_10OpaqueTypeILj1EEEjLi2ELi64ELi64ELi16EEEvPT_NS1_25CatArrInputTensorMetadataIS5_T0_XT2_EXT3_EEENS1_16TensorSizeStrideIS8_Lj4EEEiS8_,"axG",@progbits,_ZN2at6native12_GLOBAL__N_135CatArrayBatchedCopy_alignedK_contigINS1_10OpaqueTypeILj1EEEjLi2ELi64ELi64ELi16EEEvPT_NS1_25CatArrInputTensorMetadataIS5_T0_XT2_EXT3_EEENS1_16TensorSizeStrideIS8_Lj4EEEiS8_,comdat
	.globl	_ZN2at6native12_GLOBAL__N_135CatArrayBatchedCopy_alignedK_contigINS1_10OpaqueTypeILj1EEEjLi2ELi64ELi64ELi16EEEvPT_NS1_25CatArrInputTensorMetadataIS5_T0_XT2_EXT3_EEENS1_16TensorSizeStrideIS8_Lj4EEEiS8_ ; -- Begin function _ZN2at6native12_GLOBAL__N_135CatArrayBatchedCopy_alignedK_contigINS1_10OpaqueTypeILj1EEEjLi2ELi64ELi64ELi16EEEvPT_NS1_25CatArrInputTensorMetadataIS5_T0_XT2_EXT3_EEENS1_16TensorSizeStrideIS8_Lj4EEEiS8_
	.p2align	8
	.type	_ZN2at6native12_GLOBAL__N_135CatArrayBatchedCopy_alignedK_contigINS1_10OpaqueTypeILj1EEEjLi2ELi64ELi64ELi16EEEvPT_NS1_25CatArrInputTensorMetadataIS5_T0_XT2_EXT3_EEENS1_16TensorSizeStrideIS8_Lj4EEEiS8_,@function
_ZN2at6native12_GLOBAL__N_135CatArrayBatchedCopy_alignedK_contigINS1_10OpaqueTypeILj1EEEjLi2ELi64ELi64ELi16EEEvPT_NS1_25CatArrInputTensorMetadataIS5_T0_XT2_EXT3_EEENS1_16TensorSizeStrideIS8_Lj4EEEiS8_: ; @_ZN2at6native12_GLOBAL__N_135CatArrayBatchedCopy_alignedK_contigINS1_10OpaqueTypeILj1EEEjLi2ELi64ELi64ELi16EEEvPT_NS1_25CatArrInputTensorMetadataIS5_T0_XT2_EXT3_EEENS1_16TensorSizeStrideIS8_Lj4EEEiS8_
; %bb.0:
	s_mov_b32 s6, s3
	s_load_dword s3, s[0:1], 0xd7c
	s_add_u32 s4, s0, 0xd70
	s_mov_b32 s7, 0
	s_addc_u32 s5, s1, 0
	s_lshl_b64 s[6:7], s[6:7], 2
	s_waitcnt lgkmcnt(0)
	s_and_b32 s3, s3, 0xffff
	s_add_u32 s8, s0, s6
	s_addc_u32 s9, s1, s7
	s_load_dword s33, s[8:9], 0x408
	s_mul_i32 s2, s2, s3
	v_add_lshl_u32 v0, s2, v0, 4
	s_add_u32 s2, s8, 8
	s_addc_u32 s8, s9, 0
	s_waitcnt lgkmcnt(0)
	v_cmp_gt_u32_e32 vcc, s33, v0
	s_and_saveexec_b64 s[10:11], vcc
	s_cbranch_execz .LBB106_8
; %bb.1:
	s_add_u32 s10, s2, s6
	s_addc_u32 s11, s8, s7
	s_sub_u32 s2, 0, s6
	s_subb_u32 s7, 0, s7
	s_add_u32 s6, s10, s2
	s_addc_u32 s7, s11, s7
	s_load_dword s2, s[6:7], 0x200
	s_load_dwordx2 s[30:31], s[0:1], 0x0
	s_load_dwordx2 s[38:39], s[0:1], 0xd68
	s_load_dword s44, s[0:1], 0xd4c
	s_load_dwordx2 s[34:35], s[0:1], 0xd58
	s_load_dwordx2 s[36:37], s[10:11], 0x0
	s_load_dword s45, s[6:7], 0x300
	v_add_u32_e32 v1, 16, v0
	s_mov_b64 s[40:41], 0
	s_waitcnt lgkmcnt(0)
	s_mul_i32 s39, s2, s39
	v_cmp_ge_u32_e32 vcc, s33, v1
	s_and_saveexec_b64 s[42:43], vcc
	s_cbranch_execz .LBB106_5
; %bb.2:
	s_load_dword s0, s[4:5], 0x0
	v_add_u32_e32 v1, 15, v0
	v_add_u32_e32 v3, 14, v0
	;; [unrolled: 1-line block ×4, first 2 shown]
	s_waitcnt lgkmcnt(0)
	s_mul_i32 s0, s0, s3
	s_lshl_b32 s46, s0, 4
	s_cmp_eq_u32 s38, 1
	s_cselect_b32 s47, s45, s44
	v_cvt_f32_u32_e32 v2, s47
	s_sub_i32 s48, 0, s47
	v_add_u32_e32 v9, 11, v0
	v_add_u32_e32 v11, 10, v0
	v_rcp_iflag_f32_e32 v2, v2
	v_add_u32_e32 v13, 9, v0
	v_add_u32_e32 v15, 8, v0
	;; [unrolled: 1-line block ×3, first 2 shown]
	v_mul_f32_e32 v2, 0x4f7ffffe, v2
	v_cvt_u32_f32_e32 v2, v2
	v_add_u32_e32 v19, 6, v0
	v_add_u32_e32 v21, 5, v0
	;; [unrolled: 1-line block ×3, first 2 shown]
	v_mul_lo_u32 v4, s48, v2
	v_mul_hi_u32 v4, v2, v4
	v_add_u32_e32 v25, v2, v4
	v_add_u32_e32 v27, 3, v0
	;; [unrolled: 1-line block ×4, first 2 shown]
.LBB106_3:                              ; =>This Inner Loop Header: Depth=1
	v_mul_hi_u32 v32, v25, v0
	v_not_b32_e32 v43, v32
	v_mad_u64_u32 v[44:45], s[0:1], s48, v32, v[0:1]
	v_mul_hi_u32 v42, v25, v31
	v_mad_u64_u32 v[46:47], s[0:1], s47, v43, v[0:1]
	v_cmp_le_u32_e32 vcc, s47, v44
	v_add_u32_e32 v26, 1, v0
	v_mul_hi_u32 v41, v25, v29
	v_cndmask_b32_e32 v46, v44, v46, vcc
	v_not_b32_e32 v44, v42
	v_mad_u64_u32 v[42:43], s[0:1], s48, v42, v[26:27]
	v_mad_u64_u32 v[44:45], s[0:1], s47, v44, v[26:27]
	v_cmp_le_u32_e64 s[0:1], s47, v42
	v_add_u32_e32 v2, 2, v0
	v_mul_hi_u32 v40, v25, v27
	v_cndmask_b32_e64 v47, v42, v44, s[0:1]
	v_not_b32_e32 v44, v41
	v_mad_u64_u32 v[42:43], s[2:3], s48, v41, v[2:3]
	v_mad_u64_u32 v[44:45], s[2:3], s47, v44, v[2:3]
	v_cmp_le_u32_e64 s[2:3], s47, v42
	v_add_u32_e32 v4, 3, v0
	v_mul_hi_u32 v39, v25, v23
	v_cndmask_b32_e64 v44, v42, v44, s[2:3]
	;; [unrolled: 7-line block ×8, first 2 shown]
	v_not_b32_e32 v36, v34
	v_mad_u64_u32 v[34:35], s[16:17], s48, v34, v[16:17]
	v_mad_u64_u32 v[36:37], s[16:17], s47, v36, v[16:17]
	v_add_u32_e32 v18, 10, v0
	v_cmp_le_u32_e64 s[16:17], s47, v34
	v_mul_hi_u32 v48, v25, v9
	v_add_u32_e32 v20, 11, v0
	v_cndmask_b32_e64 v39, v34, v36, s[16:17]
	v_mad_u64_u32 v[34:35], s[18:19], s48, v33, v[18:19]
	v_not_b32_e32 v33, v33
	v_mad_u64_u32 v[36:37], s[18:19], s47, v33, v[18:19]
	v_cmp_le_u32_e64 s[18:19], s47, v34
	v_mul_hi_u32 v49, v25, v7
	v_add_u32_e32 v22, 12, v0
	v_cndmask_b32_e64 v33, v34, v36, s[18:19]
	v_not_b32_e32 v36, v48
	v_mad_u64_u32 v[34:35], s[20:21], s48, v48, v[20:21]
	v_mad_u64_u32 v[36:37], s[20:21], s47, v36, v[20:21]
	v_cmp_le_u32_e64 s[20:21], s47, v34
	v_mul_hi_u32 v50, v25, v5
	v_add_u32_e32 v24, 13, v0
	v_cndmask_b32_e64 v48, v34, v36, s[20:21]
	v_not_b32_e32 v36, v49
	v_mad_u64_u32 v[34:35], s[22:23], s48, v49, v[22:23]
	;; [unrolled: 7-line block ×5, first 2 shown]
	v_mad_u64_u32 v[36:37], s[28:29], s47, v36, v[30:31]
	v_add_u32_e32 v35, 1, v32
	v_cmp_le_u32_e64 s[28:29], s47, v34
	v_cndmask_b32_e32 v32, v32, v35, vcc
	v_add_u32_e32 v35, 1, v26
	v_cndmask_b32_e64 v34, v34, v36, s[28:29]
	v_mul_hi_u32 v36, v2, v25
	v_mul_hi_u32 v37, v4, v25
	v_cndmask_b32_e64 v26, v26, v35, s[0:1]
	v_add_u32_e32 v35, 1, v36
	v_mul_hi_u32 v52, v6, v25
	v_cndmask_b32_e64 v35, v36, v35, s[2:3]
	v_add_u32_e32 v36, 1, v37
	v_cndmask_b32_e64 v36, v37, v36, s[4:5]
	v_add_u32_e32 v37, 1, v52
	v_cndmask_b32_e64 v37, v52, v37, s[6:7]
	v_mul_hi_u32 v52, v8, v25
	v_add_u32_e32 v53, 1, v52
	v_cndmask_b32_e64 v52, v52, v53, s[8:9]
	v_mul_hi_u32 v53, v10, v25
	;; [unrolled: 3-line block ×11, first 2 shown]
	v_add_u32_e32 v63, 1, v62
	v_cndmask_b32_e64 v62, v62, v63, s[28:29]
	v_cmp_le_u32_e64 s[24:25], s47, v34
	v_add_u32_e32 v34, 1, v26
	v_cmp_le_u32_e64 s[26:27], s47, v47
	v_add_u32_e32 v47, 1, v32
	;; [unrolled: 2-line block ×3, first 2 shown]
	v_cmp_le_u32_e32 vcc, s47, v44
	v_add_u32_e32 v44, 1, v36
	v_cmp_le_u32_e64 s[0:1], s47, v45
	v_cmp_le_u32_e64 s[14:15], s47, v33
	v_add_u32_e32 v33, 1, v58
	v_cmp_le_u32_e64 s[16:17], s47, v48
	v_cndmask_b32_e64 v64, v32, v47, s[28:29]
	v_cndmask_b32_e64 v26, v26, v34, s[26:27]
	v_cndmask_b32_e32 v65, v35, v63, vcc
	v_cndmask_b32_e64 v66, v36, v44, s[0:1]
	v_cndmask_b32_e64 v74, v58, v33, s[16:17]
	v_mad_u64_u32 v[32:33], s[0:1], s48, v64, v[0:1]
	v_mad_u64_u32 v[34:35], s[0:1], s48, v26, v[0:1]
	v_mul_lo_u32 v79, v32, s35
	v_mul_lo_u32 v80, s35, v34
	global_load_dwordx4 v[32:35], v0, s[36:37]
	v_cmp_le_u32_e64 s[10:11], s47, v38
	v_add_u32_e32 v38, 1, v56
	v_cmp_le_u32_e64 s[12:13], s47, v39
	v_cmp_le_u32_e64 s[20:21], s47, v50
	v_add_u32_e32 v50, 1, v61
	v_cmp_le_u32_e64 s[22:23], s47, v51
	v_add_u32_e32 v51, 1, v62
	v_cndmask_b32_e64 v72, v56, v38, s[12:13]
	v_add_u32_e32 v45, 1, v37
	v_cmp_le_u32_e64 s[2:3], s47, v42
	v_add_u32_e32 v42, 1, v52
	v_cmp_le_u32_e64 s[4:5], s47, v43
	;; [unrolled: 2-line block ×4, first 2 shown]
	v_add_u32_e32 v41, 1, v55
	v_add_u32_e32 v39, 1, v57
	;; [unrolled: 1-line block ×3, first 2 shown]
	v_cmp_le_u32_e64 s[18:19], s47, v49
	v_add_u32_e32 v49, 1, v60
	v_cndmask_b32_e64 v77, v61, v50, s[22:23]
	v_cndmask_b32_e64 v78, v62, v51, s[24:25]
	v_add_u32_e32 v3, s46, v3
	v_mad_u64_u32 v[50:51], s[0:1], s48, v72, v[16:17]
	v_add_u32_e32 v0, s46, v0
	v_cndmask_b32_e64 v67, v37, v45, s[2:3]
	v_cndmask_b32_e64 v68, v52, v42, s[4:5]
	;; [unrolled: 1-line block ×8, first 2 shown]
	v_add_u32_e32 v5, s46, v5
	v_add_u32_e32 v7, s46, v7
	;; [unrolled: 1-line block ×11, first 2 shown]
	v_mad_u64_u32 v[36:37], s[0:1], s48, v65, v[2:3]
	v_add_u32_e32 v51, 16, v0
	v_mad_u64_u32 v[38:39], s[0:1], s48, v66, v[4:5]
	v_mad_u64_u32 v[40:41], s[0:1], s48, v67, v[6:7]
	;; [unrolled: 1-line block ×9, first 2 shown]
	v_mul_lo_u32 v2, v64, s34
	v_mad_u64_u32 v[58:59], s[0:1], s48, v76, v[24:25]
	v_mad_u64_u32 v[60:61], s[0:1], s48, v77, v[28:29]
	;; [unrolled: 1-line block ×3, first 2 shown]
	v_mul_lo_u32 v6, v65, s34
	v_mul_lo_u32 v36, v36, s35
	v_cmp_lt_u32_e32 vcc, s33, v51
	v_add_u32_e32 v1, s46, v1
	v_add_u32_e32 v27, s46, v27
	v_mul_lo_u32 v4, v26, s34
	v_mul_lo_u32 v8, v66, s34
	;; [unrolled: 1-line block ×27, first 2 shown]
	v_add3_u32 v2, v79, v2, s39
	v_add3_u32 v6, v36, v6, s39
	v_add_u32_e32 v36, s35, v80
	s_or_b64 s[40:41], vcc, s[40:41]
	v_add3_u32 v8, v38, v8, s39
	v_add3_u32 v10, v39, v10, s39
	;; [unrolled: 1-line block ×14, first 2 shown]
	s_waitcnt vmcnt(0)
	v_lshrrev_b32_e32 v36, 8, v32
	v_lshrrev_b32_e32 v38, 24, v32
	;; [unrolled: 1-line block ×8, first 2 shown]
	global_store_byte v2, v32, s[30:31]
	global_store_byte v4, v36, s[30:31]
	global_store_byte_d16_hi v6, v32, s[30:31]
	global_store_byte v8, v38, s[30:31]
	global_store_byte v10, v33, s[30:31]
	global_store_byte v12, v39, s[30:31]
	global_store_byte_d16_hi v14, v33, s[30:31]
	global_store_byte v16, v40, s[30:31]
	;; [unrolled: 4-line block ×4, first 2 shown]
	s_andn2_b64 exec, exec, s[40:41]
	s_cbranch_execnz .LBB106_3
; %bb.4:
	s_or_b64 exec, exec, s[40:41]
.LBB106_5:
	s_or_b64 exec, exec, s[42:43]
	v_cmp_gt_u32_e32 vcc, s33, v0
	s_and_b64 exec, exec, vcc
	s_cbranch_execz .LBB106_8
; %bb.6:
	s_cmp_eq_u32 s38, 1
	s_cselect_b32 s2, s45, s44
	v_cvt_f32_u32_e32 v1, s2
	s_sub_i32 s3, 0, s2
	v_mov_b32_e32 v3, 0
	v_rcp_iflag_f32_e32 v1, v1
	s_nop 0
	v_mul_f32_e32 v1, 0x4f7ffffe, v1
	v_cvt_u32_f32_e32 v2, v1
	v_mov_b32_e32 v1, v3
	v_mul_lo_u32 v4, s3, v2
	v_mul_hi_u32 v4, v2, v4
	v_add_u32_e32 v2, v2, v4
	v_mad_u64_u32 v[4:5], s[0:1], v0, v2, 0
	s_mov_b64 s[0:1], 0
.LBB106_7:                              ; =>This Inner Loop Header: Depth=1
	v_lshl_add_u64 v[6:7], s[36:37], 0, v[0:1]
	global_load_ubyte v8, v[6:7], off
	v_mul_lo_u32 v6, s2, v5
	v_not_b32_e32 v7, v5
	v_sub_u32_e32 v10, v0, v6
	v_add_u32_e32 v9, 1, v5
	v_mad_u64_u32 v[6:7], s[4:5], s2, v7, v[0:1]
	v_cmp_le_u32_e32 vcc, s2, v10
	s_nop 1
	v_cndmask_b32_e32 v7, v5, v9, vcc
	v_cndmask_b32_e32 v6, v10, v6, vcc
	v_add_u32_e32 v9, 1, v7
	v_cmp_le_u32_e32 vcc, s2, v6
	v_lshl_add_u64 v[4:5], v[4:5], 0, v[2:3]
	s_nop 0
	v_cndmask_b32_e32 v9, v7, v9, vcc
	v_mad_u64_u32 v[6:7], s[4:5], s3, v9, v[0:1]
	v_lshl_add_u64 v[0:1], v[0:1], 0, 1
	v_mul_lo_u32 v7, v9, s34
	v_mul_lo_u32 v6, v6, s35
	v_cmp_le_u32_e32 vcc, s33, v0
	v_add3_u32 v6, v6, v7, s39
	s_or_b64 s[0:1], vcc, s[0:1]
	s_waitcnt vmcnt(0)
	global_store_byte v6, v8, s[30:31]
	s_andn2_b64 exec, exec, s[0:1]
	s_cbranch_execnz .LBB106_7
.LBB106_8:
	s_endpgm
	.section	.rodata,"a",@progbits
	.p2align	6, 0x0
	.amdhsa_kernel _ZN2at6native12_GLOBAL__N_135CatArrayBatchedCopy_alignedK_contigINS1_10OpaqueTypeILj1EEEjLi2ELi64ELi64ELi16EEEvPT_NS1_25CatArrInputTensorMetadataIS5_T0_XT2_EXT3_EEENS1_16TensorSizeStrideIS8_Lj4EEEiS8_
		.amdhsa_group_segment_fixed_size 0
		.amdhsa_private_segment_fixed_size 0
		.amdhsa_kernarg_size 3696
		.amdhsa_user_sgpr_count 2
		.amdhsa_user_sgpr_dispatch_ptr 0
		.amdhsa_user_sgpr_queue_ptr 0
		.amdhsa_user_sgpr_kernarg_segment_ptr 1
		.amdhsa_user_sgpr_dispatch_id 0
		.amdhsa_user_sgpr_kernarg_preload_length 0
		.amdhsa_user_sgpr_kernarg_preload_offset 0
		.amdhsa_user_sgpr_private_segment_size 0
		.amdhsa_uses_dynamic_stack 0
		.amdhsa_enable_private_segment 0
		.amdhsa_system_sgpr_workgroup_id_x 1
		.amdhsa_system_sgpr_workgroup_id_y 1
		.amdhsa_system_sgpr_workgroup_id_z 0
		.amdhsa_system_sgpr_workgroup_info 0
		.amdhsa_system_vgpr_workitem_id 0
		.amdhsa_next_free_vgpr 81
		.amdhsa_next_free_sgpr 49
		.amdhsa_accum_offset 84
		.amdhsa_reserve_vcc 1
		.amdhsa_float_round_mode_32 0
		.amdhsa_float_round_mode_16_64 0
		.amdhsa_float_denorm_mode_32 3
		.amdhsa_float_denorm_mode_16_64 3
		.amdhsa_dx10_clamp 1
		.amdhsa_ieee_mode 1
		.amdhsa_fp16_overflow 0
		.amdhsa_tg_split 0
		.amdhsa_exception_fp_ieee_invalid_op 0
		.amdhsa_exception_fp_denorm_src 0
		.amdhsa_exception_fp_ieee_div_zero 0
		.amdhsa_exception_fp_ieee_overflow 0
		.amdhsa_exception_fp_ieee_underflow 0
		.amdhsa_exception_fp_ieee_inexact 0
		.amdhsa_exception_int_div_zero 0
	.end_amdhsa_kernel
	.section	.text._ZN2at6native12_GLOBAL__N_135CatArrayBatchedCopy_alignedK_contigINS1_10OpaqueTypeILj1EEEjLi2ELi64ELi64ELi16EEEvPT_NS1_25CatArrInputTensorMetadataIS5_T0_XT2_EXT3_EEENS1_16TensorSizeStrideIS8_Lj4EEEiS8_,"axG",@progbits,_ZN2at6native12_GLOBAL__N_135CatArrayBatchedCopy_alignedK_contigINS1_10OpaqueTypeILj1EEEjLi2ELi64ELi64ELi16EEEvPT_NS1_25CatArrInputTensorMetadataIS5_T0_XT2_EXT3_EEENS1_16TensorSizeStrideIS8_Lj4EEEiS8_,comdat
.Lfunc_end106:
	.size	_ZN2at6native12_GLOBAL__N_135CatArrayBatchedCopy_alignedK_contigINS1_10OpaqueTypeILj1EEEjLi2ELi64ELi64ELi16EEEvPT_NS1_25CatArrInputTensorMetadataIS5_T0_XT2_EXT3_EEENS1_16TensorSizeStrideIS8_Lj4EEEiS8_, .Lfunc_end106-_ZN2at6native12_GLOBAL__N_135CatArrayBatchedCopy_alignedK_contigINS1_10OpaqueTypeILj1EEEjLi2ELi64ELi64ELi16EEEvPT_NS1_25CatArrInputTensorMetadataIS5_T0_XT2_EXT3_EEENS1_16TensorSizeStrideIS8_Lj4EEEiS8_
                                        ; -- End function
	.set _ZN2at6native12_GLOBAL__N_135CatArrayBatchedCopy_alignedK_contigINS1_10OpaqueTypeILj1EEEjLi2ELi64ELi64ELi16EEEvPT_NS1_25CatArrInputTensorMetadataIS5_T0_XT2_EXT3_EEENS1_16TensorSizeStrideIS8_Lj4EEEiS8_.num_vgpr, 81
	.set _ZN2at6native12_GLOBAL__N_135CatArrayBatchedCopy_alignedK_contigINS1_10OpaqueTypeILj1EEEjLi2ELi64ELi64ELi16EEEvPT_NS1_25CatArrInputTensorMetadataIS5_T0_XT2_EXT3_EEENS1_16TensorSizeStrideIS8_Lj4EEEiS8_.num_agpr, 0
	.set _ZN2at6native12_GLOBAL__N_135CatArrayBatchedCopy_alignedK_contigINS1_10OpaqueTypeILj1EEEjLi2ELi64ELi64ELi16EEEvPT_NS1_25CatArrInputTensorMetadataIS5_T0_XT2_EXT3_EEENS1_16TensorSizeStrideIS8_Lj4EEEiS8_.numbered_sgpr, 49
	.set _ZN2at6native12_GLOBAL__N_135CatArrayBatchedCopy_alignedK_contigINS1_10OpaqueTypeILj1EEEjLi2ELi64ELi64ELi16EEEvPT_NS1_25CatArrInputTensorMetadataIS5_T0_XT2_EXT3_EEENS1_16TensorSizeStrideIS8_Lj4EEEiS8_.num_named_barrier, 0
	.set _ZN2at6native12_GLOBAL__N_135CatArrayBatchedCopy_alignedK_contigINS1_10OpaqueTypeILj1EEEjLi2ELi64ELi64ELi16EEEvPT_NS1_25CatArrInputTensorMetadataIS5_T0_XT2_EXT3_EEENS1_16TensorSizeStrideIS8_Lj4EEEiS8_.private_seg_size, 0
	.set _ZN2at6native12_GLOBAL__N_135CatArrayBatchedCopy_alignedK_contigINS1_10OpaqueTypeILj1EEEjLi2ELi64ELi64ELi16EEEvPT_NS1_25CatArrInputTensorMetadataIS5_T0_XT2_EXT3_EEENS1_16TensorSizeStrideIS8_Lj4EEEiS8_.uses_vcc, 1
	.set _ZN2at6native12_GLOBAL__N_135CatArrayBatchedCopy_alignedK_contigINS1_10OpaqueTypeILj1EEEjLi2ELi64ELi64ELi16EEEvPT_NS1_25CatArrInputTensorMetadataIS5_T0_XT2_EXT3_EEENS1_16TensorSizeStrideIS8_Lj4EEEiS8_.uses_flat_scratch, 0
	.set _ZN2at6native12_GLOBAL__N_135CatArrayBatchedCopy_alignedK_contigINS1_10OpaqueTypeILj1EEEjLi2ELi64ELi64ELi16EEEvPT_NS1_25CatArrInputTensorMetadataIS5_T0_XT2_EXT3_EEENS1_16TensorSizeStrideIS8_Lj4EEEiS8_.has_dyn_sized_stack, 0
	.set _ZN2at6native12_GLOBAL__N_135CatArrayBatchedCopy_alignedK_contigINS1_10OpaqueTypeILj1EEEjLi2ELi64ELi64ELi16EEEvPT_NS1_25CatArrInputTensorMetadataIS5_T0_XT2_EXT3_EEENS1_16TensorSizeStrideIS8_Lj4EEEiS8_.has_recursion, 0
	.set _ZN2at6native12_GLOBAL__N_135CatArrayBatchedCopy_alignedK_contigINS1_10OpaqueTypeILj1EEEjLi2ELi64ELi64ELi16EEEvPT_NS1_25CatArrInputTensorMetadataIS5_T0_XT2_EXT3_EEENS1_16TensorSizeStrideIS8_Lj4EEEiS8_.has_indirect_call, 0
	.section	.AMDGPU.csdata,"",@progbits
; Kernel info:
; codeLenInByte = 2736
; TotalNumSgprs: 55
; NumVgprs: 81
; NumAgprs: 0
; TotalNumVgprs: 81
; ScratchSize: 0
; MemoryBound: 0
; FloatMode: 240
; IeeeMode: 1
; LDSByteSize: 0 bytes/workgroup (compile time only)
; SGPRBlocks: 6
; VGPRBlocks: 10
; NumSGPRsForWavesPerEU: 55
; NumVGPRsForWavesPerEU: 81
; AccumOffset: 84
; Occupancy: 5
; WaveLimiterHint : 1
; COMPUTE_PGM_RSRC2:SCRATCH_EN: 0
; COMPUTE_PGM_RSRC2:USER_SGPR: 2
; COMPUTE_PGM_RSRC2:TRAP_HANDLER: 0
; COMPUTE_PGM_RSRC2:TGID_X_EN: 1
; COMPUTE_PGM_RSRC2:TGID_Y_EN: 1
; COMPUTE_PGM_RSRC2:TGID_Z_EN: 0
; COMPUTE_PGM_RSRC2:TIDIG_COMP_CNT: 0
; COMPUTE_PGM_RSRC3_GFX90A:ACCUM_OFFSET: 20
; COMPUTE_PGM_RSRC3_GFX90A:TG_SPLIT: 0
	.section	.text._ZN2at6native12_GLOBAL__N_135CatArrayBatchedCopy_alignedK_contigINS1_10OpaqueTypeILj1EEEjLi2ELi64ELi64ELi8EEEvPT_NS1_25CatArrInputTensorMetadataIS5_T0_XT2_EXT3_EEENS1_16TensorSizeStrideIS8_Lj4EEEiS8_,"axG",@progbits,_ZN2at6native12_GLOBAL__N_135CatArrayBatchedCopy_alignedK_contigINS1_10OpaqueTypeILj1EEEjLi2ELi64ELi64ELi8EEEvPT_NS1_25CatArrInputTensorMetadataIS5_T0_XT2_EXT3_EEENS1_16TensorSizeStrideIS8_Lj4EEEiS8_,comdat
	.globl	_ZN2at6native12_GLOBAL__N_135CatArrayBatchedCopy_alignedK_contigINS1_10OpaqueTypeILj1EEEjLi2ELi64ELi64ELi8EEEvPT_NS1_25CatArrInputTensorMetadataIS5_T0_XT2_EXT3_EEENS1_16TensorSizeStrideIS8_Lj4EEEiS8_ ; -- Begin function _ZN2at6native12_GLOBAL__N_135CatArrayBatchedCopy_alignedK_contigINS1_10OpaqueTypeILj1EEEjLi2ELi64ELi64ELi8EEEvPT_NS1_25CatArrInputTensorMetadataIS5_T0_XT2_EXT3_EEENS1_16TensorSizeStrideIS8_Lj4EEEiS8_
	.p2align	8
	.type	_ZN2at6native12_GLOBAL__N_135CatArrayBatchedCopy_alignedK_contigINS1_10OpaqueTypeILj1EEEjLi2ELi64ELi64ELi8EEEvPT_NS1_25CatArrInputTensorMetadataIS5_T0_XT2_EXT3_EEENS1_16TensorSizeStrideIS8_Lj4EEEiS8_,@function
_ZN2at6native12_GLOBAL__N_135CatArrayBatchedCopy_alignedK_contigINS1_10OpaqueTypeILj1EEEjLi2ELi64ELi64ELi8EEEvPT_NS1_25CatArrInputTensorMetadataIS5_T0_XT2_EXT3_EEENS1_16TensorSizeStrideIS8_Lj4EEEiS8_: ; @_ZN2at6native12_GLOBAL__N_135CatArrayBatchedCopy_alignedK_contigINS1_10OpaqueTypeILj1EEEjLi2ELi64ELi64ELi8EEEvPT_NS1_25CatArrInputTensorMetadataIS5_T0_XT2_EXT3_EEENS1_16TensorSizeStrideIS8_Lj4EEEiS8_
; %bb.0:
	s_mov_b32 s6, s3
	s_load_dword s3, s[0:1], 0xd7c
	s_add_u32 s4, s0, 0xd70
	s_mov_b32 s7, 0
	s_addc_u32 s5, s1, 0
	s_lshl_b64 s[6:7], s[6:7], 2
	s_waitcnt lgkmcnt(0)
	s_and_b32 s3, s3, 0xffff
	s_add_u32 s8, s0, s6
	s_addc_u32 s9, s1, s7
	s_load_dword s24, s[8:9], 0x408
	s_mul_i32 s2, s2, s3
	v_add_lshl_u32 v0, s2, v0, 3
	s_add_u32 s2, s8, 8
	s_addc_u32 s8, s9, 0
	s_waitcnt lgkmcnt(0)
	v_cmp_gt_u32_e32 vcc, s24, v0
	s_and_saveexec_b64 s[10:11], vcc
	s_cbranch_execz .LBB107_8
; %bb.1:
	s_add_u32 s10, s2, s6
	s_addc_u32 s11, s8, s7
	s_sub_u32 s2, 0, s6
	s_subb_u32 s7, 0, s7
	s_add_u32 s6, s10, s2
	s_addc_u32 s7, s11, s7
	s_load_dword s2, s[6:7], 0x200
	s_load_dwordx2 s[12:13], s[0:1], 0x0
	s_load_dwordx2 s[18:19], s[0:1], 0xd68
	s_load_dword s25, s[0:1], 0xd4c
	s_load_dwordx2 s[14:15], s[0:1], 0xd58
	s_load_dwordx2 s[16:17], s[10:11], 0x0
	s_load_dword s26, s[6:7], 0x300
	v_add_u32_e32 v1, 8, v0
	s_mov_b64 s[20:21], 0
	s_waitcnt lgkmcnt(0)
	s_mul_i32 s19, s2, s19
	v_cmp_ge_u32_e32 vcc, s24, v1
	s_and_saveexec_b64 s[22:23], vcc
	s_cbranch_execz .LBB107_5
; %bb.2:
	s_load_dword s0, s[4:5], 0x0
	v_add_u32_e32 v1, 7, v0
	v_add_u32_e32 v3, 6, v0
	;; [unrolled: 1-line block ×4, first 2 shown]
	s_waitcnt lgkmcnt(0)
	s_mul_i32 s0, s0, s3
	s_lshl_b32 s27, s0, 3
	s_cmp_eq_u32 s18, 1
	s_cselect_b32 s28, s26, s25
	v_cvt_f32_u32_e32 v2, s28
	s_sub_i32 s29, 0, s28
	v_add_u32_e32 v9, 3, v0
	v_add_u32_e32 v13, 2, v0
	v_rcp_iflag_f32_e32 v2, v2
	v_add_u32_e32 v17, 1, v0
	v_mul_f32_e32 v2, 0x4f7ffffe, v2
	v_cvt_u32_f32_e32 v2, v2
	v_mul_lo_u32 v4, s29, v2
	v_mul_hi_u32 v4, v2, v4
	v_add_u32_e32 v15, v2, v4
.LBB107_3:                              ; =>This Inner Loop Header: Depth=1
	global_load_dwordx2 v[10:11], v0, s[16:17]
	v_mul_hi_u32 v34, v15, v0
	v_mul_hi_u32 v32, v15, v1
	v_add_u32_e32 v1, s27, v1
	v_mul_hi_u32 v20, v15, v17
	v_add_u32_e32 v16, 7, v0
	v_add_u32_e32 v17, s27, v17
	v_mad_u64_u32 v[18:19], s[0:1], s29, v34, v[0:1]
	v_mul_hi_u32 v24, v15, v9
	v_mul_hi_u32 v22, v15, v13
	v_add_u32_e32 v12, 1, v0
	v_add_u32_e32 v13, s27, v13
	v_not_b32_e32 v35, v34
	v_not_b32_e32 v38, v32
	v_add_u32_e32 v19, 1, v34
	v_mad_u64_u32 v[32:33], s[0:1], s29, v32, v[16:17]
	v_cmp_le_u32_e32 vcc, s28, v18
	v_mul_hi_u32 v28, v15, v5
	v_mul_hi_u32 v26, v15, v7
	v_add_u32_e32 v4, 3, v0
	v_add_u32_e32 v5, s27, v5
	v_not_b32_e32 v42, v24
	v_not_b32_e32 v36, v20
	v_mul_hi_u32 v44, v12, v15
	v_mad_u64_u32 v[20:21], s[0:1], s29, v20, v[12:13]
	v_cndmask_b32_e32 v33, v34, v19, vcc
	v_mad_u64_u32 v[34:35], s[0:1], s28, v35, v[0:1]
	v_mul_hi_u32 v30, v15, v3
	v_add_u32_e32 v2, 2, v0
	v_add_u32_e32 v6, 4, v0
	;; [unrolled: 1-line block ×6, first 2 shown]
	v_not_b32_e32 v40, v28
	v_not_b32_e32 v41, v26
	v_add_u32_e32 v21, 1, v44
	v_mad_u64_u32 v[36:37], s[0:1], s28, v36, v[12:13]
	v_cndmask_b32_e32 v47, v18, v34, vcc
	v_mad_u64_u32 v[34:35], s[0:1], s28, v42, v[4:5]
	v_cmp_le_u32_e32 vcc, s28, v20
	v_add_u32_e32 v14, 6, v0
	v_not_b32_e32 v43, v22
	v_mul_hi_u32 v45, v2, v15
	v_mad_u64_u32 v[22:23], s[0:1], s29, v22, v[2:3]
	v_mad_u64_u32 v[26:27], s[0:1], s29, v26, v[6:7]
	v_cndmask_b32_e32 v35, v44, v21, vcc
	v_cndmask_b32_e32 v44, v20, v36, vcc
	v_mad_u64_u32 v[20:21], s[2:3], s28, v41, v[6:7]
	v_mad_u64_u32 v[36:37], s[2:3], s28, v40, v[8:9]
	v_not_b32_e32 v39, v30
	v_mad_u64_u32 v[24:25], s[0:1], s29, v24, v[4:5]
	v_mul_hi_u32 v27, v8, v15
	v_mad_u64_u32 v[28:29], s[0:1], s29, v28, v[8:9]
	v_mad_u64_u32 v[30:31], s[0:1], s29, v30, v[14:15]
	v_add_u32_e32 v12, 1, v45
	v_mad_u64_u32 v[18:19], s[0:1], s28, v43, v[2:3]
	v_cmp_le_u32_e64 s[2:3], s28, v22
	v_mul_hi_u32 v46, v4, v15
	v_mul_hi_u32 v29, v14, v15
	;; [unrolled: 1-line block ×3, first 2 shown]
	v_cmp_le_u32_e64 s[0:1], s28, v26
	v_add_u32_e32 v21, 1, v27
	v_cmp_le_u32_e32 vcc, s28, v28
	v_cndmask_b32_e64 v12, v45, v12, s[2:3]
	v_cndmask_b32_e64 v40, v22, v18, s[2:3]
	v_mad_u64_u32 v[18:19], s[2:3], s28, v39, v[14:15]
	v_mad_u64_u32 v[22:23], s[6:7], s28, v38, v[16:17]
	v_mul_hi_u32 v25, v6, v15
	v_add_u32_e32 v43, 1, v46
	v_add_u32_e32 v37, 1, v29
	v_cmp_le_u32_e64 s[4:5], s28, v30
	v_add_u32_e32 v19, 1, v31
	v_cmp_le_u32_e64 s[2:3], s28, v32
	v_cmp_le_u32_e64 s[6:7], s28, v24
	v_add_u32_e32 v38, 1, v33
	v_cndmask_b32_e64 v20, v26, v20, s[0:1]
	v_cndmask_b32_e32 v21, v27, v21, vcc
	v_cndmask_b32_e32 v26, v28, v36, vcc
	v_cmp_le_u32_e32 vcc, s28, v47
	v_add_u32_e32 v42, 1, v25
	v_cndmask_b32_e64 v23, v46, v43, s[6:7]
	v_cndmask_b32_e64 v24, v24, v34, s[6:7]
	;; [unrolled: 1-line block ×6, first 2 shown]
	v_cndmask_b32_e32 v22, v33, v38, vcc
	v_add_u32_e32 v29, 1, v35
	v_cmp_le_u32_e32 vcc, s28, v44
	v_cndmask_b32_e64 v25, v25, v42, s[0:1]
	v_add_u32_e32 v30, 1, v12
	v_cmp_le_u32_e64 s[0:1], s28, v40
	v_add_u32_e32 v31, 1, v23
	v_cmp_le_u32_e64 s[2:3], s28, v24
	v_cmp_le_u32_e64 s[4:5], s28, v20
	v_add_u32_e32 v20, 1, v21
	v_cmp_le_u32_e64 s[6:7], s28, v26
	v_cmp_le_u32_e64 s[8:9], s28, v18
	;; [unrolled: 1-line block ×3, first 2 shown]
	v_mad_u64_u32 v[18:19], s[30:31], s29, v22, v[0:1]
	v_mul_lo_u32 v33, v22, s14
	v_cndmask_b32_e32 v22, v35, v29, vcc
	v_add_u32_e32 v24, 1, v25
	v_add_u32_e32 v26, 1, v27
	;; [unrolled: 1-line block ×3, first 2 shown]
	v_cndmask_b32_e64 v12, v12, v30, s[0:1]
	v_cndmask_b32_e64 v29, v23, v31, s[2:3]
	;; [unrolled: 1-line block ×3, first 2 shown]
	v_mul_lo_u32 v35, v18, s15
	v_mad_u64_u32 v[18:19], s[0:1], s29, v22, v[0:1]
	v_cndmask_b32_e64 v30, v25, v24, s[4:5]
	v_cndmask_b32_e64 v34, v27, v26, s[8:9]
	;; [unrolled: 1-line block ×3, first 2 shown]
	v_mul_lo_u32 v19, v22, s14
	v_mad_u64_u32 v[20:21], s[0:1], s29, v12, v[2:3]
	v_mad_u64_u32 v[22:23], s[0:1], s29, v29, v[4:5]
	;; [unrolled: 1-line block ×3, first 2 shown]
	v_add_u32_e32 v0, s27, v0
	v_mad_u64_u32 v[24:25], s[0:1], s29, v30, v[6:7]
	v_mul_lo_u32 v6, v30, s14
	v_mul_lo_u32 v8, v31, s14
	v_mad_u64_u32 v[30:31], s[0:1], s29, v32, v[16:17]
	v_mul_lo_u32 v16, s15, v18
	v_mul_lo_u32 v18, v20, s15
	;; [unrolled: 1-line block ×4, first 2 shown]
	v_add_u32_e32 v26, 8, v0
	v_mul_lo_u32 v4, v29, s14
	v_mad_u64_u32 v[28:29], s[0:1], s29, v34, v[14:15]
	v_cmp_lt_u32_e32 vcc, s24, v26
	v_mul_lo_u32 v2, v12, s14
	v_mul_lo_u32 v12, v34, s14
	;; [unrolled: 1-line block ×6, first 2 shown]
	v_add3_u32 v25, v35, v33, s19
	v_add_u32_e32 v16, s15, v16
	s_or_b64 s[20:21], vcc, s[20:21]
	v_add3_u32 v2, v18, v2, s19
	v_add3_u32 v4, v20, v4, s19
	;; [unrolled: 1-line block ×7, first 2 shown]
	s_waitcnt vmcnt(0)
	v_lshrrev_b32_e32 v18, 8, v10
	v_lshrrev_b32_e32 v19, 24, v10
	;; [unrolled: 1-line block ×4, first 2 shown]
	global_store_byte v25, v10, s[12:13]
	global_store_byte v16, v18, s[12:13]
	global_store_byte_d16_hi v2, v10, s[12:13]
	global_store_byte v4, v19, s[12:13]
	global_store_byte v6, v11, s[12:13]
	;; [unrolled: 1-line block ×3, first 2 shown]
	global_store_byte_d16_hi v12, v11, s[12:13]
	global_store_byte v14, v21, s[12:13]
	s_andn2_b64 exec, exec, s[20:21]
	s_cbranch_execnz .LBB107_3
; %bb.4:
	s_or_b64 exec, exec, s[20:21]
.LBB107_5:
	s_or_b64 exec, exec, s[22:23]
	v_cmp_gt_u32_e32 vcc, s24, v0
	s_and_b64 exec, exec, vcc
	s_cbranch_execz .LBB107_8
; %bb.6:
	s_cmp_eq_u32 s18, 1
	s_cselect_b32 s2, s26, s25
	v_cvt_f32_u32_e32 v1, s2
	s_sub_i32 s3, 0, s2
	v_mov_b32_e32 v3, 0
	v_rcp_iflag_f32_e32 v1, v1
	s_nop 0
	v_mul_f32_e32 v1, 0x4f7ffffe, v1
	v_cvt_u32_f32_e32 v2, v1
	v_mov_b32_e32 v1, v3
	v_mul_lo_u32 v4, s3, v2
	v_mul_hi_u32 v4, v2, v4
	v_add_u32_e32 v2, v2, v4
	v_mad_u64_u32 v[4:5], s[0:1], v0, v2, 0
	s_mov_b64 s[0:1], 0
.LBB107_7:                              ; =>This Inner Loop Header: Depth=1
	v_lshl_add_u64 v[6:7], s[16:17], 0, v[0:1]
	global_load_ubyte v8, v[6:7], off
	v_mul_lo_u32 v6, s2, v5
	v_not_b32_e32 v7, v5
	v_sub_u32_e32 v10, v0, v6
	v_add_u32_e32 v9, 1, v5
	v_mad_u64_u32 v[6:7], s[4:5], s2, v7, v[0:1]
	v_cmp_le_u32_e32 vcc, s2, v10
	s_nop 1
	v_cndmask_b32_e32 v7, v5, v9, vcc
	v_cndmask_b32_e32 v6, v10, v6, vcc
	v_add_u32_e32 v9, 1, v7
	v_cmp_le_u32_e32 vcc, s2, v6
	v_lshl_add_u64 v[4:5], v[4:5], 0, v[2:3]
	s_nop 0
	v_cndmask_b32_e32 v9, v7, v9, vcc
	v_mad_u64_u32 v[6:7], s[4:5], s3, v9, v[0:1]
	v_lshl_add_u64 v[0:1], v[0:1], 0, 1
	v_mul_lo_u32 v7, v9, s14
	v_mul_lo_u32 v6, v6, s15
	v_cmp_le_u32_e32 vcc, s24, v0
	v_add3_u32 v6, v6, v7, s19
	s_or_b64 s[0:1], vcc, s[0:1]
	s_waitcnt vmcnt(0)
	global_store_byte v6, v8, s[12:13]
	s_andn2_b64 exec, exec, s[0:1]
	s_cbranch_execnz .LBB107_7
.LBB107_8:
	s_endpgm
	.section	.rodata,"a",@progbits
	.p2align	6, 0x0
	.amdhsa_kernel _ZN2at6native12_GLOBAL__N_135CatArrayBatchedCopy_alignedK_contigINS1_10OpaqueTypeILj1EEEjLi2ELi64ELi64ELi8EEEvPT_NS1_25CatArrInputTensorMetadataIS5_T0_XT2_EXT3_EEENS1_16TensorSizeStrideIS8_Lj4EEEiS8_
		.amdhsa_group_segment_fixed_size 0
		.amdhsa_private_segment_fixed_size 0
		.amdhsa_kernarg_size 3696
		.amdhsa_user_sgpr_count 2
		.amdhsa_user_sgpr_dispatch_ptr 0
		.amdhsa_user_sgpr_queue_ptr 0
		.amdhsa_user_sgpr_kernarg_segment_ptr 1
		.amdhsa_user_sgpr_dispatch_id 0
		.amdhsa_user_sgpr_kernarg_preload_length 0
		.amdhsa_user_sgpr_kernarg_preload_offset 0
		.amdhsa_user_sgpr_private_segment_size 0
		.amdhsa_uses_dynamic_stack 0
		.amdhsa_enable_private_segment 0
		.amdhsa_system_sgpr_workgroup_id_x 1
		.amdhsa_system_sgpr_workgroup_id_y 1
		.amdhsa_system_sgpr_workgroup_id_z 0
		.amdhsa_system_sgpr_workgroup_info 0
		.amdhsa_system_vgpr_workitem_id 0
		.amdhsa_next_free_vgpr 48
		.amdhsa_next_free_sgpr 32
		.amdhsa_accum_offset 48
		.amdhsa_reserve_vcc 1
		.amdhsa_float_round_mode_32 0
		.amdhsa_float_round_mode_16_64 0
		.amdhsa_float_denorm_mode_32 3
		.amdhsa_float_denorm_mode_16_64 3
		.amdhsa_dx10_clamp 1
		.amdhsa_ieee_mode 1
		.amdhsa_fp16_overflow 0
		.amdhsa_tg_split 0
		.amdhsa_exception_fp_ieee_invalid_op 0
		.amdhsa_exception_fp_denorm_src 0
		.amdhsa_exception_fp_ieee_div_zero 0
		.amdhsa_exception_fp_ieee_overflow 0
		.amdhsa_exception_fp_ieee_underflow 0
		.amdhsa_exception_fp_ieee_inexact 0
		.amdhsa_exception_int_div_zero 0
	.end_amdhsa_kernel
	.section	.text._ZN2at6native12_GLOBAL__N_135CatArrayBatchedCopy_alignedK_contigINS1_10OpaqueTypeILj1EEEjLi2ELi64ELi64ELi8EEEvPT_NS1_25CatArrInputTensorMetadataIS5_T0_XT2_EXT3_EEENS1_16TensorSizeStrideIS8_Lj4EEEiS8_,"axG",@progbits,_ZN2at6native12_GLOBAL__N_135CatArrayBatchedCopy_alignedK_contigINS1_10OpaqueTypeILj1EEEjLi2ELi64ELi64ELi8EEEvPT_NS1_25CatArrInputTensorMetadataIS5_T0_XT2_EXT3_EEENS1_16TensorSizeStrideIS8_Lj4EEEiS8_,comdat
.Lfunc_end107:
	.size	_ZN2at6native12_GLOBAL__N_135CatArrayBatchedCopy_alignedK_contigINS1_10OpaqueTypeILj1EEEjLi2ELi64ELi64ELi8EEEvPT_NS1_25CatArrInputTensorMetadataIS5_T0_XT2_EXT3_EEENS1_16TensorSizeStrideIS8_Lj4EEEiS8_, .Lfunc_end107-_ZN2at6native12_GLOBAL__N_135CatArrayBatchedCopy_alignedK_contigINS1_10OpaqueTypeILj1EEEjLi2ELi64ELi64ELi8EEEvPT_NS1_25CatArrInputTensorMetadataIS5_T0_XT2_EXT3_EEENS1_16TensorSizeStrideIS8_Lj4EEEiS8_
                                        ; -- End function
	.set _ZN2at6native12_GLOBAL__N_135CatArrayBatchedCopy_alignedK_contigINS1_10OpaqueTypeILj1EEEjLi2ELi64ELi64ELi8EEEvPT_NS1_25CatArrInputTensorMetadataIS5_T0_XT2_EXT3_EEENS1_16TensorSizeStrideIS8_Lj4EEEiS8_.num_vgpr, 48
	.set _ZN2at6native12_GLOBAL__N_135CatArrayBatchedCopy_alignedK_contigINS1_10OpaqueTypeILj1EEEjLi2ELi64ELi64ELi8EEEvPT_NS1_25CatArrInputTensorMetadataIS5_T0_XT2_EXT3_EEENS1_16TensorSizeStrideIS8_Lj4EEEiS8_.num_agpr, 0
	.set _ZN2at6native12_GLOBAL__N_135CatArrayBatchedCopy_alignedK_contigINS1_10OpaqueTypeILj1EEEjLi2ELi64ELi64ELi8EEEvPT_NS1_25CatArrInputTensorMetadataIS5_T0_XT2_EXT3_EEENS1_16TensorSizeStrideIS8_Lj4EEEiS8_.numbered_sgpr, 32
	.set _ZN2at6native12_GLOBAL__N_135CatArrayBatchedCopy_alignedK_contigINS1_10OpaqueTypeILj1EEEjLi2ELi64ELi64ELi8EEEvPT_NS1_25CatArrInputTensorMetadataIS5_T0_XT2_EXT3_EEENS1_16TensorSizeStrideIS8_Lj4EEEiS8_.num_named_barrier, 0
	.set _ZN2at6native12_GLOBAL__N_135CatArrayBatchedCopy_alignedK_contigINS1_10OpaqueTypeILj1EEEjLi2ELi64ELi64ELi8EEEvPT_NS1_25CatArrInputTensorMetadataIS5_T0_XT2_EXT3_EEENS1_16TensorSizeStrideIS8_Lj4EEEiS8_.private_seg_size, 0
	.set _ZN2at6native12_GLOBAL__N_135CatArrayBatchedCopy_alignedK_contigINS1_10OpaqueTypeILj1EEEjLi2ELi64ELi64ELi8EEEvPT_NS1_25CatArrInputTensorMetadataIS5_T0_XT2_EXT3_EEENS1_16TensorSizeStrideIS8_Lj4EEEiS8_.uses_vcc, 1
	.set _ZN2at6native12_GLOBAL__N_135CatArrayBatchedCopy_alignedK_contigINS1_10OpaqueTypeILj1EEEjLi2ELi64ELi64ELi8EEEvPT_NS1_25CatArrInputTensorMetadataIS5_T0_XT2_EXT3_EEENS1_16TensorSizeStrideIS8_Lj4EEEiS8_.uses_flat_scratch, 0
	.set _ZN2at6native12_GLOBAL__N_135CatArrayBatchedCopy_alignedK_contigINS1_10OpaqueTypeILj1EEEjLi2ELi64ELi64ELi8EEEvPT_NS1_25CatArrInputTensorMetadataIS5_T0_XT2_EXT3_EEENS1_16TensorSizeStrideIS8_Lj4EEEiS8_.has_dyn_sized_stack, 0
	.set _ZN2at6native12_GLOBAL__N_135CatArrayBatchedCopy_alignedK_contigINS1_10OpaqueTypeILj1EEEjLi2ELi64ELi64ELi8EEEvPT_NS1_25CatArrInputTensorMetadataIS5_T0_XT2_EXT3_EEENS1_16TensorSizeStrideIS8_Lj4EEEiS8_.has_recursion, 0
	.set _ZN2at6native12_GLOBAL__N_135CatArrayBatchedCopy_alignedK_contigINS1_10OpaqueTypeILj1EEEjLi2ELi64ELi64ELi8EEEvPT_NS1_25CatArrInputTensorMetadataIS5_T0_XT2_EXT3_EEENS1_16TensorSizeStrideIS8_Lj4EEEiS8_.has_indirect_call, 0
	.section	.AMDGPU.csdata,"",@progbits
; Kernel info:
; codeLenInByte = 1600
; TotalNumSgprs: 38
; NumVgprs: 48
; NumAgprs: 0
; TotalNumVgprs: 48
; ScratchSize: 0
; MemoryBound: 0
; FloatMode: 240
; IeeeMode: 1
; LDSByteSize: 0 bytes/workgroup (compile time only)
; SGPRBlocks: 4
; VGPRBlocks: 5
; NumSGPRsForWavesPerEU: 38
; NumVGPRsForWavesPerEU: 48
; AccumOffset: 48
; Occupancy: 8
; WaveLimiterHint : 1
; COMPUTE_PGM_RSRC2:SCRATCH_EN: 0
; COMPUTE_PGM_RSRC2:USER_SGPR: 2
; COMPUTE_PGM_RSRC2:TRAP_HANDLER: 0
; COMPUTE_PGM_RSRC2:TGID_X_EN: 1
; COMPUTE_PGM_RSRC2:TGID_Y_EN: 1
; COMPUTE_PGM_RSRC2:TGID_Z_EN: 0
; COMPUTE_PGM_RSRC2:TIDIG_COMP_CNT: 0
; COMPUTE_PGM_RSRC3_GFX90A:ACCUM_OFFSET: 11
; COMPUTE_PGM_RSRC3_GFX90A:TG_SPLIT: 0
	.section	.text._ZN2at6native12_GLOBAL__N_126CatArrayBatchedCopy_contigINS1_10OpaqueTypeILj1EEEjLi2ELi64ELi64EEEvPT_NS1_25CatArrInputTensorMetadataIS5_T0_XT2_EXT3_EEENS1_16TensorSizeStrideIS8_Lj4EEEiS8_,"axG",@progbits,_ZN2at6native12_GLOBAL__N_126CatArrayBatchedCopy_contigINS1_10OpaqueTypeILj1EEEjLi2ELi64ELi64EEEvPT_NS1_25CatArrInputTensorMetadataIS5_T0_XT2_EXT3_EEENS1_16TensorSizeStrideIS8_Lj4EEEiS8_,comdat
	.globl	_ZN2at6native12_GLOBAL__N_126CatArrayBatchedCopy_contigINS1_10OpaqueTypeILj1EEEjLi2ELi64ELi64EEEvPT_NS1_25CatArrInputTensorMetadataIS5_T0_XT2_EXT3_EEENS1_16TensorSizeStrideIS8_Lj4EEEiS8_ ; -- Begin function _ZN2at6native12_GLOBAL__N_126CatArrayBatchedCopy_contigINS1_10OpaqueTypeILj1EEEjLi2ELi64ELi64EEEvPT_NS1_25CatArrInputTensorMetadataIS5_T0_XT2_EXT3_EEENS1_16TensorSizeStrideIS8_Lj4EEEiS8_
	.p2align	8
	.type	_ZN2at6native12_GLOBAL__N_126CatArrayBatchedCopy_contigINS1_10OpaqueTypeILj1EEEjLi2ELi64ELi64EEEvPT_NS1_25CatArrInputTensorMetadataIS5_T0_XT2_EXT3_EEENS1_16TensorSizeStrideIS8_Lj4EEEiS8_,@function
_ZN2at6native12_GLOBAL__N_126CatArrayBatchedCopy_contigINS1_10OpaqueTypeILj1EEEjLi2ELi64ELi64EEEvPT_NS1_25CatArrInputTensorMetadataIS5_T0_XT2_EXT3_EEENS1_16TensorSizeStrideIS8_Lj4EEEiS8_: ; @_ZN2at6native12_GLOBAL__N_126CatArrayBatchedCopy_contigINS1_10OpaqueTypeILj1EEEjLi2ELi64ELi64EEEvPT_NS1_25CatArrInputTensorMetadataIS5_T0_XT2_EXT3_EEENS1_16TensorSizeStrideIS8_Lj4EEEiS8_
; %bb.0:
	s_mov_b32 s4, s3
	s_load_dword s3, s[0:1], 0xd7c
	s_add_u32 s6, s0, 0xd70
	s_mov_b32 s5, 0
	s_addc_u32 s7, s1, 0
	s_lshl_b64 s[4:5], s[4:5], 2
	s_waitcnt lgkmcnt(0)
	s_and_b32 s10, s3, 0xffff
	s_add_u32 s12, s0, s4
	s_addc_u32 s13, s1, s5
	s_load_dword s8, s[12:13], 0x408
	s_mul_i32 s2, s2, s10
	v_add_u32_e32 v0, s2, v0
	s_add_u32 s2, s12, 8
	s_addc_u32 s3, s13, 0
	s_waitcnt lgkmcnt(0)
	v_cmp_gt_u32_e32 vcc, s8, v0
	s_and_saveexec_b64 s[12:13], vcc
	s_cbranch_execz .LBB108_3
; %bb.1:
	s_add_u32 s12, s2, s4
	s_addc_u32 s13, s3, s5
	s_sub_u32 s2, 0, s4
	s_subb_u32 s3, 0, s5
	s_add_u32 s14, s12, s2
	s_addc_u32 s15, s13, s3
	s_load_dword s4, s[14:15], 0x300
	s_load_dwordx2 s[16:17], s[0:1], 0xd68
	s_load_dword s5, s[0:1], 0xd4c
	s_load_dwordx2 s[2:3], s[0:1], 0xd58
	s_waitcnt lgkmcnt(0)
	s_cmp_eq_u32 s16, 1
	s_cselect_b32 s9, s4, s5
	v_cvt_f32_u32_e32 v1, s9
	s_load_dwordx2 s[4:5], s[12:13], 0x0
	s_load_dword s11, s[14:15], 0x200
	s_load_dword s16, s[6:7], 0x0
	s_sub_i32 s12, 0, s9
	s_load_dwordx2 s[0:1], s[0:1], 0x0
	v_rcp_iflag_f32_e32 v1, v1
	s_mov_b64 s[6:7], 0
	s_waitcnt lgkmcnt(0)
	s_mul_i32 s11, s11, s17
	s_mul_i32 s10, s16, s10
	v_mul_f32_e32 v1, 0x4f7ffffe, v1
	v_cvt_u32_f32_e32 v1, v1
	v_mul_lo_u32 v2, s12, v1
	v_mul_hi_u32 v2, v1, v2
	v_add_u32_e32 v1, v1, v2
.LBB108_2:                              ; =>This Inner Loop Header: Depth=1
	global_load_ubyte v4, v0, s[4:5]
	v_mul_hi_u32 v5, v1, v0
	v_mul_lo_u32 v2, s9, v5
	v_not_b32_e32 v3, v5
	v_sub_u32_e32 v7, v0, v2
	v_add_u32_e32 v6, 1, v5
	v_mad_u64_u32 v[2:3], s[14:15], s9, v3, v[0:1]
	v_cmp_le_u32_e32 vcc, s9, v7
	s_nop 1
	v_cndmask_b32_e32 v3, v5, v6, vcc
	v_cndmask_b32_e32 v2, v7, v2, vcc
	v_add_u32_e32 v5, 1, v3
	v_cmp_le_u32_e32 vcc, s9, v2
	s_nop 1
	v_cndmask_b32_e32 v5, v3, v5, vcc
	v_mad_u64_u32 v[2:3], s[14:15], s12, v5, v[0:1]
	v_add_u32_e32 v0, s10, v0
	v_mul_lo_u32 v3, v5, s2
	v_mul_lo_u32 v2, v2, s3
	v_cmp_le_u32_e32 vcc, s8, v0
	v_add3_u32 v2, v3, s11, v2
	s_or_b64 s[6:7], vcc, s[6:7]
	s_waitcnt vmcnt(0)
	global_store_byte v2, v4, s[0:1]
	s_andn2_b64 exec, exec, s[6:7]
	s_cbranch_execnz .LBB108_2
.LBB108_3:
	s_endpgm
	.section	.rodata,"a",@progbits
	.p2align	6, 0x0
	.amdhsa_kernel _ZN2at6native12_GLOBAL__N_126CatArrayBatchedCopy_contigINS1_10OpaqueTypeILj1EEEjLi2ELi64ELi64EEEvPT_NS1_25CatArrInputTensorMetadataIS5_T0_XT2_EXT3_EEENS1_16TensorSizeStrideIS8_Lj4EEEiS8_
		.amdhsa_group_segment_fixed_size 0
		.amdhsa_private_segment_fixed_size 0
		.amdhsa_kernarg_size 3696
		.amdhsa_user_sgpr_count 2
		.amdhsa_user_sgpr_dispatch_ptr 0
		.amdhsa_user_sgpr_queue_ptr 0
		.amdhsa_user_sgpr_kernarg_segment_ptr 1
		.amdhsa_user_sgpr_dispatch_id 0
		.amdhsa_user_sgpr_kernarg_preload_length 0
		.amdhsa_user_sgpr_kernarg_preload_offset 0
		.amdhsa_user_sgpr_private_segment_size 0
		.amdhsa_uses_dynamic_stack 0
		.amdhsa_enable_private_segment 0
		.amdhsa_system_sgpr_workgroup_id_x 1
		.amdhsa_system_sgpr_workgroup_id_y 1
		.amdhsa_system_sgpr_workgroup_id_z 0
		.amdhsa_system_sgpr_workgroup_info 0
		.amdhsa_system_vgpr_workitem_id 0
		.amdhsa_next_free_vgpr 8
		.amdhsa_next_free_sgpr 18
		.amdhsa_accum_offset 8
		.amdhsa_reserve_vcc 1
		.amdhsa_float_round_mode_32 0
		.amdhsa_float_round_mode_16_64 0
		.amdhsa_float_denorm_mode_32 3
		.amdhsa_float_denorm_mode_16_64 3
		.amdhsa_dx10_clamp 1
		.amdhsa_ieee_mode 1
		.amdhsa_fp16_overflow 0
		.amdhsa_tg_split 0
		.amdhsa_exception_fp_ieee_invalid_op 0
		.amdhsa_exception_fp_denorm_src 0
		.amdhsa_exception_fp_ieee_div_zero 0
		.amdhsa_exception_fp_ieee_overflow 0
		.amdhsa_exception_fp_ieee_underflow 0
		.amdhsa_exception_fp_ieee_inexact 0
		.amdhsa_exception_int_div_zero 0
	.end_amdhsa_kernel
	.section	.text._ZN2at6native12_GLOBAL__N_126CatArrayBatchedCopy_contigINS1_10OpaqueTypeILj1EEEjLi2ELi64ELi64EEEvPT_NS1_25CatArrInputTensorMetadataIS5_T0_XT2_EXT3_EEENS1_16TensorSizeStrideIS8_Lj4EEEiS8_,"axG",@progbits,_ZN2at6native12_GLOBAL__N_126CatArrayBatchedCopy_contigINS1_10OpaqueTypeILj1EEEjLi2ELi64ELi64EEEvPT_NS1_25CatArrInputTensorMetadataIS5_T0_XT2_EXT3_EEENS1_16TensorSizeStrideIS8_Lj4EEEiS8_,comdat
.Lfunc_end108:
	.size	_ZN2at6native12_GLOBAL__N_126CatArrayBatchedCopy_contigINS1_10OpaqueTypeILj1EEEjLi2ELi64ELi64EEEvPT_NS1_25CatArrInputTensorMetadataIS5_T0_XT2_EXT3_EEENS1_16TensorSizeStrideIS8_Lj4EEEiS8_, .Lfunc_end108-_ZN2at6native12_GLOBAL__N_126CatArrayBatchedCopy_contigINS1_10OpaqueTypeILj1EEEjLi2ELi64ELi64EEEvPT_NS1_25CatArrInputTensorMetadataIS5_T0_XT2_EXT3_EEENS1_16TensorSizeStrideIS8_Lj4EEEiS8_
                                        ; -- End function
	.set _ZN2at6native12_GLOBAL__N_126CatArrayBatchedCopy_contigINS1_10OpaqueTypeILj1EEEjLi2ELi64ELi64EEEvPT_NS1_25CatArrInputTensorMetadataIS5_T0_XT2_EXT3_EEENS1_16TensorSizeStrideIS8_Lj4EEEiS8_.num_vgpr, 8
	.set _ZN2at6native12_GLOBAL__N_126CatArrayBatchedCopy_contigINS1_10OpaqueTypeILj1EEEjLi2ELi64ELi64EEEvPT_NS1_25CatArrInputTensorMetadataIS5_T0_XT2_EXT3_EEENS1_16TensorSizeStrideIS8_Lj4EEEiS8_.num_agpr, 0
	.set _ZN2at6native12_GLOBAL__N_126CatArrayBatchedCopy_contigINS1_10OpaqueTypeILj1EEEjLi2ELi64ELi64EEEvPT_NS1_25CatArrInputTensorMetadataIS5_T0_XT2_EXT3_EEENS1_16TensorSizeStrideIS8_Lj4EEEiS8_.numbered_sgpr, 18
	.set _ZN2at6native12_GLOBAL__N_126CatArrayBatchedCopy_contigINS1_10OpaqueTypeILj1EEEjLi2ELi64ELi64EEEvPT_NS1_25CatArrInputTensorMetadataIS5_T0_XT2_EXT3_EEENS1_16TensorSizeStrideIS8_Lj4EEEiS8_.num_named_barrier, 0
	.set _ZN2at6native12_GLOBAL__N_126CatArrayBatchedCopy_contigINS1_10OpaqueTypeILj1EEEjLi2ELi64ELi64EEEvPT_NS1_25CatArrInputTensorMetadataIS5_T0_XT2_EXT3_EEENS1_16TensorSizeStrideIS8_Lj4EEEiS8_.private_seg_size, 0
	.set _ZN2at6native12_GLOBAL__N_126CatArrayBatchedCopy_contigINS1_10OpaqueTypeILj1EEEjLi2ELi64ELi64EEEvPT_NS1_25CatArrInputTensorMetadataIS5_T0_XT2_EXT3_EEENS1_16TensorSizeStrideIS8_Lj4EEEiS8_.uses_vcc, 1
	.set _ZN2at6native12_GLOBAL__N_126CatArrayBatchedCopy_contigINS1_10OpaqueTypeILj1EEEjLi2ELi64ELi64EEEvPT_NS1_25CatArrInputTensorMetadataIS5_T0_XT2_EXT3_EEENS1_16TensorSizeStrideIS8_Lj4EEEiS8_.uses_flat_scratch, 0
	.set _ZN2at6native12_GLOBAL__N_126CatArrayBatchedCopy_contigINS1_10OpaqueTypeILj1EEEjLi2ELi64ELi64EEEvPT_NS1_25CatArrInputTensorMetadataIS5_T0_XT2_EXT3_EEENS1_16TensorSizeStrideIS8_Lj4EEEiS8_.has_dyn_sized_stack, 0
	.set _ZN2at6native12_GLOBAL__N_126CatArrayBatchedCopy_contigINS1_10OpaqueTypeILj1EEEjLi2ELi64ELi64EEEvPT_NS1_25CatArrInputTensorMetadataIS5_T0_XT2_EXT3_EEENS1_16TensorSizeStrideIS8_Lj4EEEiS8_.has_recursion, 0
	.set _ZN2at6native12_GLOBAL__N_126CatArrayBatchedCopy_contigINS1_10OpaqueTypeILj1EEEjLi2ELi64ELi64EEEvPT_NS1_25CatArrInputTensorMetadataIS5_T0_XT2_EXT3_EEENS1_16TensorSizeStrideIS8_Lj4EEEiS8_.has_indirect_call, 0
	.section	.AMDGPU.csdata,"",@progbits
; Kernel info:
; codeLenInByte = 396
; TotalNumSgprs: 24
; NumVgprs: 8
; NumAgprs: 0
; TotalNumVgprs: 8
; ScratchSize: 0
; MemoryBound: 0
; FloatMode: 240
; IeeeMode: 1
; LDSByteSize: 0 bytes/workgroup (compile time only)
; SGPRBlocks: 2
; VGPRBlocks: 0
; NumSGPRsForWavesPerEU: 24
; NumVGPRsForWavesPerEU: 8
; AccumOffset: 8
; Occupancy: 8
; WaveLimiterHint : 1
; COMPUTE_PGM_RSRC2:SCRATCH_EN: 0
; COMPUTE_PGM_RSRC2:USER_SGPR: 2
; COMPUTE_PGM_RSRC2:TRAP_HANDLER: 0
; COMPUTE_PGM_RSRC2:TGID_X_EN: 1
; COMPUTE_PGM_RSRC2:TGID_Y_EN: 1
; COMPUTE_PGM_RSRC2:TGID_Z_EN: 0
; COMPUTE_PGM_RSRC2:TIDIG_COMP_CNT: 0
; COMPUTE_PGM_RSRC3_GFX90A:ACCUM_OFFSET: 1
; COMPUTE_PGM_RSRC3_GFX90A:TG_SPLIT: 0
	.section	.text._ZN2at6native12_GLOBAL__N_119CatArrayBatchedCopyINS1_10OpaqueTypeILj1EEEjLi2ELi64ELi64EEEvPT_NS1_25CatArrInputTensorMetadataIS5_T0_XT2_EXT3_EEENS1_16TensorSizeStrideIS8_Lj4EEEiS8_,"axG",@progbits,_ZN2at6native12_GLOBAL__N_119CatArrayBatchedCopyINS1_10OpaqueTypeILj1EEEjLi2ELi64ELi64EEEvPT_NS1_25CatArrInputTensorMetadataIS5_T0_XT2_EXT3_EEENS1_16TensorSizeStrideIS8_Lj4EEEiS8_,comdat
	.globl	_ZN2at6native12_GLOBAL__N_119CatArrayBatchedCopyINS1_10OpaqueTypeILj1EEEjLi2ELi64ELi64EEEvPT_NS1_25CatArrInputTensorMetadataIS5_T0_XT2_EXT3_EEENS1_16TensorSizeStrideIS8_Lj4EEEiS8_ ; -- Begin function _ZN2at6native12_GLOBAL__N_119CatArrayBatchedCopyINS1_10OpaqueTypeILj1EEEjLi2ELi64ELi64EEEvPT_NS1_25CatArrInputTensorMetadataIS5_T0_XT2_EXT3_EEENS1_16TensorSizeStrideIS8_Lj4EEEiS8_
	.p2align	8
	.type	_ZN2at6native12_GLOBAL__N_119CatArrayBatchedCopyINS1_10OpaqueTypeILj1EEEjLi2ELi64ELi64EEEvPT_NS1_25CatArrInputTensorMetadataIS5_T0_XT2_EXT3_EEENS1_16TensorSizeStrideIS8_Lj4EEEiS8_,@function
_ZN2at6native12_GLOBAL__N_119CatArrayBatchedCopyINS1_10OpaqueTypeILj1EEEjLi2ELi64ELi64EEEvPT_NS1_25CatArrInputTensorMetadataIS5_T0_XT2_EXT3_EEENS1_16TensorSizeStrideIS8_Lj4EEEiS8_: ; @_ZN2at6native12_GLOBAL__N_119CatArrayBatchedCopyINS1_10OpaqueTypeILj1EEEjLi2ELi64ELi64EEEvPT_NS1_25CatArrInputTensorMetadataIS5_T0_XT2_EXT3_EEENS1_16TensorSizeStrideIS8_Lj4EEEiS8_
; %bb.0:
	s_load_dword s4, s[0:1], 0xd7c
	s_mov_b32 s6, s3
	s_or_b32 s3, s0, 8
	s_add_u32 s10, s0, 0xd70
	s_mov_b32 s7, 0
	s_addc_u32 s11, s1, 0
	s_waitcnt lgkmcnt(0)
	s_and_b32 s15, s4, 0xffff
	s_lshl_b64 s[8:9], s[6:7], 2
	s_add_u32 s4, s3, s8
	s_addc_u32 s5, s1, s9
	s_load_dword s12, s[4:5], 0x400
	s_mul_i32 s2, s2, s15
	v_add_u32_e32 v0, s2, v0
	s_waitcnt lgkmcnt(0)
	v_cmp_gt_u32_e32 vcc, s12, v0
	s_and_saveexec_b64 s[16:17], vcc
	s_cbranch_execz .LBB109_5
; %bb.1:
	s_mul_i32 s13, s6, 28
	s_mul_hi_u32 s2, s6, 28
	s_add_u32 s16, s4, s13
	s_addc_u32 s17, s5, s2
	s_add_u32 s18, s3, s6
	s_addc_u32 s19, s1, 0
	v_mov_b32_e32 v1, 0
	global_load_ubyte v2, v1, s[18:19] offset:1280
	s_load_dwordx2 s[2:3], s[0:1], 0x0
	s_load_dwordx2 s[20:21], s[0:1], 0xd68
	;; [unrolled: 1-line block ×3, first 2 shown]
	s_load_dword s13, s[0:1], 0xd4c
	s_load_dword s22, s[10:11], 0x0
	s_mul_hi_u32 s7, s6, 7
	s_mul_i32 s6, s6, 7
	s_waitcnt lgkmcnt(0)
	s_mul_i32 s15, s22, s15
	s_waitcnt vmcnt(0)
	v_and_b32_e32 v2, 1, v2
	v_cmp_eq_u32_e32 vcc, 1, v2
	s_xor_b64 s[0:1], vcc, -1
	s_add_u32 s10, s18, s6
	s_addc_u32 s11, s19, s7
	s_sub_u32 s6, 0, s8
	s_subb_u32 s7, 0, s9
	s_add_u32 s18, s10, s6
	s_addc_u32 s19, s11, s7
	s_load_dword s14, s[18:19], 0x300
	s_load_dword s23, s[16:17], 0x544
	s_load_dwordx2 s[6:7], s[16:17], 0x550
	s_load_dwordx2 s[8:9], s[10:11], 0x0
	s_load_dword s24, s[18:19], 0x200
	s_cmp_eq_u32 s20, 1
	s_waitcnt lgkmcnt(0)
	s_cselect_b32 s13, s14, s13
	s_cselect_b32 s14, s14, s23
	v_cvt_f32_u32_e32 v2, s13
	v_cvt_f32_u32_e32 v3, s14
	s_sub_i32 s17, 0, s13
	s_sub_i32 s18, 0, s14
	v_rcp_iflag_f32_e32 v2, v2
	v_rcp_iflag_f32_e32 v3, v3
	v_cndmask_b32_e64 v6, 0, 1, s[0:1]
	s_mov_b64 s[10:11], 0
	v_mul_f32_e32 v2, 0x4f7ffffe, v2
	v_mul_f32_e32 v3, 0x4f7ffffe, v3
	v_cvt_u32_f32_e32 v2, v2
	v_cvt_u32_f32_e32 v3, v3
	s_mul_i32 s16, s24, s21
	v_cmp_ne_u32_e64 s[0:1], 1, v6
	v_mul_lo_u32 v4, s17, v2
	v_mul_lo_u32 v5, s18, v3
	v_mul_hi_u32 v4, v2, v4
	v_mul_hi_u32 v5, v3, v5
	v_add_u32_e32 v4, v2, v4
	v_add_u32_e32 v5, v3, v5
	s_branch .LBB109_3
.LBB109_2:                              ;   in Loop: Header=BB109_3 Depth=1
	v_lshl_add_u64 v[2:3], s[8:9], 0, v[2:3]
	global_load_ubyte v8, v[2:3], off
	v_mul_hi_u32 v6, v4, v0
	v_mad_u64_u32 v[2:3], s[20:21], s17, v6, v[0:1]
	v_not_b32_e32 v7, v6
	v_add_u32_e32 v3, 1, v6
	v_cmp_le_u32_e32 vcc, s13, v2
	s_nop 1
	v_cndmask_b32_e32 v3, v6, v3, vcc
	v_mad_u64_u32 v[6:7], s[20:21], s13, v7, v[0:1]
	v_cndmask_b32_e32 v2, v2, v6, vcc
	v_add_u32_e32 v6, 1, v3
	v_cmp_le_u32_e32 vcc, s13, v2
	s_nop 1
	v_cndmask_b32_e32 v6, v3, v6, vcc
	v_mad_u64_u32 v[2:3], s[20:21], s17, v6, v[0:1]
	v_add_u32_e32 v0, s15, v0
	v_mul_lo_u32 v2, v2, s5
	v_mul_lo_u32 v3, v6, s4
	v_cmp_le_u32_e32 vcc, s12, v0
	v_add3_u32 v2, v2, v3, s16
	s_or_b64 s[10:11], vcc, s[10:11]
	s_waitcnt vmcnt(0)
	global_store_byte v2, v8, s[2:3]
	s_andn2_b64 exec, exec, s[10:11]
	s_cbranch_execz .LBB109_5
.LBB109_3:                              ; =>This Inner Loop Header: Depth=1
	s_and_b64 vcc, exec, s[0:1]
	v_mov_b64_e32 v[2:3], v[0:1]
	s_cbranch_vccnz .LBB109_2
; %bb.4:                                ;   in Loop: Header=BB109_3 Depth=1
	v_mul_hi_u32 v6, v5, v0
	v_mad_u64_u32 v[2:3], s[20:21], s18, v6, v[0:1]
	v_not_b32_e32 v7, v6
	v_add_u32_e32 v3, 1, v6
	v_cmp_le_u32_e32 vcc, s14, v2
	s_nop 1
	v_cndmask_b32_e32 v3, v6, v3, vcc
	v_mad_u64_u32 v[6:7], s[20:21], s14, v7, v[0:1]
	v_cndmask_b32_e32 v2, v2, v6, vcc
	v_add_u32_e32 v6, 1, v3
	v_cmp_le_u32_e32 vcc, s14, v2
	s_nop 1
	v_cndmask_b32_e32 v6, v3, v6, vcc
	v_mad_u64_u32 v[2:3], s[20:21], s18, v6, v[0:1]
	v_mul_lo_u32 v6, v6, s6
	v_mad_u64_u32 v[2:3], s[20:21], v2, s7, v[6:7]
	v_mov_b32_e32 v3, v1
	s_branch .LBB109_2
.LBB109_5:
	s_endpgm
	.section	.rodata,"a",@progbits
	.p2align	6, 0x0
	.amdhsa_kernel _ZN2at6native12_GLOBAL__N_119CatArrayBatchedCopyINS1_10OpaqueTypeILj1EEEjLi2ELi64ELi64EEEvPT_NS1_25CatArrInputTensorMetadataIS5_T0_XT2_EXT3_EEENS1_16TensorSizeStrideIS8_Lj4EEEiS8_
		.amdhsa_group_segment_fixed_size 0
		.amdhsa_private_segment_fixed_size 0
		.amdhsa_kernarg_size 3696
		.amdhsa_user_sgpr_count 2
		.amdhsa_user_sgpr_dispatch_ptr 0
		.amdhsa_user_sgpr_queue_ptr 0
		.amdhsa_user_sgpr_kernarg_segment_ptr 1
		.amdhsa_user_sgpr_dispatch_id 0
		.amdhsa_user_sgpr_kernarg_preload_length 0
		.amdhsa_user_sgpr_kernarg_preload_offset 0
		.amdhsa_user_sgpr_private_segment_size 0
		.amdhsa_uses_dynamic_stack 0
		.amdhsa_enable_private_segment 0
		.amdhsa_system_sgpr_workgroup_id_x 1
		.amdhsa_system_sgpr_workgroup_id_y 1
		.amdhsa_system_sgpr_workgroup_id_z 0
		.amdhsa_system_sgpr_workgroup_info 0
		.amdhsa_system_vgpr_workitem_id 0
		.amdhsa_next_free_vgpr 9
		.amdhsa_next_free_sgpr 25
		.amdhsa_accum_offset 12
		.amdhsa_reserve_vcc 1
		.amdhsa_float_round_mode_32 0
		.amdhsa_float_round_mode_16_64 0
		.amdhsa_float_denorm_mode_32 3
		.amdhsa_float_denorm_mode_16_64 3
		.amdhsa_dx10_clamp 1
		.amdhsa_ieee_mode 1
		.amdhsa_fp16_overflow 0
		.amdhsa_tg_split 0
		.amdhsa_exception_fp_ieee_invalid_op 0
		.amdhsa_exception_fp_denorm_src 0
		.amdhsa_exception_fp_ieee_div_zero 0
		.amdhsa_exception_fp_ieee_overflow 0
		.amdhsa_exception_fp_ieee_underflow 0
		.amdhsa_exception_fp_ieee_inexact 0
		.amdhsa_exception_int_div_zero 0
	.end_amdhsa_kernel
	.section	.text._ZN2at6native12_GLOBAL__N_119CatArrayBatchedCopyINS1_10OpaqueTypeILj1EEEjLi2ELi64ELi64EEEvPT_NS1_25CatArrInputTensorMetadataIS5_T0_XT2_EXT3_EEENS1_16TensorSizeStrideIS8_Lj4EEEiS8_,"axG",@progbits,_ZN2at6native12_GLOBAL__N_119CatArrayBatchedCopyINS1_10OpaqueTypeILj1EEEjLi2ELi64ELi64EEEvPT_NS1_25CatArrInputTensorMetadataIS5_T0_XT2_EXT3_EEENS1_16TensorSizeStrideIS8_Lj4EEEiS8_,comdat
.Lfunc_end109:
	.size	_ZN2at6native12_GLOBAL__N_119CatArrayBatchedCopyINS1_10OpaqueTypeILj1EEEjLi2ELi64ELi64EEEvPT_NS1_25CatArrInputTensorMetadataIS5_T0_XT2_EXT3_EEENS1_16TensorSizeStrideIS8_Lj4EEEiS8_, .Lfunc_end109-_ZN2at6native12_GLOBAL__N_119CatArrayBatchedCopyINS1_10OpaqueTypeILj1EEEjLi2ELi64ELi64EEEvPT_NS1_25CatArrInputTensorMetadataIS5_T0_XT2_EXT3_EEENS1_16TensorSizeStrideIS8_Lj4EEEiS8_
                                        ; -- End function
	.set _ZN2at6native12_GLOBAL__N_119CatArrayBatchedCopyINS1_10OpaqueTypeILj1EEEjLi2ELi64ELi64EEEvPT_NS1_25CatArrInputTensorMetadataIS5_T0_XT2_EXT3_EEENS1_16TensorSizeStrideIS8_Lj4EEEiS8_.num_vgpr, 9
	.set _ZN2at6native12_GLOBAL__N_119CatArrayBatchedCopyINS1_10OpaqueTypeILj1EEEjLi2ELi64ELi64EEEvPT_NS1_25CatArrInputTensorMetadataIS5_T0_XT2_EXT3_EEENS1_16TensorSizeStrideIS8_Lj4EEEiS8_.num_agpr, 0
	.set _ZN2at6native12_GLOBAL__N_119CatArrayBatchedCopyINS1_10OpaqueTypeILj1EEEjLi2ELi64ELi64EEEvPT_NS1_25CatArrInputTensorMetadataIS5_T0_XT2_EXT3_EEENS1_16TensorSizeStrideIS8_Lj4EEEiS8_.numbered_sgpr, 25
	.set _ZN2at6native12_GLOBAL__N_119CatArrayBatchedCopyINS1_10OpaqueTypeILj1EEEjLi2ELi64ELi64EEEvPT_NS1_25CatArrInputTensorMetadataIS5_T0_XT2_EXT3_EEENS1_16TensorSizeStrideIS8_Lj4EEEiS8_.num_named_barrier, 0
	.set _ZN2at6native12_GLOBAL__N_119CatArrayBatchedCopyINS1_10OpaqueTypeILj1EEEjLi2ELi64ELi64EEEvPT_NS1_25CatArrInputTensorMetadataIS5_T0_XT2_EXT3_EEENS1_16TensorSizeStrideIS8_Lj4EEEiS8_.private_seg_size, 0
	.set _ZN2at6native12_GLOBAL__N_119CatArrayBatchedCopyINS1_10OpaqueTypeILj1EEEjLi2ELi64ELi64EEEvPT_NS1_25CatArrInputTensorMetadataIS5_T0_XT2_EXT3_EEENS1_16TensorSizeStrideIS8_Lj4EEEiS8_.uses_vcc, 1
	.set _ZN2at6native12_GLOBAL__N_119CatArrayBatchedCopyINS1_10OpaqueTypeILj1EEEjLi2ELi64ELi64EEEvPT_NS1_25CatArrInputTensorMetadataIS5_T0_XT2_EXT3_EEENS1_16TensorSizeStrideIS8_Lj4EEEiS8_.uses_flat_scratch, 0
	.set _ZN2at6native12_GLOBAL__N_119CatArrayBatchedCopyINS1_10OpaqueTypeILj1EEEjLi2ELi64ELi64EEEvPT_NS1_25CatArrInputTensorMetadataIS5_T0_XT2_EXT3_EEENS1_16TensorSizeStrideIS8_Lj4EEEiS8_.has_dyn_sized_stack, 0
	.set _ZN2at6native12_GLOBAL__N_119CatArrayBatchedCopyINS1_10OpaqueTypeILj1EEEjLi2ELi64ELi64EEEvPT_NS1_25CatArrInputTensorMetadataIS5_T0_XT2_EXT3_EEENS1_16TensorSizeStrideIS8_Lj4EEEiS8_.has_recursion, 0
	.set _ZN2at6native12_GLOBAL__N_119CatArrayBatchedCopyINS1_10OpaqueTypeILj1EEEjLi2ELi64ELi64EEEvPT_NS1_25CatArrInputTensorMetadataIS5_T0_XT2_EXT3_EEENS1_16TensorSizeStrideIS8_Lj4EEEiS8_.has_indirect_call, 0
	.section	.AMDGPU.csdata,"",@progbits
; Kernel info:
; codeLenInByte = 648
; TotalNumSgprs: 31
; NumVgprs: 9
; NumAgprs: 0
; TotalNumVgprs: 9
; ScratchSize: 0
; MemoryBound: 0
; FloatMode: 240
; IeeeMode: 1
; LDSByteSize: 0 bytes/workgroup (compile time only)
; SGPRBlocks: 3
; VGPRBlocks: 1
; NumSGPRsForWavesPerEU: 31
; NumVGPRsForWavesPerEU: 9
; AccumOffset: 12
; Occupancy: 8
; WaveLimiterHint : 1
; COMPUTE_PGM_RSRC2:SCRATCH_EN: 0
; COMPUTE_PGM_RSRC2:USER_SGPR: 2
; COMPUTE_PGM_RSRC2:TRAP_HANDLER: 0
; COMPUTE_PGM_RSRC2:TGID_X_EN: 1
; COMPUTE_PGM_RSRC2:TGID_Y_EN: 1
; COMPUTE_PGM_RSRC2:TGID_Z_EN: 0
; COMPUTE_PGM_RSRC2:TIDIG_COMP_CNT: 0
; COMPUTE_PGM_RSRC3_GFX90A:ACCUM_OFFSET: 2
; COMPUTE_PGM_RSRC3_GFX90A:TG_SPLIT: 0
	.section	.text._ZN2at6native12_GLOBAL__N_130CatArrayBatchedCopy_vectorizedINS1_10OpaqueTypeILj1EEEjLi3ELi64ELi64ELi16ELi16EEEvPcNS1_25CatArrInputTensorMetadataIT_T0_XT2_EXT3_EEENS1_16TensorSizeStrideIS8_Lj4EEEiS8_,"axG",@progbits,_ZN2at6native12_GLOBAL__N_130CatArrayBatchedCopy_vectorizedINS1_10OpaqueTypeILj1EEEjLi3ELi64ELi64ELi16ELi16EEEvPcNS1_25CatArrInputTensorMetadataIT_T0_XT2_EXT3_EEENS1_16TensorSizeStrideIS8_Lj4EEEiS8_,comdat
	.globl	_ZN2at6native12_GLOBAL__N_130CatArrayBatchedCopy_vectorizedINS1_10OpaqueTypeILj1EEEjLi3ELi64ELi64ELi16ELi16EEEvPcNS1_25CatArrInputTensorMetadataIT_T0_XT2_EXT3_EEENS1_16TensorSizeStrideIS8_Lj4EEEiS8_ ; -- Begin function _ZN2at6native12_GLOBAL__N_130CatArrayBatchedCopy_vectorizedINS1_10OpaqueTypeILj1EEEjLi3ELi64ELi64ELi16ELi16EEEvPcNS1_25CatArrInputTensorMetadataIT_T0_XT2_EXT3_EEENS1_16TensorSizeStrideIS8_Lj4EEEiS8_
	.p2align	8
	.type	_ZN2at6native12_GLOBAL__N_130CatArrayBatchedCopy_vectorizedINS1_10OpaqueTypeILj1EEEjLi3ELi64ELi64ELi16ELi16EEEvPcNS1_25CatArrInputTensorMetadataIT_T0_XT2_EXT3_EEENS1_16TensorSizeStrideIS8_Lj4EEEiS8_,@function
_ZN2at6native12_GLOBAL__N_130CatArrayBatchedCopy_vectorizedINS1_10OpaqueTypeILj1EEEjLi3ELi64ELi64ELi16ELi16EEEvPcNS1_25CatArrInputTensorMetadataIT_T0_XT2_EXT3_EEENS1_16TensorSizeStrideIS8_Lj4EEEiS8_: ; @_ZN2at6native12_GLOBAL__N_130CatArrayBatchedCopy_vectorizedINS1_10OpaqueTypeILj1EEEjLi3ELi64ELi64ELi16ELi16EEEvPcNS1_25CatArrInputTensorMetadataIT_T0_XT2_EXT3_EEENS1_16TensorSizeStrideIS8_Lj4EEEiS8_
; %bb.0:
	s_mov_b32 s4, s3
	s_load_dword s3, s[0:1], 0xd7c
	s_add_u32 s8, s0, 0xd70
	s_mov_b32 s5, 0
	s_addc_u32 s9, s1, 0
	s_lshl_b64 s[10:11], s[4:5], 2
	s_waitcnt lgkmcnt(0)
	s_and_b32 s13, s3, 0xffff
	s_add_u32 s4, s0, s10
	s_addc_u32 s5, s1, s11
	s_load_dword s6, s[4:5], 0x408
	s_mul_i32 s2, s2, s13
	v_add_u32_e32 v0, s2, v0
	s_add_u32 s2, s4, 8
	s_addc_u32 s3, s5, 0
	s_waitcnt lgkmcnt(0)
	s_lshr_b32 s12, s6, 4
	v_cmp_gt_u32_e32 vcc, s12, v0
	s_and_saveexec_b64 s[4:5], vcc
	s_cbranch_execz .LBB110_3
; %bb.1:
	s_add_u32 s16, s2, s10
	s_addc_u32 s17, s3, s11
	s_sub_u32 s2, 0, s10
	s_load_dwordx2 s[14:15], s[0:1], 0xd68
	s_load_dwordx4 s[4:7], s[0:1], 0xd58
	s_subb_u32 s3, 0, s11
	s_add_u32 s10, s16, s2
	s_addc_u32 s11, s17, s3
	s_load_dwordx2 s[2:3], s[16:17], 0x0
	s_waitcnt lgkmcnt(0)
	s_load_dword s7, s[10:11], 0x200
	s_load_dword s22, s[10:11], 0x300
	s_load_dwordx2 s[18:19], s[0:1], 0x0
	s_load_dwordx2 s[20:21], s[0:1], 0xd4c
	s_load_dword s23, s[8:9], 0x0
	s_waitcnt lgkmcnt(0)
	s_mul_i32 s7, s7, s15
	s_mul_i32 s22, s22, s15
	s_and_b32 s8, s7, -16
	s_lshr_b32 s9, s22, 4
	s_cmp_eq_u32 s14, 2
	s_cselect_b32 s7, s9, s21
	v_cvt_f32_u32_e32 v1, s7
	s_cmp_eq_u32 s14, 1
	s_cselect_b32 s11, s9, s20
	v_cvt_f32_u32_e32 v2, s11
	v_rcp_iflag_f32_e32 v1, v1
	s_add_u32 s8, s18, s8
	s_mul_i32 s10, s23, s13
	v_rcp_iflag_f32_e32 v2, v2
	v_mul_f32_e32 v1, 0x4f7ffffe, v1
	v_cvt_u32_f32_e32 v1, v1
	s_addc_u32 s9, s19, 0
	v_mul_f32_e32 v2, 0x4f7ffffe, v2
	v_cvt_u32_f32_e32 v4, v2
	s_sub_i32 s13, 0, s7
	v_mul_lo_u32 v3, s13, v1
	v_mul_hi_u32 v3, v1, v3
	s_sub_i32 s14, 0, s11
	v_add_u32_e32 v2, v1, v3
	v_mul_lo_u32 v3, s14, v4
	v_mul_hi_u32 v3, v4, v3
	s_mov_b64 s[0:1], 0
	v_mov_b32_e32 v1, 0
	v_add_u32_e32 v3, v4, v3
.LBB110_2:                              ; =>This Inner Loop Header: Depth=1
	v_lshl_add_u64 v[4:5], v[0:1], 4, s[2:3]
	global_load_dwordx4 v[4:7], v[4:5], off
	v_mul_hi_u32 v8, v2, v0
	v_mul_lo_u32 v10, s7, v8
	v_not_b32_e32 v11, v8
	v_sub_u32_e32 v13, v0, v10
	v_add_u32_e32 v12, 1, v8
	v_mad_u64_u32 v[10:11], s[14:15], s7, v11, v[0:1]
	v_cmp_le_u32_e32 vcc, s7, v13
	v_mov_b32_e32 v9, v1
	s_nop 0
	v_cndmask_b32_e32 v8, v8, v12, vcc
	v_cndmask_b32_e32 v10, v13, v10, vcc
	v_add_u32_e32 v11, 1, v8
	v_cmp_le_u32_e32 vcc, s7, v10
	s_nop 1
	v_cndmask_b32_e32 v8, v8, v11, vcc
	v_mad_u64_u32 v[10:11], s[14:15], s13, v8, v[0:1]
	v_mul_hi_u32 v11, v8, v3
	v_add_u32_e32 v0, s10, v0
	v_mul_lo_u32 v12, v11, s11
	v_cmp_le_u32_e32 vcc, s12, v0
	v_sub_u32_e32 v12, v8, v12
	v_add_u32_e32 v13, 1, v11
	s_or_b64 s[0:1], vcc, s[0:1]
	v_cmp_le_u32_e32 vcc, s11, v12
	v_mul_lo_u32 v10, v10, s6
	s_nop 0
	v_cndmask_b32_e32 v11, v11, v13, vcc
	v_subrev_u32_e32 v13, s11, v12
	v_cndmask_b32_e32 v12, v12, v13, vcc
	v_add_u32_e32 v13, 1, v11
	v_cmp_le_u32_e32 vcc, s11, v12
	s_nop 1
	v_cndmask_b32_e32 v11, v11, v13, vcc
	v_mul_lo_u32 v12, v11, s11
	v_sub_u32_e32 v8, v8, v12
	v_mul_lo_u32 v11, v11, s4
	v_mul_lo_u32 v8, v8, s5
	v_add3_u32 v8, v10, v11, v8
	v_lshl_add_u64 v[8:9], v[8:9], 4, s[8:9]
	s_waitcnt vmcnt(0)
	global_store_dwordx4 v[8:9], v[4:7], off
	s_andn2_b64 exec, exec, s[0:1]
	s_cbranch_execnz .LBB110_2
.LBB110_3:
	s_endpgm
	.section	.rodata,"a",@progbits
	.p2align	6, 0x0
	.amdhsa_kernel _ZN2at6native12_GLOBAL__N_130CatArrayBatchedCopy_vectorizedINS1_10OpaqueTypeILj1EEEjLi3ELi64ELi64ELi16ELi16EEEvPcNS1_25CatArrInputTensorMetadataIT_T0_XT2_EXT3_EEENS1_16TensorSizeStrideIS8_Lj4EEEiS8_
		.amdhsa_group_segment_fixed_size 0
		.amdhsa_private_segment_fixed_size 0
		.amdhsa_kernarg_size 3696
		.amdhsa_user_sgpr_count 2
		.amdhsa_user_sgpr_dispatch_ptr 0
		.amdhsa_user_sgpr_queue_ptr 0
		.amdhsa_user_sgpr_kernarg_segment_ptr 1
		.amdhsa_user_sgpr_dispatch_id 0
		.amdhsa_user_sgpr_kernarg_preload_length 0
		.amdhsa_user_sgpr_kernarg_preload_offset 0
		.amdhsa_user_sgpr_private_segment_size 0
		.amdhsa_uses_dynamic_stack 0
		.amdhsa_enable_private_segment 0
		.amdhsa_system_sgpr_workgroup_id_x 1
		.amdhsa_system_sgpr_workgroup_id_y 1
		.amdhsa_system_sgpr_workgroup_id_z 0
		.amdhsa_system_sgpr_workgroup_info 0
		.amdhsa_system_vgpr_workitem_id 0
		.amdhsa_next_free_vgpr 14
		.amdhsa_next_free_sgpr 24
		.amdhsa_accum_offset 16
		.amdhsa_reserve_vcc 1
		.amdhsa_float_round_mode_32 0
		.amdhsa_float_round_mode_16_64 0
		.amdhsa_float_denorm_mode_32 3
		.amdhsa_float_denorm_mode_16_64 3
		.amdhsa_dx10_clamp 1
		.amdhsa_ieee_mode 1
		.amdhsa_fp16_overflow 0
		.amdhsa_tg_split 0
		.amdhsa_exception_fp_ieee_invalid_op 0
		.amdhsa_exception_fp_denorm_src 0
		.amdhsa_exception_fp_ieee_div_zero 0
		.amdhsa_exception_fp_ieee_overflow 0
		.amdhsa_exception_fp_ieee_underflow 0
		.amdhsa_exception_fp_ieee_inexact 0
		.amdhsa_exception_int_div_zero 0
	.end_amdhsa_kernel
	.section	.text._ZN2at6native12_GLOBAL__N_130CatArrayBatchedCopy_vectorizedINS1_10OpaqueTypeILj1EEEjLi3ELi64ELi64ELi16ELi16EEEvPcNS1_25CatArrInputTensorMetadataIT_T0_XT2_EXT3_EEENS1_16TensorSizeStrideIS8_Lj4EEEiS8_,"axG",@progbits,_ZN2at6native12_GLOBAL__N_130CatArrayBatchedCopy_vectorizedINS1_10OpaqueTypeILj1EEEjLi3ELi64ELi64ELi16ELi16EEEvPcNS1_25CatArrInputTensorMetadataIT_T0_XT2_EXT3_EEENS1_16TensorSizeStrideIS8_Lj4EEEiS8_,comdat
.Lfunc_end110:
	.size	_ZN2at6native12_GLOBAL__N_130CatArrayBatchedCopy_vectorizedINS1_10OpaqueTypeILj1EEEjLi3ELi64ELi64ELi16ELi16EEEvPcNS1_25CatArrInputTensorMetadataIT_T0_XT2_EXT3_EEENS1_16TensorSizeStrideIS8_Lj4EEEiS8_, .Lfunc_end110-_ZN2at6native12_GLOBAL__N_130CatArrayBatchedCopy_vectorizedINS1_10OpaqueTypeILj1EEEjLi3ELi64ELi64ELi16ELi16EEEvPcNS1_25CatArrInputTensorMetadataIT_T0_XT2_EXT3_EEENS1_16TensorSizeStrideIS8_Lj4EEEiS8_
                                        ; -- End function
	.set _ZN2at6native12_GLOBAL__N_130CatArrayBatchedCopy_vectorizedINS1_10OpaqueTypeILj1EEEjLi3ELi64ELi64ELi16ELi16EEEvPcNS1_25CatArrInputTensorMetadataIT_T0_XT2_EXT3_EEENS1_16TensorSizeStrideIS8_Lj4EEEiS8_.num_vgpr, 14
	.set _ZN2at6native12_GLOBAL__N_130CatArrayBatchedCopy_vectorizedINS1_10OpaqueTypeILj1EEEjLi3ELi64ELi64ELi16ELi16EEEvPcNS1_25CatArrInputTensorMetadataIT_T0_XT2_EXT3_EEENS1_16TensorSizeStrideIS8_Lj4EEEiS8_.num_agpr, 0
	.set _ZN2at6native12_GLOBAL__N_130CatArrayBatchedCopy_vectorizedINS1_10OpaqueTypeILj1EEEjLi3ELi64ELi64ELi16ELi16EEEvPcNS1_25CatArrInputTensorMetadataIT_T0_XT2_EXT3_EEENS1_16TensorSizeStrideIS8_Lj4EEEiS8_.numbered_sgpr, 24
	.set _ZN2at6native12_GLOBAL__N_130CatArrayBatchedCopy_vectorizedINS1_10OpaqueTypeILj1EEEjLi3ELi64ELi64ELi16ELi16EEEvPcNS1_25CatArrInputTensorMetadataIT_T0_XT2_EXT3_EEENS1_16TensorSizeStrideIS8_Lj4EEEiS8_.num_named_barrier, 0
	.set _ZN2at6native12_GLOBAL__N_130CatArrayBatchedCopy_vectorizedINS1_10OpaqueTypeILj1EEEjLi3ELi64ELi64ELi16ELi16EEEvPcNS1_25CatArrInputTensorMetadataIT_T0_XT2_EXT3_EEENS1_16TensorSizeStrideIS8_Lj4EEEiS8_.private_seg_size, 0
	.set _ZN2at6native12_GLOBAL__N_130CatArrayBatchedCopy_vectorizedINS1_10OpaqueTypeILj1EEEjLi3ELi64ELi64ELi16ELi16EEEvPcNS1_25CatArrInputTensorMetadataIT_T0_XT2_EXT3_EEENS1_16TensorSizeStrideIS8_Lj4EEEiS8_.uses_vcc, 1
	.set _ZN2at6native12_GLOBAL__N_130CatArrayBatchedCopy_vectorizedINS1_10OpaqueTypeILj1EEEjLi3ELi64ELi64ELi16ELi16EEEvPcNS1_25CatArrInputTensorMetadataIT_T0_XT2_EXT3_EEENS1_16TensorSizeStrideIS8_Lj4EEEiS8_.uses_flat_scratch, 0
	.set _ZN2at6native12_GLOBAL__N_130CatArrayBatchedCopy_vectorizedINS1_10OpaqueTypeILj1EEEjLi3ELi64ELi64ELi16ELi16EEEvPcNS1_25CatArrInputTensorMetadataIT_T0_XT2_EXT3_EEENS1_16TensorSizeStrideIS8_Lj4EEEiS8_.has_dyn_sized_stack, 0
	.set _ZN2at6native12_GLOBAL__N_130CatArrayBatchedCopy_vectorizedINS1_10OpaqueTypeILj1EEEjLi3ELi64ELi64ELi16ELi16EEEvPcNS1_25CatArrInputTensorMetadataIT_T0_XT2_EXT3_EEENS1_16TensorSizeStrideIS8_Lj4EEEiS8_.has_recursion, 0
	.set _ZN2at6native12_GLOBAL__N_130CatArrayBatchedCopy_vectorizedINS1_10OpaqueTypeILj1EEEjLi3ELi64ELi64ELi16ELi16EEEvPcNS1_25CatArrInputTensorMetadataIT_T0_XT2_EXT3_EEENS1_16TensorSizeStrideIS8_Lj4EEEiS8_.has_indirect_call, 0
	.section	.AMDGPU.csdata,"",@progbits
; Kernel info:
; codeLenInByte = 576
; TotalNumSgprs: 30
; NumVgprs: 14
; NumAgprs: 0
; TotalNumVgprs: 14
; ScratchSize: 0
; MemoryBound: 0
; FloatMode: 240
; IeeeMode: 1
; LDSByteSize: 0 bytes/workgroup (compile time only)
; SGPRBlocks: 3
; VGPRBlocks: 1
; NumSGPRsForWavesPerEU: 30
; NumVGPRsForWavesPerEU: 14
; AccumOffset: 16
; Occupancy: 8
; WaveLimiterHint : 1
; COMPUTE_PGM_RSRC2:SCRATCH_EN: 0
; COMPUTE_PGM_RSRC2:USER_SGPR: 2
; COMPUTE_PGM_RSRC2:TRAP_HANDLER: 0
; COMPUTE_PGM_RSRC2:TGID_X_EN: 1
; COMPUTE_PGM_RSRC2:TGID_Y_EN: 1
; COMPUTE_PGM_RSRC2:TGID_Z_EN: 0
; COMPUTE_PGM_RSRC2:TIDIG_COMP_CNT: 0
; COMPUTE_PGM_RSRC3_GFX90A:ACCUM_OFFSET: 3
; COMPUTE_PGM_RSRC3_GFX90A:TG_SPLIT: 0
	.section	.text._ZN2at6native12_GLOBAL__N_135CatArrayBatchedCopy_alignedK_contigINS1_10OpaqueTypeILj1EEEjLi3ELi64ELi64ELi16EEEvPT_NS1_25CatArrInputTensorMetadataIS5_T0_XT2_EXT3_EEENS1_16TensorSizeStrideIS8_Lj4EEEiS8_,"axG",@progbits,_ZN2at6native12_GLOBAL__N_135CatArrayBatchedCopy_alignedK_contigINS1_10OpaqueTypeILj1EEEjLi3ELi64ELi64ELi16EEEvPT_NS1_25CatArrInputTensorMetadataIS5_T0_XT2_EXT3_EEENS1_16TensorSizeStrideIS8_Lj4EEEiS8_,comdat
	.globl	_ZN2at6native12_GLOBAL__N_135CatArrayBatchedCopy_alignedK_contigINS1_10OpaqueTypeILj1EEEjLi3ELi64ELi64ELi16EEEvPT_NS1_25CatArrInputTensorMetadataIS5_T0_XT2_EXT3_EEENS1_16TensorSizeStrideIS8_Lj4EEEiS8_ ; -- Begin function _ZN2at6native12_GLOBAL__N_135CatArrayBatchedCopy_alignedK_contigINS1_10OpaqueTypeILj1EEEjLi3ELi64ELi64ELi16EEEvPT_NS1_25CatArrInputTensorMetadataIS5_T0_XT2_EXT3_EEENS1_16TensorSizeStrideIS8_Lj4EEEiS8_
	.p2align	8
	.type	_ZN2at6native12_GLOBAL__N_135CatArrayBatchedCopy_alignedK_contigINS1_10OpaqueTypeILj1EEEjLi3ELi64ELi64ELi16EEEvPT_NS1_25CatArrInputTensorMetadataIS5_T0_XT2_EXT3_EEENS1_16TensorSizeStrideIS8_Lj4EEEiS8_,@function
_ZN2at6native12_GLOBAL__N_135CatArrayBatchedCopy_alignedK_contigINS1_10OpaqueTypeILj1EEEjLi3ELi64ELi64ELi16EEEvPT_NS1_25CatArrInputTensorMetadataIS5_T0_XT2_EXT3_EEENS1_16TensorSizeStrideIS8_Lj4EEEiS8_: ; @_ZN2at6native12_GLOBAL__N_135CatArrayBatchedCopy_alignedK_contigINS1_10OpaqueTypeILj1EEEjLi3ELi64ELi64ELi16EEEvPT_NS1_25CatArrInputTensorMetadataIS5_T0_XT2_EXT3_EEENS1_16TensorSizeStrideIS8_Lj4EEEiS8_
; %bb.0:
	s_mov_b32 s6, s3
	s_load_dword s3, s[0:1], 0xd7c
	s_add_u32 s4, s0, 0xd70
	s_mov_b32 s7, 0
	s_addc_u32 s5, s1, 0
	s_lshl_b64 s[6:7], s[6:7], 2
	s_waitcnt lgkmcnt(0)
	s_and_b32 s3, s3, 0xffff
	s_add_u32 s8, s0, s6
	s_addc_u32 s9, s1, s7
	s_load_dword s28, s[8:9], 0x408
	s_mul_i32 s2, s2, s3
	v_add_lshl_u32 v16, s2, v0, 4
	s_add_u32 s2, s8, 8
	s_addc_u32 s12, s9, 0
	s_waitcnt lgkmcnt(0)
	v_cmp_gt_u32_e32 vcc, s28, v16
	s_and_saveexec_b64 s[8:9], vcc
	s_cbranch_execz .LBB111_10
; %bb.1:
	s_add_u32 s18, s2, s6
	s_addc_u32 s19, s12, s7
	s_sub_u32 s2, 0, s6
	s_load_dwordx2 s[14:15], s[0:1], 0xd68
	s_load_dwordx4 s[8:11], s[0:1], 0xd58
	s_subb_u32 s6, 0, s7
	s_add_u32 s20, s18, s2
	s_addc_u32 s21, s19, s6
	s_waitcnt lgkmcnt(0)
	s_load_dword s11, s[20:21], 0x200
	s_load_dwordx2 s[6:7], s[0:1], 0x0
	s_load_dwordx2 s[16:17], s[0:1], 0xd4c
	;; [unrolled: 1-line block ×3, first 2 shown]
	s_load_dword s29, s[20:21], 0x300
	v_add_u32_e32 v0, 16, v16
	s_mov_b64 s[18:19], 0
	s_waitcnt lgkmcnt(0)
	s_mul_i32 s11, s11, s15
	v_cmp_ge_u32_e32 vcc, s28, v0
	s_and_saveexec_b64 s[20:21], vcc
	s_cbranch_execz .LBB111_7
; %bb.2:
	s_load_dword s0, s[4:5], 0x0
	v_mov_b32_e32 v17, 0
	s_mov_b32 s23, 0
	v_add_u32_e32 v23, 3, v16
	v_add_u32_e32 v26, 2, v16
	s_waitcnt lgkmcnt(0)
	s_mul_i32 s0, s0, s3
	s_lshl_b32 s22, s0, 4
	s_cmp_eq_u32 s14, 2
	s_cselect_b32 s15, s29, s17
	s_cmp_eq_u32 s14, 1
	v_cvt_f32_u32_e32 v0, s15
	s_cselect_b32 s30, s29, s16
	v_cvt_f32_u32_e32 v1, s30
	s_sub_i32 s31, 0, s15
	v_rcp_iflag_f32_e32 v0, v0
	s_sub_i32 s0, 0, s30
	v_rcp_iflag_f32_e32 v1, v1
	v_add_u32_e32 v27, 1, v16
	v_mul_f32_e32 v0, 0x4f7ffffe, v0
	v_cvt_u32_f32_e32 v0, v0
	v_mul_f32_e32 v1, 0x4f7ffffe, v1
	v_cvt_u32_f32_e32 v1, v1
	v_mov_b32_e32 v4, v17
	v_mul_lo_u32 v2, s31, v0
	v_mul_hi_u32 v2, v0, v2
	v_mul_lo_u32 v3, s0, v1
	v_add_u32_e32 v24, v0, v2
	v_mul_hi_u32 v0, v1, v3
	v_add_u32_e32 v25, v1, v0
	v_mov_b32_e32 v0, v17
	v_mov_b32_e32 v1, v17
	v_mov_b32_e32 v2, v17
	v_mov_b32_e32 v3, v17
	v_mov_b32_e32 v5, v17
	v_mov_b32_e32 v6, v17
	v_mov_b32_e32 v7, v17
	v_mov_b32_e32 v8, v17
	v_mov_b32_e32 v9, v17
	v_mov_b32_e32 v10, v17
	v_mov_b32_e32 v11, v17
	v_mov_b32_e32 v12, v17
	v_mov_b32_e32 v13, v17
	v_mov_b32_e32 v14, v17
	v_mov_b32_e32 v15, v17
	v_mov_b64_e32 v[18:19], v[16:17]
	s_mov_b64 s[24:25], 0
.LBB111_3:                              ; =>This Loop Header: Depth=1
                                        ;     Child Loop BB111_4 Depth 2
	v_lshl_add_u64 v[20:21], v[16:17], 0, s[24:25]
	s_mov_b64 s[26:27], 0
	v_mov_b32_e32 v21, v18
	v_mov_b32_e32 v28, v27
	;; [unrolled: 1-line block ×4, first 2 shown]
.LBB111_4:                              ;   Parent Loop BB111_3 Depth=1
                                        ; =>  This Inner Loop Header: Depth=2
	v_mul_hi_u32 v32, v24, v29
	v_mul_hi_u32 v33, v24, v28
	;; [unrolled: 1-line block ×3, first 2 shown]
	v_add_u32_e32 v22, s26, v18
	v_not_b32_e32 v38, v32
	v_not_b32_e32 v39, v33
	v_not_b32_e32 v42, v34
	v_mul_hi_u32 v31, v24, v30
	v_add_u32_e32 v35, s26, v20
	v_mul_lo_u32 v40, s15, v32
	v_mul_lo_u32 v41, s15, v33
	v_mul_hi_u32 v43, v22, v24
	v_mad_u64_u32 v[32:33], s[0:1], s31, v34, v[22:23]
	v_mul_lo_u32 v44, s15, v38
	v_mul_lo_u32 v45, s15, v39
	v_mad_u64_u32 v[38:39], s[0:1], s15, v42, v[22:23]
	v_mul_lo_u32 v37, s15, v31
	v_not_b32_e32 v31, v31
	v_add_u32_e32 v33, 1, v22
	v_add_u32_e32 v46, 1, v43
	v_sub_u32_e32 v39, v35, v41
	v_cmp_le_u32_e32 vcc, s15, v32
	v_add_u32_e32 v34, 2, v22
	v_mul_lo_u32 v31, s15, v31
	v_mul_hi_u32 v33, v33, v24
	v_sub_u32_e32 v40, v35, v40
	v_cndmask_b32_e32 v43, v43, v46, vcc
	v_cndmask_b32_e32 v32, v32, v38, vcc
	v_add_u32_e32 v38, 1, v39
	v_add_u32_e32 v36, 3, v22
	v_mul_hi_u32 v41, v34, v24
	v_sub_u32_e32 v37, v35, v37
	v_add_u32_e32 v39, 1, v33
	v_add3_u32 v45, v45, v35, 1
	v_add_u32_e32 v40, 2, v40
	v_add3_u32 v44, v44, v35, 2
	v_add3_u32 v31, v31, v35, 3
	v_add_u32_e32 v35, 1, v43
	v_cmp_le_u32_e32 vcc, s15, v38
	v_cmp_le_u32_e64 s[4:5], s15, v32
	v_mul_hi_u32 v42, v36, v24
	v_add_u32_e32 v46, 1, v41
	v_add_u32_e32 v37, 3, v37
	v_cndmask_b32_e32 v39, v33, v39, vcc
	v_cmp_le_u32_e64 s[0:1], s15, v40
	v_cndmask_b32_e64 v43, v43, v35, s[4:5]
	v_cndmask_b32_e32 v35, v38, v45, vcc
	v_add_u32_e32 v47, 1, v42
	v_cndmask_b32_e64 v41, v41, v46, s[0:1]
	v_cmp_le_u32_e64 s[2:3], s15, v37
	v_add_u32_e32 v38, 1, v39
	v_cndmask_b32_e64 v40, v40, v44, s[0:1]
	v_cmp_le_u32_e32 vcc, s15, v35
	v_cndmask_b32_e64 v42, v42, v47, s[2:3]
	v_add_u32_e32 v44, 1, v41
	v_cndmask_b32_e64 v31, v37, v31, s[2:3]
	v_cndmask_b32_e32 v38, v39, v38, vcc
	v_cmp_le_u32_e32 vcc, s15, v40
	v_add_u32_e32 v37, 1, v42
	v_mul_hi_u32 v45, v43, v25
	v_cndmask_b32_e32 v39, v41, v44, vcc
	v_cmp_le_u32_e32 vcc, s15, v31
	v_mad_u64_u32 v[32:33], s[0:1], s31, v43, v[22:23]
	s_nop 0
	v_cndmask_b32_e32 v31, v42, v37, vcc
	v_mul_lo_u32 v41, v45, s30
	v_mad_u64_u32 v[36:37], s[0:1], s31, v31, v[36:37]
	v_mul_lo_u32 v40, v32, s10
	v_mad_u64_u32 v[32:33], s[0:1], s31, v38, v[22:23]
	v_mul_hi_u32 v22, v38, v25
	v_sub_u32_e32 v37, v43, v41
	v_add_u32_e32 v42, 1, v45
	v_mad_u64_u32 v[34:35], s[0:1], s31, v39, v[34:35]
	v_mul_hi_u32 v33, v39, v25
	v_mul_lo_u32 v41, v22, s30
	v_cmp_le_u32_e32 vcc, s30, v37
	v_mul_hi_u32 v35, v31, v25
	v_mul_lo_u32 v46, v33, s30
	v_cndmask_b32_e32 v42, v45, v42, vcc
	v_subrev_u32_e32 v45, s30, v37
	v_sub_u32_e32 v41, v38, v41
	v_add_u32_e32 v44, 1, v22
	v_mul_lo_u32 v48, v35, s30
	v_sub_u32_e32 v46, v39, v46
	v_cndmask_b32_e32 v37, v37, v45, vcc
	v_cmp_le_u32_e32 vcc, s30, v41
	v_add_u32_e32 v47, 1, v33
	v_sub_u32_e32 v48, v31, v48
	v_cndmask_b32_e32 v22, v22, v44, vcc
	v_subrev_u32_e32 v44, s30, v41
	v_cmp_le_u32_e64 s[0:1], s30, v46
	v_add_u32_e32 v49, 1, v35
	v_add_u32_e32 v45, 1, v42
	v_cndmask_b32_e64 v33, v33, v47, s[0:1]
	v_subrev_u32_e32 v47, s30, v46
	v_cmp_le_u32_e64 s[2:3], s30, v48
	v_cmp_le_u32_e64 s[4:5], s30, v37
	v_cndmask_b32_e32 v41, v41, v44, vcc
	v_cndmask_b32_e64 v35, v35, v49, s[2:3]
	v_subrev_u32_e32 v49, s30, v48
	v_cndmask_b32_e64 v37, v42, v45, s[4:5]
	v_add_u32_e32 v42, 1, v22
	v_cndmask_b32_e64 v44, v46, v47, s[0:1]
	v_cmp_le_u32_e32 vcc, s30, v41
	v_add_u32_e32 v45, 1, v33
	v_cndmask_b32_e64 v46, v48, v49, s[2:3]
	v_mul_lo_u32 v48, v37, s30
	v_cndmask_b32_e32 v22, v22, v42, vcc
	v_cmp_le_u32_e32 vcc, s30, v44
	v_add_u32_e32 v47, 1, v35
	v_sub_u32_e32 v41, v43, v48
	v_cndmask_b32_e32 v33, v33, v45, vcc
	v_cmp_le_u32_e32 vcc, s30, v46
	v_mul_lo_u32 v42, v22, s30
	s_add_i32 s33, s26, 1
	s_add_i32 s34, s26, 2
	s_add_i32 s35, s26, 3
	v_mul_lo_u32 v32, s10, v32
	v_mul_lo_u32 v37, v37, s8
	v_cndmask_b32_e32 v35, v35, v47, vcc
	v_mul_lo_u32 v43, v33, s30
	v_mul_lo_u32 v41, v41, s9
	v_sub_u32_e32 v38, v38, v42
	v_add_u32_e32 v32, s10, v32
	v_mul_lo_u32 v22, v22, s8
	v_mul_lo_u32 v44, v35, s30
	v_sub_u32_e32 v39, v39, v43
	v_add3_u32 v37, v40, v37, v41
	v_mul_lo_u32 v38, v38, s9
	s_set_gpr_idx_on s26, gpr_idx(DST)
	v_mov_b32_e32 v0, v37
	s_set_gpr_idx_off
	s_add_u32 s26, s26, 4
	v_mul_lo_u32 v34, v34, s10
	v_mul_lo_u32 v33, v33, s8
	v_sub_u32_e32 v31, v31, v44
	v_mul_lo_u32 v39, v39, s9
	v_add3_u32 v22, v32, v22, v38
	s_set_gpr_idx_on s33, gpr_idx(DST)
	v_mov_b32_e32 v0, v22
	s_set_gpr_idx_off
	s_addc_u32 s27, s27, 0
	v_add_u32_e32 v30, 4, v30
	v_add_u32_e32 v29, 4, v29
	;; [unrolled: 1-line block ×4, first 2 shown]
	v_mul_lo_u32 v36, v36, s10
	v_mul_lo_u32 v35, v35, s8
	v_mul_lo_u32 v31, v31, s9
	v_add3_u32 v32, v34, v33, v39
	s_set_gpr_idx_on s34, gpr_idx(DST)
	v_mov_b32_e32 v0, v32
	s_set_gpr_idx_off
	s_cmp_eq_u32 s26, 16
	v_add3_u32 v31, v36, v35, v31
	s_set_gpr_idx_on s35, gpr_idx(DST)
	v_mov_b32_e32 v0, v31
	s_set_gpr_idx_off
	s_cbranch_scc0 .LBB111_4
; %bb.5:                                ;   in Loop: Header=BB111_3 Depth=1
	global_load_dwordx4 v[28:31], v18, s[12:13]
	v_lshl_add_u64 v[18:19], v[18:19], 0, s[22:23]
	s_add_u32 s24, s24, s22
	v_add_u32_e32 v45, 16, v18
	s_addc_u32 s25, s25, 0
	v_cmp_lt_u32_e32 vcc, s28, v45
	v_add_u32_e32 v20, s11, v0
	v_add_u32_e32 v23, s22, v23
	;; [unrolled: 1-line block ×3, first 2 shown]
	s_or_b64 s[18:19], vcc, s[18:19]
	v_add_u32_e32 v27, s22, v27
	v_add_u32_e32 v21, s11, v1
	;; [unrolled: 1-line block ×16, first 2 shown]
	s_waitcnt vmcnt(0)
	v_lshrrev_b32_e32 v45, 8, v28
	v_lshrrev_b32_e32 v46, 24, v28
	;; [unrolled: 1-line block ×8, first 2 shown]
	global_store_byte v20, v28, s[6:7]
	global_store_byte v21, v45, s[6:7]
	global_store_byte_d16_hi v22, v28, s[6:7]
	global_store_byte v32, v46, s[6:7]
	global_store_byte v33, v29, s[6:7]
	global_store_byte v34, v47, s[6:7]
	global_store_byte_d16_hi v35, v29, s[6:7]
	global_store_byte v36, v48, s[6:7]
	;; [unrolled: 4-line block ×4, first 2 shown]
	s_andn2_b64 exec, exec, s[18:19]
	s_cbranch_execnz .LBB111_3
; %bb.6:
	s_or_b64 exec, exec, s[18:19]
	v_mov_b32_e32 v16, v18
.LBB111_7:
	s_or_b64 exec, exec, s[20:21]
	v_cmp_gt_u32_e32 vcc, s28, v16
	s_and_b64 exec, exec, vcc
	s_cbranch_execz .LBB111_10
; %bb.8:
	s_cmp_eq_u32 s14, 2
	s_cselect_b32 s4, s29, s17
	v_cvt_f32_u32_e32 v0, s4
	s_cmp_eq_u32 s14, 1
	s_cselect_b32 s5, s29, s16
	v_cvt_f32_u32_e32 v2, s5
	v_rcp_iflag_f32_e32 v0, v0
	s_sub_i32 s0, 0, s4
	s_sub_i32 s1, 0, s5
	v_rcp_iflag_f32_e32 v2, v2
	v_mul_f32_e32 v0, 0x4f7ffffe, v0
	v_cvt_u32_f32_e32 v0, v0
	v_mov_b32_e32 v1, 0
	v_mul_f32_e32 v2, 0x4f7ffffe, v2
	v_cvt_u32_f32_e32 v2, v2
	v_mul_lo_u32 v3, s0, v0
	v_mul_hi_u32 v3, v0, v3
	v_add_u32_e32 v0, v0, v3
	v_mul_lo_u32 v3, s1, v2
	v_mul_hi_u32 v3, v2, v3
	v_add_u32_e32 v4, v2, v3
	v_mov_b32_e32 v17, v1
	v_mad_u64_u32 v[2:3], s[0:1], v16, v0, 0
	s_mov_b64 s[2:3], 0
.LBB111_9:                              ; =>This Inner Loop Header: Depth=1
	v_lshl_add_u64 v[6:7], s[12:13], 0, v[16:17]
	global_load_ubyte v5, v[6:7], off
	v_mul_lo_u32 v6, s4, v3
	v_not_b32_e32 v7, v3
	v_sub_u32_e32 v9, v16, v6
	v_add_u32_e32 v8, 1, v3
	v_mad_u64_u32 v[6:7], s[0:1], s4, v7, v[16:17]
	v_cmp_le_u32_e32 vcc, s4, v9
	s_nop 1
	v_cndmask_b32_e32 v7, v3, v8, vcc
	v_cndmask_b32_e32 v6, v9, v6, vcc
	v_add_u32_e32 v8, 1, v7
	v_cmp_le_u32_e32 vcc, s4, v6
	v_lshl_add_u64 v[2:3], v[2:3], 0, v[0:1]
	s_nop 0
	v_cndmask_b32_e32 v7, v7, v8, vcc
	v_mul_hi_u32 v6, v7, v4
	v_mul_lo_u32 v9, v6, s5
	v_sub_u32_e32 v9, v7, v9
	v_mul_lo_u32 v8, v7, s4
	v_add_u32_e32 v10, 1, v6
	v_cmp_le_u32_e64 s[0:1], s5, v9
	v_sub_u32_e32 v8, v16, v8
	v_lshl_add_u64 v[16:17], v[16:17], 0, 1
	v_cndmask_b32_e64 v6, v6, v10, s[0:1]
	v_subrev_u32_e32 v10, s5, v9
	v_cmp_le_u32_e32 vcc, s28, v16
	v_cndmask_b32_e64 v9, v9, v10, s[0:1]
	s_or_b64 s[2:3], vcc, s[2:3]
	v_add_u32_e32 v10, 1, v6
	v_cmp_le_u32_e32 vcc, s5, v9
	s_nop 1
	v_cndmask_b32_e32 v6, v6, v10, vcc
	v_mul_lo_u32 v9, v6, s5
	v_mul_lo_u32 v6, v6, s8
	v_sub_u32_e32 v9, v7, v9
	v_mad_u64_u32 v[6:7], s[0:1], v8, s10, v[6:7]
	v_mul_lo_u32 v7, v9, s9
	v_add3_u32 v6, v6, v7, s11
	s_waitcnt vmcnt(0)
	global_store_byte v6, v5, s[6:7]
	s_andn2_b64 exec, exec, s[2:3]
	s_cbranch_execnz .LBB111_9
.LBB111_10:
	s_endpgm
	.section	.rodata,"a",@progbits
	.p2align	6, 0x0
	.amdhsa_kernel _ZN2at6native12_GLOBAL__N_135CatArrayBatchedCopy_alignedK_contigINS1_10OpaqueTypeILj1EEEjLi3ELi64ELi64ELi16EEEvPT_NS1_25CatArrInputTensorMetadataIS5_T0_XT2_EXT3_EEENS1_16TensorSizeStrideIS8_Lj4EEEiS8_
		.amdhsa_group_segment_fixed_size 0
		.amdhsa_private_segment_fixed_size 0
		.amdhsa_kernarg_size 3696
		.amdhsa_user_sgpr_count 2
		.amdhsa_user_sgpr_dispatch_ptr 0
		.amdhsa_user_sgpr_queue_ptr 0
		.amdhsa_user_sgpr_kernarg_segment_ptr 1
		.amdhsa_user_sgpr_dispatch_id 0
		.amdhsa_user_sgpr_kernarg_preload_length 0
		.amdhsa_user_sgpr_kernarg_preload_offset 0
		.amdhsa_user_sgpr_private_segment_size 0
		.amdhsa_uses_dynamic_stack 0
		.amdhsa_enable_private_segment 0
		.amdhsa_system_sgpr_workgroup_id_x 1
		.amdhsa_system_sgpr_workgroup_id_y 1
		.amdhsa_system_sgpr_workgroup_id_z 0
		.amdhsa_system_sgpr_workgroup_info 0
		.amdhsa_system_vgpr_workitem_id 0
		.amdhsa_next_free_vgpr 53
		.amdhsa_next_free_sgpr 36
		.amdhsa_accum_offset 56
		.amdhsa_reserve_vcc 1
		.amdhsa_float_round_mode_32 0
		.amdhsa_float_round_mode_16_64 0
		.amdhsa_float_denorm_mode_32 3
		.amdhsa_float_denorm_mode_16_64 3
		.amdhsa_dx10_clamp 1
		.amdhsa_ieee_mode 1
		.amdhsa_fp16_overflow 0
		.amdhsa_tg_split 0
		.amdhsa_exception_fp_ieee_invalid_op 0
		.amdhsa_exception_fp_denorm_src 0
		.amdhsa_exception_fp_ieee_div_zero 0
		.amdhsa_exception_fp_ieee_overflow 0
		.amdhsa_exception_fp_ieee_underflow 0
		.amdhsa_exception_fp_ieee_inexact 0
		.amdhsa_exception_int_div_zero 0
	.end_amdhsa_kernel
	.section	.text._ZN2at6native12_GLOBAL__N_135CatArrayBatchedCopy_alignedK_contigINS1_10OpaqueTypeILj1EEEjLi3ELi64ELi64ELi16EEEvPT_NS1_25CatArrInputTensorMetadataIS5_T0_XT2_EXT3_EEENS1_16TensorSizeStrideIS8_Lj4EEEiS8_,"axG",@progbits,_ZN2at6native12_GLOBAL__N_135CatArrayBatchedCopy_alignedK_contigINS1_10OpaqueTypeILj1EEEjLi3ELi64ELi64ELi16EEEvPT_NS1_25CatArrInputTensorMetadataIS5_T0_XT2_EXT3_EEENS1_16TensorSizeStrideIS8_Lj4EEEiS8_,comdat
.Lfunc_end111:
	.size	_ZN2at6native12_GLOBAL__N_135CatArrayBatchedCopy_alignedK_contigINS1_10OpaqueTypeILj1EEEjLi3ELi64ELi64ELi16EEEvPT_NS1_25CatArrInputTensorMetadataIS5_T0_XT2_EXT3_EEENS1_16TensorSizeStrideIS8_Lj4EEEiS8_, .Lfunc_end111-_ZN2at6native12_GLOBAL__N_135CatArrayBatchedCopy_alignedK_contigINS1_10OpaqueTypeILj1EEEjLi3ELi64ELi64ELi16EEEvPT_NS1_25CatArrInputTensorMetadataIS5_T0_XT2_EXT3_EEENS1_16TensorSizeStrideIS8_Lj4EEEiS8_
                                        ; -- End function
	.set _ZN2at6native12_GLOBAL__N_135CatArrayBatchedCopy_alignedK_contigINS1_10OpaqueTypeILj1EEEjLi3ELi64ELi64ELi16EEEvPT_NS1_25CatArrInputTensorMetadataIS5_T0_XT2_EXT3_EEENS1_16TensorSizeStrideIS8_Lj4EEEiS8_.num_vgpr, 53
	.set _ZN2at6native12_GLOBAL__N_135CatArrayBatchedCopy_alignedK_contigINS1_10OpaqueTypeILj1EEEjLi3ELi64ELi64ELi16EEEvPT_NS1_25CatArrInputTensorMetadataIS5_T0_XT2_EXT3_EEENS1_16TensorSizeStrideIS8_Lj4EEEiS8_.num_agpr, 0
	.set _ZN2at6native12_GLOBAL__N_135CatArrayBatchedCopy_alignedK_contigINS1_10OpaqueTypeILj1EEEjLi3ELi64ELi64ELi16EEEvPT_NS1_25CatArrInputTensorMetadataIS5_T0_XT2_EXT3_EEENS1_16TensorSizeStrideIS8_Lj4EEEiS8_.numbered_sgpr, 36
	.set _ZN2at6native12_GLOBAL__N_135CatArrayBatchedCopy_alignedK_contigINS1_10OpaqueTypeILj1EEEjLi3ELi64ELi64ELi16EEEvPT_NS1_25CatArrInputTensorMetadataIS5_T0_XT2_EXT3_EEENS1_16TensorSizeStrideIS8_Lj4EEEiS8_.num_named_barrier, 0
	.set _ZN2at6native12_GLOBAL__N_135CatArrayBatchedCopy_alignedK_contigINS1_10OpaqueTypeILj1EEEjLi3ELi64ELi64ELi16EEEvPT_NS1_25CatArrInputTensorMetadataIS5_T0_XT2_EXT3_EEENS1_16TensorSizeStrideIS8_Lj4EEEiS8_.private_seg_size, 0
	.set _ZN2at6native12_GLOBAL__N_135CatArrayBatchedCopy_alignedK_contigINS1_10OpaqueTypeILj1EEEjLi3ELi64ELi64ELi16EEEvPT_NS1_25CatArrInputTensorMetadataIS5_T0_XT2_EXT3_EEENS1_16TensorSizeStrideIS8_Lj4EEEiS8_.uses_vcc, 1
	.set _ZN2at6native12_GLOBAL__N_135CatArrayBatchedCopy_alignedK_contigINS1_10OpaqueTypeILj1EEEjLi3ELi64ELi64ELi16EEEvPT_NS1_25CatArrInputTensorMetadataIS5_T0_XT2_EXT3_EEENS1_16TensorSizeStrideIS8_Lj4EEEiS8_.uses_flat_scratch, 0
	.set _ZN2at6native12_GLOBAL__N_135CatArrayBatchedCopy_alignedK_contigINS1_10OpaqueTypeILj1EEEjLi3ELi64ELi64ELi16EEEvPT_NS1_25CatArrInputTensorMetadataIS5_T0_XT2_EXT3_EEENS1_16TensorSizeStrideIS8_Lj4EEEiS8_.has_dyn_sized_stack, 0
	.set _ZN2at6native12_GLOBAL__N_135CatArrayBatchedCopy_alignedK_contigINS1_10OpaqueTypeILj1EEEjLi3ELi64ELi64ELi16EEEvPT_NS1_25CatArrInputTensorMetadataIS5_T0_XT2_EXT3_EEENS1_16TensorSizeStrideIS8_Lj4EEEiS8_.has_recursion, 0
	.set _ZN2at6native12_GLOBAL__N_135CatArrayBatchedCopy_alignedK_contigINS1_10OpaqueTypeILj1EEEjLi3ELi64ELi64ELi16EEEvPT_NS1_25CatArrInputTensorMetadataIS5_T0_XT2_EXT3_EEENS1_16TensorSizeStrideIS8_Lj4EEEiS8_.has_indirect_call, 0
	.section	.AMDGPU.csdata,"",@progbits
; Kernel info:
; codeLenInByte = 2036
; TotalNumSgprs: 42
; NumVgprs: 53
; NumAgprs: 0
; TotalNumVgprs: 53
; ScratchSize: 0
; MemoryBound: 0
; FloatMode: 240
; IeeeMode: 1
; LDSByteSize: 0 bytes/workgroup (compile time only)
; SGPRBlocks: 5
; VGPRBlocks: 6
; NumSGPRsForWavesPerEU: 42
; NumVGPRsForWavesPerEU: 53
; AccumOffset: 56
; Occupancy: 8
; WaveLimiterHint : 1
; COMPUTE_PGM_RSRC2:SCRATCH_EN: 0
; COMPUTE_PGM_RSRC2:USER_SGPR: 2
; COMPUTE_PGM_RSRC2:TRAP_HANDLER: 0
; COMPUTE_PGM_RSRC2:TGID_X_EN: 1
; COMPUTE_PGM_RSRC2:TGID_Y_EN: 1
; COMPUTE_PGM_RSRC2:TGID_Z_EN: 0
; COMPUTE_PGM_RSRC2:TIDIG_COMP_CNT: 0
; COMPUTE_PGM_RSRC3_GFX90A:ACCUM_OFFSET: 13
; COMPUTE_PGM_RSRC3_GFX90A:TG_SPLIT: 0
	.section	.text._ZN2at6native12_GLOBAL__N_135CatArrayBatchedCopy_alignedK_contigINS1_10OpaqueTypeILj1EEEjLi3ELi64ELi64ELi8EEEvPT_NS1_25CatArrInputTensorMetadataIS5_T0_XT2_EXT3_EEENS1_16TensorSizeStrideIS8_Lj4EEEiS8_,"axG",@progbits,_ZN2at6native12_GLOBAL__N_135CatArrayBatchedCopy_alignedK_contigINS1_10OpaqueTypeILj1EEEjLi3ELi64ELi64ELi8EEEvPT_NS1_25CatArrInputTensorMetadataIS5_T0_XT2_EXT3_EEENS1_16TensorSizeStrideIS8_Lj4EEEiS8_,comdat
	.globl	_ZN2at6native12_GLOBAL__N_135CatArrayBatchedCopy_alignedK_contigINS1_10OpaqueTypeILj1EEEjLi3ELi64ELi64ELi8EEEvPT_NS1_25CatArrInputTensorMetadataIS5_T0_XT2_EXT3_EEENS1_16TensorSizeStrideIS8_Lj4EEEiS8_ ; -- Begin function _ZN2at6native12_GLOBAL__N_135CatArrayBatchedCopy_alignedK_contigINS1_10OpaqueTypeILj1EEEjLi3ELi64ELi64ELi8EEEvPT_NS1_25CatArrInputTensorMetadataIS5_T0_XT2_EXT3_EEENS1_16TensorSizeStrideIS8_Lj4EEEiS8_
	.p2align	8
	.type	_ZN2at6native12_GLOBAL__N_135CatArrayBatchedCopy_alignedK_contigINS1_10OpaqueTypeILj1EEEjLi3ELi64ELi64ELi8EEEvPT_NS1_25CatArrInputTensorMetadataIS5_T0_XT2_EXT3_EEENS1_16TensorSizeStrideIS8_Lj4EEEiS8_,@function
_ZN2at6native12_GLOBAL__N_135CatArrayBatchedCopy_alignedK_contigINS1_10OpaqueTypeILj1EEEjLi3ELi64ELi64ELi8EEEvPT_NS1_25CatArrInputTensorMetadataIS5_T0_XT2_EXT3_EEENS1_16TensorSizeStrideIS8_Lj4EEEiS8_: ; @_ZN2at6native12_GLOBAL__N_135CatArrayBatchedCopy_alignedK_contigINS1_10OpaqueTypeILj1EEEjLi3ELi64ELi64ELi8EEEvPT_NS1_25CatArrInputTensorMetadataIS5_T0_XT2_EXT3_EEENS1_16TensorSizeStrideIS8_Lj4EEEiS8_
; %bb.0:
	s_mov_b32 s6, s3
	s_load_dword s3, s[0:1], 0xd7c
	s_add_u32 s4, s0, 0xd70
	s_mov_b32 s7, 0
	s_addc_u32 s5, s1, 0
	s_lshl_b64 s[6:7], s[6:7], 2
	s_waitcnt lgkmcnt(0)
	s_and_b32 s3, s3, 0xffff
	s_add_u32 s8, s0, s6
	s_addc_u32 s9, s1, s7
	s_load_dword s30, s[8:9], 0x408
	s_mul_i32 s2, s2, s3
	v_add_lshl_u32 v0, s2, v0, 3
	s_add_u32 s2, s8, 8
	s_addc_u32 s8, s9, 0
	s_waitcnt lgkmcnt(0)
	v_cmp_gt_u32_e32 vcc, s30, v0
	s_and_saveexec_b64 s[10:11], vcc
	s_cbranch_execz .LBB112_8
; %bb.1:
	s_add_u32 s10, s2, s6
	s_addc_u32 s11, s8, s7
	s_sub_u32 s2, 0, s6
	s_load_dwordx2 s[22:23], s[0:1], 0xd68
	s_load_dwordx4 s[16:19], s[0:1], 0xd58
	s_subb_u32 s7, 0, s7
	s_add_u32 s6, s10, s2
	s_addc_u32 s7, s11, s7
	s_waitcnt lgkmcnt(0)
	s_load_dword s19, s[6:7], 0x200
	s_load_dwordx2 s[14:15], s[0:1], 0x0
	s_load_dwordx2 s[24:25], s[0:1], 0xd4c
	;; [unrolled: 1-line block ×3, first 2 shown]
	s_load_dword s31, s[6:7], 0x300
	v_add_u32_e32 v1, 8, v0
	s_mov_b64 s[26:27], 0
	s_waitcnt lgkmcnt(0)
	s_mul_i32 s19, s19, s23
	v_cmp_ge_u32_e32 vcc, s30, v1
	s_and_saveexec_b64 s[28:29], vcc
	s_cbranch_execz .LBB112_5
; %bb.2:
	s_load_dword s0, s[4:5], 0x0
	v_add_u32_e32 v1, 7, v0
	v_add_u32_e32 v3, 6, v0
	v_add_u32_e32 v7, 5, v0
	v_add_u32_e32 v13, 4, v0
	s_waitcnt lgkmcnt(0)
	s_mul_i32 s0, s0, s3
	s_lshl_b32 s23, s0, 3
	s_cmp_eq_u32 s22, 2
	s_cselect_b32 s33, s31, s25
	s_cmp_eq_u32 s22, 1
	v_cvt_f32_u32_e32 v2, s33
	s_cselect_b32 s34, s31, s24
	v_cvt_f32_u32_e32 v4, s34
	s_sub_i32 s35, 0, s33
	v_rcp_iflag_f32_e32 v2, v2
	s_sub_i32 s0, 0, s34
	v_rcp_iflag_f32_e32 v4, v4
	v_add_u32_e32 v15, 3, v0
	v_mul_f32_e32 v2, 0x4f7ffffe, v2
	v_cvt_u32_f32_e32 v2, v2
	v_mul_f32_e32 v4, 0x4f7ffffe, v4
	v_cvt_u32_f32_e32 v4, v4
	v_add_u32_e32 v17, 2, v0
	v_mul_lo_u32 v5, s35, v2
	v_mul_hi_u32 v5, v2, v5
	v_mul_lo_u32 v6, s0, v4
	v_add_u32_e32 v9, v2, v5
	v_mul_hi_u32 v2, v4, v6
	v_add_u32_e32 v11, v4, v2
	v_add_u32_e32 v18, 1, v0
.LBB112_3:                              ; =>This Inner Loop Header: Depth=1
	global_load_dwordx2 v[4:5], v0, s[20:21]
	v_mul_hi_u32 v19, v9, v0
	v_mul_hi_u32 v20, v9, v1
	;; [unrolled: 1-line block ×3, first 2 shown]
	v_add_u32_e32 v1, s23, v1
	v_mul_hi_u32 v21, v9, v3
	v_mul_hi_u32 v24, v9, v15
	v_mul_hi_u32 v25, v9, v17
	v_add_u32_e32 v8, 1, v0
	v_add_u32_e32 v2, 2, v0
	;; [unrolled: 1-line block ×7, first 2 shown]
	v_not_b32_e32 v36, v19
	v_not_b32_e32 v38, v26
	v_mad_u64_u32 v[28:29], s[0:1], s35, v19, v[0:1]
	v_mul_hi_u32 v22, v9, v7
	v_mul_hi_u32 v23, v9, v13
	v_add_u32_e32 v6, 3, v0
	v_add_u32_e32 v7, s23, v7
	v_not_b32_e32 v40, v20
	v_not_b32_e32 v41, v21
	;; [unrolled: 1-line block ×3, first 2 shown]
	v_add_u32_e32 v29, 1, v19
	v_mad_u64_u32 v[26:27], s[0:1], s35, v26, v[8:9]
	v_mul_hi_u32 v47, v2, v9
	v_mad_u64_u32 v[30:31], s[0:1], s35, v25, v[2:3]
	v_mad_u64_u32 v[34:35], s[0:1], s35, v21, v[14:15]
	;; [unrolled: 1-line block ×3, first 2 shown]
	v_cmp_le_u32_e32 vcc, s33, v28
	v_mad_u64_u32 v[36:37], s[0:1], s33, v36, v[0:1]
	v_mad_u64_u32 v[38:39], s[0:1], s33, v38, v[8:9]
	v_add_u32_e32 v10, 4, v0
	v_add_u32_e32 v12, 5, v0
	;; [unrolled: 1-line block ×3, first 2 shown]
	v_not_b32_e32 v42, v22
	v_not_b32_e32 v43, v23
	;; [unrolled: 1-line block ×3, first 2 shown]
	v_mul_hi_u32 v46, v8, v9
	v_mul_hi_u32 v31, v6, v9
	v_mad_u64_u32 v[24:25], s[0:1], s35, v24, v[6:7]
	v_cndmask_b32_e32 v19, v19, v29, vcc
	v_cndmask_b32_e32 v21, v28, v36, vcc
	v_add_u32_e32 v39, 1, v47
	v_cmp_le_u32_e32 vcc, s33, v26
	v_mad_u64_u32 v[36:37], s[0:1], s33, v44, v[6:7]
	v_cmp_le_u32_e64 s[2:3], s33, v30
	v_mul_hi_u32 v25, v10, v9
	v_mad_u64_u32 v[32:33], s[0:1], s35, v23, v[10:11]
	v_add_u32_e32 v8, 1, v46
	v_mad_u64_u32 v[28:29], s[0:1], s33, v45, v[2:3]
	v_add_u32_e32 v45, 1, v31
	v_cndmask_b32_e32 v37, v26, v38, vcc
	v_mad_u64_u32 v[26:27], s[0:1], s33, v43, v[10:11]
	v_cndmask_b32_e64 v43, v47, v39, s[2:3]
	v_mad_u64_u32 v[38:39], s[4:5], s33, v42, v[12:13]
	v_cmp_le_u32_e64 s[6:7], s33, v24
	v_cndmask_b32_e32 v8, v46, v8, vcc
	v_add_u32_e32 v44, 1, v25
	v_cmp_le_u32_e32 vcc, s33, v32
	v_cndmask_b32_e64 v39, v30, v28, s[2:3]
	v_mad_u64_u32 v[28:29], s[4:5], s33, v41, v[14:15]
	v_cndmask_b32_e64 v41, v31, v45, s[6:7]
	v_mad_u64_u32 v[30:31], s[8:9], s33, v40, v[16:17]
	v_mad_u64_u32 v[22:23], s[0:1], s35, v22, v[12:13]
	v_cmp_le_u32_e64 s[4:5], s33, v20
	v_add_u32_e32 v31, 1, v19
	v_cndmask_b32_e32 v25, v25, v44, vcc
	v_cndmask_b32_e32 v26, v32, v26, vcc
	v_cmp_le_u32_e32 vcc, s33, v21
	v_mul_hi_u32 v23, v14, v9
	v_cndmask_b32_e64 v20, v20, v30, s[4:5]
	v_cndmask_b32_e32 v19, v19, v31, vcc
	v_mul_hi_u32 v33, v12, v9
	v_mul_hi_u32 v35, v16, v9
	v_cmp_le_u32_e64 s[0:1], s33, v22
	v_add_u32_e32 v42, 1, v23
	v_cmp_le_u32_e64 s[2:3], s33, v34
	v_cmp_le_u32_e64 s[10:11], s33, v20
	v_mad_u64_u32 v[20:21], s[12:13], s35, v19, v[0:1]
	v_add_u32_e32 v27, 1, v33
	v_add_u32_e32 v29, 1, v35
	v_cndmask_b32_e64 v24, v24, v36, s[6:7]
	v_cndmask_b32_e64 v22, v22, v38, s[0:1]
	;; [unrolled: 1-line block ×4, first 2 shown]
	v_add_u32_e32 v30, 1, v8
	v_cmp_le_u32_e32 vcc, s33, v37
	v_mul_hi_u32 v21, v19, v11
	v_cndmask_b32_e64 v27, v33, v27, s[0:1]
	v_cndmask_b32_e64 v29, v35, v29, s[4:5]
	v_add_u32_e32 v31, 1, v43
	v_cmp_le_u32_e64 s[0:1], s33, v39
	v_add_u32_e32 v32, 1, v41
	v_cmp_le_u32_e64 s[2:3], s33, v24
	v_cmp_le_u32_e64 s[6:7], s33, v22
	v_add_u32_e32 v22, 1, v23
	v_cmp_le_u32_e64 s[8:9], s33, v28
	v_cndmask_b32_e32 v36, v8, v30, vcc
	v_mul_lo_u32 v8, v21, s34
	v_add_u32_e32 v24, 1, v25
	v_cmp_le_u32_e64 s[4:5], s33, v26
	v_add_u32_e32 v26, 1, v27
	v_add_u32_e32 v28, 1, v29
	v_cndmask_b32_e64 v37, v43, v31, s[0:1]
	v_cndmask_b32_e64 v38, v41, v32, s[2:3]
	;; [unrolled: 1-line block ×3, first 2 shown]
	v_mad_u64_u32 v[22:23], s[0:1], s35, v36, v[0:1]
	v_sub_u32_e32 v8, v19, v8
	v_cndmask_b32_e64 v39, v25, v24, s[4:5]
	v_cndmask_b32_e64 v40, v27, v26, s[6:7]
	;; [unrolled: 1-line block ×3, first 2 shown]
	v_add_u32_e32 v43, 1, v21
	v_mul_hi_u32 v23, v36, v11
	v_mad_u64_u32 v[24:25], s[0:1], s35, v37, v[2:3]
	v_add_u32_e32 v0, s23, v0
	v_cmp_le_u32_e32 vcc, s34, v8
	v_mul_hi_u32 v2, v37, v11
	v_mad_u64_u32 v[26:27], s[0:1], s35, v38, v[6:7]
	v_mad_u64_u32 v[28:29], s[0:1], s35, v39, v[10:11]
	;; [unrolled: 1-line block ×5, first 2 shown]
	v_mul_lo_u32 v25, v23, s34
	v_cndmask_b32_e32 v21, v21, v43, vcc
	v_add_u32_e32 v43, 8, v0
	v_mul_hi_u32 v6, v38, v11
	v_mul_hi_u32 v10, v39, v11
	;; [unrolled: 1-line block ×5, first 2 shown]
	v_mul_lo_u32 v29, v2, s34
	v_cmp_lt_u32_e64 s[0:1], s30, v43
	v_subrev_u32_e32 v43, s34, v8
	v_sub_u32_e32 v25, v36, v25
	v_add_u32_e32 v27, 1, v23
	v_mul_lo_u32 v33, v6, s34
	v_mul_lo_u32 v44, v10, s34
	;; [unrolled: 1-line block ×5, first 2 shown]
	v_sub_u32_e32 v29, v37, v29
	v_cndmask_b32_e32 v8, v8, v43, vcc
	v_cmp_le_u32_e32 vcc, s34, v25
	v_add_u32_e32 v31, 1, v2
	v_sub_u32_e32 v33, v38, v33
	v_sub_u32_e32 v44, v39, v44
	;; [unrolled: 1-line block ×5, first 2 shown]
	v_add_u32_e32 v43, 1, v21
	v_cndmask_b32_e32 v23, v23, v27, vcc
	v_subrev_u32_e32 v27, s34, v25
	v_cmp_le_u32_e64 s[2:3], s34, v29
	s_or_b64 s[26:27], s[0:1], s[26:27]
	v_cmp_le_u32_e64 s[0:1], s34, v8
	v_add_u32_e32 v35, 1, v6
	v_add_u32_e32 v45, 1, v10
	;; [unrolled: 1-line block ×5, first 2 shown]
	v_cndmask_b32_e64 v31, v2, v31, s[2:3]
	v_subrev_u32_e32 v2, s34, v29
	v_cmp_le_u32_e64 s[4:5], s34, v33
	v_cmp_le_u32_e64 s[6:7], s34, v44
	;; [unrolled: 1-line block ×5, first 2 shown]
	v_cndmask_b32_e64 v8, v21, v43, s[0:1]
	v_cndmask_b32_e32 v21, v25, v27, vcc
	v_cndmask_b32_e64 v6, v6, v35, s[4:5]
	v_subrev_u32_e32 v35, s34, v33
	v_cndmask_b32_e64 v10, v10, v45, s[6:7]
	v_subrev_u32_e32 v45, s34, v44
	;; [unrolled: 2-line block ×5, first 2 shown]
	v_add_u32_e32 v25, 1, v23
	v_cndmask_b32_e64 v27, v29, v2, s[2:3]
	v_cmp_le_u32_e32 vcc, s34, v21
	v_add_u32_e32 v29, 1, v31
	v_cndmask_b32_e64 v33, v33, v35, s[4:5]
	v_cndmask_b32_e64 v43, v44, v45, s[6:7]
	v_cndmask_b32_e64 v45, v46, v47, s[8:9]
	v_cndmask_b32_e64 v47, v48, v49, s[10:11]
	v_cndmask_b32_e64 v49, v50, v51, s[12:13]
	v_mul_lo_u32 v51, v8, s34
	v_mul_lo_u32 v2, v8, s16
	v_cndmask_b32_e32 v8, v23, v25, vcc
	v_cmp_le_u32_e32 vcc, s34, v27
	v_add_u32_e32 v35, 1, v6
	v_add_u32_e32 v44, 1, v10
	v_cndmask_b32_e32 v23, v31, v29, vcc
	v_cmp_le_u32_e32 vcc, s34, v33
	v_add_u32_e32 v46, 1, v12
	v_add_u32_e32 v48, 1, v14
	v_cndmask_b32_e32 v6, v6, v35, vcc
	v_cmp_le_u32_e32 vcc, s34, v43
	v_add_u32_e32 v50, 1, v16
	v_mad_u64_u32 v[20:21], s[0:1], v20, s18, v[2:3]
	v_cndmask_b32_e32 v10, v10, v44, vcc
	v_cmp_le_u32_e32 vcc, s34, v45
	v_mul_lo_u32 v22, s18, v22
	v_sub_u32_e32 v19, v19, v51
	v_cndmask_b32_e32 v12, v12, v46, vcc
	v_cmp_le_u32_e32 vcc, s34, v47
	v_mul_lo_u32 v21, v8, s34
	v_mul_lo_u32 v25, v8, s16
	v_cndmask_b32_e32 v14, v14, v48, vcc
	v_cmp_le_u32_e32 vcc, s34, v49
	v_mul_lo_u32 v27, v23, s34
	v_mul_lo_u32 v2, v23, s16
	v_cndmask_b32_e32 v16, v16, v50, vcc
	v_mul_lo_u32 v29, v6, s34
	v_mul_lo_u32 v6, v6, s16
	;; [unrolled: 1-line block ×11, first 2 shown]
	v_sub_u32_e32 v19, v36, v21
	v_add3_u32 v21, v22, s18, v25
	v_sub_u32_e32 v36, v37, v27
	v_mad_u64_u32 v[22:23], s[0:1], v24, s18, v[2:3]
	v_sub_u32_e32 v2, v38, v29
	v_mad_u64_u32 v[24:25], s[0:1], v26, s18, v[6:7]
	;; [unrolled: 2-line block ×5, first 2 shown]
	v_sub_u32_e32 v12, v42, v43
	v_add_u32_e32 v18, s23, v18
	v_mad_u64_u32 v[32:33], s[0:1], v34, s18, v[14:15]
	v_mul_lo_u32 v14, v19, s17
	v_mul_lo_u32 v19, v36, s17
	;; [unrolled: 1-line block ×7, first 2 shown]
	v_add3_u32 v16, v20, v16, s19
	v_add3_u32 v14, v21, v14, s19
	;; [unrolled: 1-line block ×8, first 2 shown]
	s_waitcnt vmcnt(0)
	v_lshrrev_b32_e32 v20, 8, v4
	v_lshrrev_b32_e32 v21, 24, v4
	;; [unrolled: 1-line block ×4, first 2 shown]
	global_store_byte v16, v4, s[14:15]
	global_store_byte v14, v20, s[14:15]
	global_store_byte_d16_hi v19, v4, s[14:15]
	global_store_byte v2, v21, s[14:15]
	global_store_byte v6, v5, s[14:15]
	;; [unrolled: 1-line block ×3, first 2 shown]
	global_store_byte_d16_hi v10, v5, s[14:15]
	global_store_byte v12, v23, s[14:15]
	s_andn2_b64 exec, exec, s[26:27]
	s_cbranch_execnz .LBB112_3
; %bb.4:
	s_or_b64 exec, exec, s[26:27]
.LBB112_5:
	s_or_b64 exec, exec, s[28:29]
	v_cmp_gt_u32_e32 vcc, s30, v0
	s_and_b64 exec, exec, vcc
	s_cbranch_execz .LBB112_8
; %bb.6:
	s_cmp_eq_u32 s22, 2
	s_cselect_b32 s4, s31, s25
	v_cvt_f32_u32_e32 v1, s4
	s_cmp_eq_u32 s22, 1
	s_cselect_b32 s5, s31, s24
	v_cvt_f32_u32_e32 v2, s5
	v_rcp_iflag_f32_e32 v1, v1
	s_sub_i32 s0, 0, s4
	s_sub_i32 s1, 0, s5
	v_rcp_iflag_f32_e32 v2, v2
	v_mul_f32_e32 v1, 0x4f7ffffe, v1
	v_cvt_u32_f32_e32 v1, v1
	v_mov_b32_e32 v3, 0
	v_mul_f32_e32 v2, 0x4f7ffffe, v2
	v_cvt_u32_f32_e32 v4, v2
	v_mul_lo_u32 v2, s0, v1
	v_mul_hi_u32 v2, v1, v2
	v_add_u32_e32 v2, v1, v2
	v_mul_lo_u32 v1, s1, v4
	v_mul_hi_u32 v1, v4, v1
	v_add_u32_e32 v6, v4, v1
	v_mov_b32_e32 v1, v3
	v_mad_u64_u32 v[4:5], s[0:1], v0, v2, 0
	s_mov_b64 s[2:3], 0
.LBB112_7:                              ; =>This Inner Loop Header: Depth=1
	v_lshl_add_u64 v[8:9], s[20:21], 0, v[0:1]
	global_load_ubyte v7, v[8:9], off
	v_mul_lo_u32 v8, s4, v5
	v_not_b32_e32 v9, v5
	v_sub_u32_e32 v11, v0, v8
	v_add_u32_e32 v10, 1, v5
	v_mad_u64_u32 v[8:9], s[0:1], s4, v9, v[0:1]
	v_cmp_le_u32_e32 vcc, s4, v11
	s_nop 1
	v_cndmask_b32_e32 v9, v5, v10, vcc
	v_cndmask_b32_e32 v8, v11, v8, vcc
	v_add_u32_e32 v10, 1, v9
	v_cmp_le_u32_e32 vcc, s4, v8
	v_lshl_add_u64 v[4:5], v[4:5], 0, v[2:3]
	s_nop 0
	v_cndmask_b32_e32 v9, v9, v10, vcc
	v_mul_hi_u32 v8, v9, v6
	v_mul_lo_u32 v11, v8, s5
	v_sub_u32_e32 v11, v9, v11
	v_mul_lo_u32 v10, v9, s4
	v_add_u32_e32 v12, 1, v8
	v_cmp_le_u32_e64 s[0:1], s5, v11
	v_sub_u32_e32 v10, v0, v10
	v_lshl_add_u64 v[0:1], v[0:1], 0, 1
	v_cndmask_b32_e64 v8, v8, v12, s[0:1]
	v_subrev_u32_e32 v12, s5, v11
	v_cmp_le_u32_e32 vcc, s30, v0
	v_cndmask_b32_e64 v11, v11, v12, s[0:1]
	s_or_b64 s[2:3], vcc, s[2:3]
	v_add_u32_e32 v12, 1, v8
	v_cmp_le_u32_e32 vcc, s5, v11
	s_nop 1
	v_cndmask_b32_e32 v8, v8, v12, vcc
	v_mul_lo_u32 v11, v8, s5
	v_mul_lo_u32 v8, v8, s16
	v_sub_u32_e32 v11, v9, v11
	v_mad_u64_u32 v[8:9], s[0:1], v10, s18, v[8:9]
	v_mul_lo_u32 v9, v11, s17
	v_add3_u32 v8, v8, v9, s19
	s_waitcnt vmcnt(0)
	global_store_byte v8, v7, s[14:15]
	s_andn2_b64 exec, exec, s[2:3]
	s_cbranch_execnz .LBB112_7
.LBB112_8:
	s_endpgm
	.section	.rodata,"a",@progbits
	.p2align	6, 0x0
	.amdhsa_kernel _ZN2at6native12_GLOBAL__N_135CatArrayBatchedCopy_alignedK_contigINS1_10OpaqueTypeILj1EEEjLi3ELi64ELi64ELi8EEEvPT_NS1_25CatArrInputTensorMetadataIS5_T0_XT2_EXT3_EEENS1_16TensorSizeStrideIS8_Lj4EEEiS8_
		.amdhsa_group_segment_fixed_size 0
		.amdhsa_private_segment_fixed_size 0
		.amdhsa_kernarg_size 3696
		.amdhsa_user_sgpr_count 2
		.amdhsa_user_sgpr_dispatch_ptr 0
		.amdhsa_user_sgpr_queue_ptr 0
		.amdhsa_user_sgpr_kernarg_segment_ptr 1
		.amdhsa_user_sgpr_dispatch_id 0
		.amdhsa_user_sgpr_kernarg_preload_length 0
		.amdhsa_user_sgpr_kernarg_preload_offset 0
		.amdhsa_user_sgpr_private_segment_size 0
		.amdhsa_uses_dynamic_stack 0
		.amdhsa_enable_private_segment 0
		.amdhsa_system_sgpr_workgroup_id_x 1
		.amdhsa_system_sgpr_workgroup_id_y 1
		.amdhsa_system_sgpr_workgroup_id_z 0
		.amdhsa_system_sgpr_workgroup_info 0
		.amdhsa_system_vgpr_workitem_id 0
		.amdhsa_next_free_vgpr 52
		.amdhsa_next_free_sgpr 36
		.amdhsa_accum_offset 52
		.amdhsa_reserve_vcc 1
		.amdhsa_float_round_mode_32 0
		.amdhsa_float_round_mode_16_64 0
		.amdhsa_float_denorm_mode_32 3
		.amdhsa_float_denorm_mode_16_64 3
		.amdhsa_dx10_clamp 1
		.amdhsa_ieee_mode 1
		.amdhsa_fp16_overflow 0
		.amdhsa_tg_split 0
		.amdhsa_exception_fp_ieee_invalid_op 0
		.amdhsa_exception_fp_denorm_src 0
		.amdhsa_exception_fp_ieee_div_zero 0
		.amdhsa_exception_fp_ieee_overflow 0
		.amdhsa_exception_fp_ieee_underflow 0
		.amdhsa_exception_fp_ieee_inexact 0
		.amdhsa_exception_int_div_zero 0
	.end_amdhsa_kernel
	.section	.text._ZN2at6native12_GLOBAL__N_135CatArrayBatchedCopy_alignedK_contigINS1_10OpaqueTypeILj1EEEjLi3ELi64ELi64ELi8EEEvPT_NS1_25CatArrInputTensorMetadataIS5_T0_XT2_EXT3_EEENS1_16TensorSizeStrideIS8_Lj4EEEiS8_,"axG",@progbits,_ZN2at6native12_GLOBAL__N_135CatArrayBatchedCopy_alignedK_contigINS1_10OpaqueTypeILj1EEEjLi3ELi64ELi64ELi8EEEvPT_NS1_25CatArrInputTensorMetadataIS5_T0_XT2_EXT3_EEENS1_16TensorSizeStrideIS8_Lj4EEEiS8_,comdat
.Lfunc_end112:
	.size	_ZN2at6native12_GLOBAL__N_135CatArrayBatchedCopy_alignedK_contigINS1_10OpaqueTypeILj1EEEjLi3ELi64ELi64ELi8EEEvPT_NS1_25CatArrInputTensorMetadataIS5_T0_XT2_EXT3_EEENS1_16TensorSizeStrideIS8_Lj4EEEiS8_, .Lfunc_end112-_ZN2at6native12_GLOBAL__N_135CatArrayBatchedCopy_alignedK_contigINS1_10OpaqueTypeILj1EEEjLi3ELi64ELi64ELi8EEEvPT_NS1_25CatArrInputTensorMetadataIS5_T0_XT2_EXT3_EEENS1_16TensorSizeStrideIS8_Lj4EEEiS8_
                                        ; -- End function
	.set _ZN2at6native12_GLOBAL__N_135CatArrayBatchedCopy_alignedK_contigINS1_10OpaqueTypeILj1EEEjLi3ELi64ELi64ELi8EEEvPT_NS1_25CatArrInputTensorMetadataIS5_T0_XT2_EXT3_EEENS1_16TensorSizeStrideIS8_Lj4EEEiS8_.num_vgpr, 52
	.set _ZN2at6native12_GLOBAL__N_135CatArrayBatchedCopy_alignedK_contigINS1_10OpaqueTypeILj1EEEjLi3ELi64ELi64ELi8EEEvPT_NS1_25CatArrInputTensorMetadataIS5_T0_XT2_EXT3_EEENS1_16TensorSizeStrideIS8_Lj4EEEiS8_.num_agpr, 0
	.set _ZN2at6native12_GLOBAL__N_135CatArrayBatchedCopy_alignedK_contigINS1_10OpaqueTypeILj1EEEjLi3ELi64ELi64ELi8EEEvPT_NS1_25CatArrInputTensorMetadataIS5_T0_XT2_EXT3_EEENS1_16TensorSizeStrideIS8_Lj4EEEiS8_.numbered_sgpr, 36
	.set _ZN2at6native12_GLOBAL__N_135CatArrayBatchedCopy_alignedK_contigINS1_10OpaqueTypeILj1EEEjLi3ELi64ELi64ELi8EEEvPT_NS1_25CatArrInputTensorMetadataIS5_T0_XT2_EXT3_EEENS1_16TensorSizeStrideIS8_Lj4EEEiS8_.num_named_barrier, 0
	.set _ZN2at6native12_GLOBAL__N_135CatArrayBatchedCopy_alignedK_contigINS1_10OpaqueTypeILj1EEEjLi3ELi64ELi64ELi8EEEvPT_NS1_25CatArrInputTensorMetadataIS5_T0_XT2_EXT3_EEENS1_16TensorSizeStrideIS8_Lj4EEEiS8_.private_seg_size, 0
	.set _ZN2at6native12_GLOBAL__N_135CatArrayBatchedCopy_alignedK_contigINS1_10OpaqueTypeILj1EEEjLi3ELi64ELi64ELi8EEEvPT_NS1_25CatArrInputTensorMetadataIS5_T0_XT2_EXT3_EEENS1_16TensorSizeStrideIS8_Lj4EEEiS8_.uses_vcc, 1
	.set _ZN2at6native12_GLOBAL__N_135CatArrayBatchedCopy_alignedK_contigINS1_10OpaqueTypeILj1EEEjLi3ELi64ELi64ELi8EEEvPT_NS1_25CatArrInputTensorMetadataIS5_T0_XT2_EXT3_EEENS1_16TensorSizeStrideIS8_Lj4EEEiS8_.uses_flat_scratch, 0
	.set _ZN2at6native12_GLOBAL__N_135CatArrayBatchedCopy_alignedK_contigINS1_10OpaqueTypeILj1EEEjLi3ELi64ELi64ELi8EEEvPT_NS1_25CatArrInputTensorMetadataIS5_T0_XT2_EXT3_EEENS1_16TensorSizeStrideIS8_Lj4EEEiS8_.has_dyn_sized_stack, 0
	.set _ZN2at6native12_GLOBAL__N_135CatArrayBatchedCopy_alignedK_contigINS1_10OpaqueTypeILj1EEEjLi3ELi64ELi64ELi8EEEvPT_NS1_25CatArrInputTensorMetadataIS5_T0_XT2_EXT3_EEENS1_16TensorSizeStrideIS8_Lj4EEEiS8_.has_recursion, 0
	.set _ZN2at6native12_GLOBAL__N_135CatArrayBatchedCopy_alignedK_contigINS1_10OpaqueTypeILj1EEEjLi3ELi64ELi64ELi8EEEvPT_NS1_25CatArrInputTensorMetadataIS5_T0_XT2_EXT3_EEENS1_16TensorSizeStrideIS8_Lj4EEEiS8_.has_indirect_call, 0
	.section	.AMDGPU.csdata,"",@progbits
; Kernel info:
; codeLenInByte = 2460
; TotalNumSgprs: 42
; NumVgprs: 52
; NumAgprs: 0
; TotalNumVgprs: 52
; ScratchSize: 0
; MemoryBound: 0
; FloatMode: 240
; IeeeMode: 1
; LDSByteSize: 0 bytes/workgroup (compile time only)
; SGPRBlocks: 5
; VGPRBlocks: 6
; NumSGPRsForWavesPerEU: 42
; NumVGPRsForWavesPerEU: 52
; AccumOffset: 52
; Occupancy: 8
; WaveLimiterHint : 1
; COMPUTE_PGM_RSRC2:SCRATCH_EN: 0
; COMPUTE_PGM_RSRC2:USER_SGPR: 2
; COMPUTE_PGM_RSRC2:TRAP_HANDLER: 0
; COMPUTE_PGM_RSRC2:TGID_X_EN: 1
; COMPUTE_PGM_RSRC2:TGID_Y_EN: 1
; COMPUTE_PGM_RSRC2:TGID_Z_EN: 0
; COMPUTE_PGM_RSRC2:TIDIG_COMP_CNT: 0
; COMPUTE_PGM_RSRC3_GFX90A:ACCUM_OFFSET: 12
; COMPUTE_PGM_RSRC3_GFX90A:TG_SPLIT: 0
	.section	.text._ZN2at6native12_GLOBAL__N_126CatArrayBatchedCopy_contigINS1_10OpaqueTypeILj1EEEjLi3ELi64ELi64EEEvPT_NS1_25CatArrInputTensorMetadataIS5_T0_XT2_EXT3_EEENS1_16TensorSizeStrideIS8_Lj4EEEiS8_,"axG",@progbits,_ZN2at6native12_GLOBAL__N_126CatArrayBatchedCopy_contigINS1_10OpaqueTypeILj1EEEjLi3ELi64ELi64EEEvPT_NS1_25CatArrInputTensorMetadataIS5_T0_XT2_EXT3_EEENS1_16TensorSizeStrideIS8_Lj4EEEiS8_,comdat
	.globl	_ZN2at6native12_GLOBAL__N_126CatArrayBatchedCopy_contigINS1_10OpaqueTypeILj1EEEjLi3ELi64ELi64EEEvPT_NS1_25CatArrInputTensorMetadataIS5_T0_XT2_EXT3_EEENS1_16TensorSizeStrideIS8_Lj4EEEiS8_ ; -- Begin function _ZN2at6native12_GLOBAL__N_126CatArrayBatchedCopy_contigINS1_10OpaqueTypeILj1EEEjLi3ELi64ELi64EEEvPT_NS1_25CatArrInputTensorMetadataIS5_T0_XT2_EXT3_EEENS1_16TensorSizeStrideIS8_Lj4EEEiS8_
	.p2align	8
	.type	_ZN2at6native12_GLOBAL__N_126CatArrayBatchedCopy_contigINS1_10OpaqueTypeILj1EEEjLi3ELi64ELi64EEEvPT_NS1_25CatArrInputTensorMetadataIS5_T0_XT2_EXT3_EEENS1_16TensorSizeStrideIS8_Lj4EEEiS8_,@function
_ZN2at6native12_GLOBAL__N_126CatArrayBatchedCopy_contigINS1_10OpaqueTypeILj1EEEjLi3ELi64ELi64EEEvPT_NS1_25CatArrInputTensorMetadataIS5_T0_XT2_EXT3_EEENS1_16TensorSizeStrideIS8_Lj4EEEiS8_: ; @_ZN2at6native12_GLOBAL__N_126CatArrayBatchedCopy_contigINS1_10OpaqueTypeILj1EEEjLi3ELi64ELi64EEEvPT_NS1_25CatArrInputTensorMetadataIS5_T0_XT2_EXT3_EEENS1_16TensorSizeStrideIS8_Lj4EEEiS8_
; %bb.0:
	s_mov_b32 s4, s3
	s_load_dword s3, s[0:1], 0xd7c
	s_add_u32 s10, s0, 0xd70
	s_mov_b32 s5, 0
	s_addc_u32 s11, s1, 0
	s_lshl_b64 s[8:9], s[4:5], 2
	s_waitcnt lgkmcnt(0)
	s_and_b32 s15, s3, 0xffff
	s_add_u32 s4, s0, s8
	s_addc_u32 s5, s1, s9
	s_load_dword s12, s[4:5], 0x408
	s_mul_i32 s2, s2, s15
	v_add_u32_e32 v0, s2, v0
	s_add_u32 s13, s4, 8
	s_addc_u32 s14, s5, 0
	s_waitcnt lgkmcnt(0)
	v_cmp_gt_u32_e32 vcc, s12, v0
	s_and_saveexec_b64 s[2:3], vcc
	s_cbranch_execz .LBB113_3
; %bb.1:
	s_load_dwordx2 s[16:17], s[0:1], 0xd68
	s_load_dwordx4 s[4:7], s[0:1], 0xd58
	s_load_dwordx2 s[2:3], s[0:1], 0x0
	s_load_dwordx2 s[18:19], s[0:1], 0xd4c
	s_add_u32 s0, s13, s8
	s_addc_u32 s1, s14, s9
	s_waitcnt lgkmcnt(0)
	s_sub_u32 s7, 0, s8
	s_subb_u32 s8, 0, s9
	s_add_u32 s20, s0, s7
	s_addc_u32 s21, s1, s8
	s_load_dwordx2 s[8:9], s[0:1], 0x0
	s_load_dword s22, s[20:21], 0x300
	s_load_dword s23, s[20:21], 0x200
	s_cmp_eq_u32 s16, 2
	s_load_dword s0, s[10:11], 0x0
	s_mov_b32 s13, s6
	s_waitcnt lgkmcnt(0)
	s_cselect_b32 s14, s22, s19
	v_cvt_f32_u32_e32 v1, s14
	s_cmp_eq_u32 s16, 1
	s_cselect_b32 s10, s22, s18
	v_cvt_f32_u32_e32 v2, s10
	v_rcp_iflag_f32_e32 v1, v1
	s_mul_i32 s15, s0, s15
	s_sub_i32 s0, 0, s14
	v_rcp_iflag_f32_e32 v2, v2
	v_mul_f32_e32 v1, 0x4f7ffffe, v1
	v_cvt_u32_f32_e32 v1, v1
	s_mov_b64 s[6:7], 0
	v_mul_f32_e32 v2, 0x4f7ffffe, v2
	v_cvt_u32_f32_e32 v2, v2
	v_mul_lo_u32 v3, s0, v1
	v_mul_hi_u32 v3, v1, v3
	s_sub_i32 s0, 0, s10
	v_add_u32_e32 v1, v1, v3
	v_mul_lo_u32 v3, s0, v2
	v_mul_hi_u32 v3, v2, v3
	s_mul_i32 s11, s23, s17
	v_add_u32_e32 v2, v2, v3
.LBB113_2:                              ; =>This Inner Loop Header: Depth=1
	global_load_ubyte v3, v0, s[8:9]
	v_mul_hi_u32 v6, v1, v0
	v_mul_lo_u32 v4, s14, v6
	v_not_b32_e32 v5, v6
	v_sub_u32_e32 v8, v0, v4
	v_add_u32_e32 v7, 1, v6
	v_mad_u64_u32 v[4:5], s[0:1], s14, v5, v[0:1]
	v_cmp_le_u32_e32 vcc, s14, v8
	s_nop 1
	v_cndmask_b32_e32 v5, v6, v7, vcc
	v_cndmask_b32_e32 v4, v8, v4, vcc
	v_add_u32_e32 v6, 1, v5
	v_cmp_le_u32_e32 vcc, s14, v4
	s_nop 1
	v_cndmask_b32_e32 v4, v5, v6, vcc
	v_mul_hi_u32 v5, v4, v2
	v_mul_lo_u32 v7, v5, s10
	v_sub_u32_e32 v7, v4, v7
	v_mul_lo_u32 v6, v4, s14
	v_add_u32_e32 v8, 1, v5
	v_cmp_le_u32_e64 s[0:1], s10, v7
	v_sub_u32_e32 v6, v0, v6
	v_add_u32_e32 v0, s15, v0
	v_cndmask_b32_e64 v5, v5, v8, s[0:1]
	v_subrev_u32_e32 v8, s10, v7
	v_cmp_le_u32_e32 vcc, s12, v0
	v_cndmask_b32_e64 v7, v7, v8, s[0:1]
	s_or_b64 s[6:7], vcc, s[6:7]
	v_add_u32_e32 v8, 1, v5
	v_cmp_le_u32_e32 vcc, s10, v7
	v_mul_lo_u32 v6, v6, s13
	s_nop 0
	v_cndmask_b32_e32 v5, v5, v8, vcc
	v_mul_lo_u32 v7, v5, s10
	v_mul_lo_u32 v5, v5, s4
	v_sub_u32_e32 v4, v4, v7
	v_add_u32_e32 v5, s11, v5
	v_mul_lo_u32 v4, v4, s5
	v_add3_u32 v4, v5, v6, v4
	s_waitcnt vmcnt(0)
	global_store_byte v4, v3, s[2:3]
	s_andn2_b64 exec, exec, s[6:7]
	s_cbranch_execnz .LBB113_2
.LBB113_3:
	s_endpgm
	.section	.rodata,"a",@progbits
	.p2align	6, 0x0
	.amdhsa_kernel _ZN2at6native12_GLOBAL__N_126CatArrayBatchedCopy_contigINS1_10OpaqueTypeILj1EEEjLi3ELi64ELi64EEEvPT_NS1_25CatArrInputTensorMetadataIS5_T0_XT2_EXT3_EEENS1_16TensorSizeStrideIS8_Lj4EEEiS8_
		.amdhsa_group_segment_fixed_size 0
		.amdhsa_private_segment_fixed_size 0
		.amdhsa_kernarg_size 3696
		.amdhsa_user_sgpr_count 2
		.amdhsa_user_sgpr_dispatch_ptr 0
		.amdhsa_user_sgpr_queue_ptr 0
		.amdhsa_user_sgpr_kernarg_segment_ptr 1
		.amdhsa_user_sgpr_dispatch_id 0
		.amdhsa_user_sgpr_kernarg_preload_length 0
		.amdhsa_user_sgpr_kernarg_preload_offset 0
		.amdhsa_user_sgpr_private_segment_size 0
		.amdhsa_uses_dynamic_stack 0
		.amdhsa_enable_private_segment 0
		.amdhsa_system_sgpr_workgroup_id_x 1
		.amdhsa_system_sgpr_workgroup_id_y 1
		.amdhsa_system_sgpr_workgroup_id_z 0
		.amdhsa_system_sgpr_workgroup_info 0
		.amdhsa_system_vgpr_workitem_id 0
		.amdhsa_next_free_vgpr 9
		.amdhsa_next_free_sgpr 24
		.amdhsa_accum_offset 12
		.amdhsa_reserve_vcc 1
		.amdhsa_float_round_mode_32 0
		.amdhsa_float_round_mode_16_64 0
		.amdhsa_float_denorm_mode_32 3
		.amdhsa_float_denorm_mode_16_64 3
		.amdhsa_dx10_clamp 1
		.amdhsa_ieee_mode 1
		.amdhsa_fp16_overflow 0
		.amdhsa_tg_split 0
		.amdhsa_exception_fp_ieee_invalid_op 0
		.amdhsa_exception_fp_denorm_src 0
		.amdhsa_exception_fp_ieee_div_zero 0
		.amdhsa_exception_fp_ieee_overflow 0
		.amdhsa_exception_fp_ieee_underflow 0
		.amdhsa_exception_fp_ieee_inexact 0
		.amdhsa_exception_int_div_zero 0
	.end_amdhsa_kernel
	.section	.text._ZN2at6native12_GLOBAL__N_126CatArrayBatchedCopy_contigINS1_10OpaqueTypeILj1EEEjLi3ELi64ELi64EEEvPT_NS1_25CatArrInputTensorMetadataIS5_T0_XT2_EXT3_EEENS1_16TensorSizeStrideIS8_Lj4EEEiS8_,"axG",@progbits,_ZN2at6native12_GLOBAL__N_126CatArrayBatchedCopy_contigINS1_10OpaqueTypeILj1EEEjLi3ELi64ELi64EEEvPT_NS1_25CatArrInputTensorMetadataIS5_T0_XT2_EXT3_EEENS1_16TensorSizeStrideIS8_Lj4EEEiS8_,comdat
.Lfunc_end113:
	.size	_ZN2at6native12_GLOBAL__N_126CatArrayBatchedCopy_contigINS1_10OpaqueTypeILj1EEEjLi3ELi64ELi64EEEvPT_NS1_25CatArrInputTensorMetadataIS5_T0_XT2_EXT3_EEENS1_16TensorSizeStrideIS8_Lj4EEEiS8_, .Lfunc_end113-_ZN2at6native12_GLOBAL__N_126CatArrayBatchedCopy_contigINS1_10OpaqueTypeILj1EEEjLi3ELi64ELi64EEEvPT_NS1_25CatArrInputTensorMetadataIS5_T0_XT2_EXT3_EEENS1_16TensorSizeStrideIS8_Lj4EEEiS8_
                                        ; -- End function
	.set _ZN2at6native12_GLOBAL__N_126CatArrayBatchedCopy_contigINS1_10OpaqueTypeILj1EEEjLi3ELi64ELi64EEEvPT_NS1_25CatArrInputTensorMetadataIS5_T0_XT2_EXT3_EEENS1_16TensorSizeStrideIS8_Lj4EEEiS8_.num_vgpr, 9
	.set _ZN2at6native12_GLOBAL__N_126CatArrayBatchedCopy_contigINS1_10OpaqueTypeILj1EEEjLi3ELi64ELi64EEEvPT_NS1_25CatArrInputTensorMetadataIS5_T0_XT2_EXT3_EEENS1_16TensorSizeStrideIS8_Lj4EEEiS8_.num_agpr, 0
	.set _ZN2at6native12_GLOBAL__N_126CatArrayBatchedCopy_contigINS1_10OpaqueTypeILj1EEEjLi3ELi64ELi64EEEvPT_NS1_25CatArrInputTensorMetadataIS5_T0_XT2_EXT3_EEENS1_16TensorSizeStrideIS8_Lj4EEEiS8_.numbered_sgpr, 24
	.set _ZN2at6native12_GLOBAL__N_126CatArrayBatchedCopy_contigINS1_10OpaqueTypeILj1EEEjLi3ELi64ELi64EEEvPT_NS1_25CatArrInputTensorMetadataIS5_T0_XT2_EXT3_EEENS1_16TensorSizeStrideIS8_Lj4EEEiS8_.num_named_barrier, 0
	.set _ZN2at6native12_GLOBAL__N_126CatArrayBatchedCopy_contigINS1_10OpaqueTypeILj1EEEjLi3ELi64ELi64EEEvPT_NS1_25CatArrInputTensorMetadataIS5_T0_XT2_EXT3_EEENS1_16TensorSizeStrideIS8_Lj4EEEiS8_.private_seg_size, 0
	.set _ZN2at6native12_GLOBAL__N_126CatArrayBatchedCopy_contigINS1_10OpaqueTypeILj1EEEjLi3ELi64ELi64EEEvPT_NS1_25CatArrInputTensorMetadataIS5_T0_XT2_EXT3_EEENS1_16TensorSizeStrideIS8_Lj4EEEiS8_.uses_vcc, 1
	.set _ZN2at6native12_GLOBAL__N_126CatArrayBatchedCopy_contigINS1_10OpaqueTypeILj1EEEjLi3ELi64ELi64EEEvPT_NS1_25CatArrInputTensorMetadataIS5_T0_XT2_EXT3_EEENS1_16TensorSizeStrideIS8_Lj4EEEiS8_.uses_flat_scratch, 0
	.set _ZN2at6native12_GLOBAL__N_126CatArrayBatchedCopy_contigINS1_10OpaqueTypeILj1EEEjLi3ELi64ELi64EEEvPT_NS1_25CatArrInputTensorMetadataIS5_T0_XT2_EXT3_EEENS1_16TensorSizeStrideIS8_Lj4EEEiS8_.has_dyn_sized_stack, 0
	.set _ZN2at6native12_GLOBAL__N_126CatArrayBatchedCopy_contigINS1_10OpaqueTypeILj1EEEjLi3ELi64ELi64EEEvPT_NS1_25CatArrInputTensorMetadataIS5_T0_XT2_EXT3_EEENS1_16TensorSizeStrideIS8_Lj4EEEiS8_.has_recursion, 0
	.set _ZN2at6native12_GLOBAL__N_126CatArrayBatchedCopy_contigINS1_10OpaqueTypeILj1EEEjLi3ELi64ELi64EEEvPT_NS1_25CatArrInputTensorMetadataIS5_T0_XT2_EXT3_EEENS1_16TensorSizeStrideIS8_Lj4EEEiS8_.has_indirect_call, 0
	.section	.AMDGPU.csdata,"",@progbits
; Kernel info:
; codeLenInByte = 548
; TotalNumSgprs: 30
; NumVgprs: 9
; NumAgprs: 0
; TotalNumVgprs: 9
; ScratchSize: 0
; MemoryBound: 0
; FloatMode: 240
; IeeeMode: 1
; LDSByteSize: 0 bytes/workgroup (compile time only)
; SGPRBlocks: 3
; VGPRBlocks: 1
; NumSGPRsForWavesPerEU: 30
; NumVGPRsForWavesPerEU: 9
; AccumOffset: 12
; Occupancy: 8
; WaveLimiterHint : 1
; COMPUTE_PGM_RSRC2:SCRATCH_EN: 0
; COMPUTE_PGM_RSRC2:USER_SGPR: 2
; COMPUTE_PGM_RSRC2:TRAP_HANDLER: 0
; COMPUTE_PGM_RSRC2:TGID_X_EN: 1
; COMPUTE_PGM_RSRC2:TGID_Y_EN: 1
; COMPUTE_PGM_RSRC2:TGID_Z_EN: 0
; COMPUTE_PGM_RSRC2:TIDIG_COMP_CNT: 0
; COMPUTE_PGM_RSRC3_GFX90A:ACCUM_OFFSET: 2
; COMPUTE_PGM_RSRC3_GFX90A:TG_SPLIT: 0
	.section	.text._ZN2at6native12_GLOBAL__N_119CatArrayBatchedCopyINS1_10OpaqueTypeILj1EEEjLi3ELi64ELi64EEEvPT_NS1_25CatArrInputTensorMetadataIS5_T0_XT2_EXT3_EEENS1_16TensorSizeStrideIS8_Lj4EEEiS8_,"axG",@progbits,_ZN2at6native12_GLOBAL__N_119CatArrayBatchedCopyINS1_10OpaqueTypeILj1EEEjLi3ELi64ELi64EEEvPT_NS1_25CatArrInputTensorMetadataIS5_T0_XT2_EXT3_EEENS1_16TensorSizeStrideIS8_Lj4EEEiS8_,comdat
	.globl	_ZN2at6native12_GLOBAL__N_119CatArrayBatchedCopyINS1_10OpaqueTypeILj1EEEjLi3ELi64ELi64EEEvPT_NS1_25CatArrInputTensorMetadataIS5_T0_XT2_EXT3_EEENS1_16TensorSizeStrideIS8_Lj4EEEiS8_ ; -- Begin function _ZN2at6native12_GLOBAL__N_119CatArrayBatchedCopyINS1_10OpaqueTypeILj1EEEjLi3ELi64ELi64EEEvPT_NS1_25CatArrInputTensorMetadataIS5_T0_XT2_EXT3_EEENS1_16TensorSizeStrideIS8_Lj4EEEiS8_
	.p2align	8
	.type	_ZN2at6native12_GLOBAL__N_119CatArrayBatchedCopyINS1_10OpaqueTypeILj1EEEjLi3ELi64ELi64EEEvPT_NS1_25CatArrInputTensorMetadataIS5_T0_XT2_EXT3_EEENS1_16TensorSizeStrideIS8_Lj4EEEiS8_,@function
_ZN2at6native12_GLOBAL__N_119CatArrayBatchedCopyINS1_10OpaqueTypeILj1EEEjLi3ELi64ELi64EEEvPT_NS1_25CatArrInputTensorMetadataIS5_T0_XT2_EXT3_EEENS1_16TensorSizeStrideIS8_Lj4EEEiS8_: ; @_ZN2at6native12_GLOBAL__N_119CatArrayBatchedCopyINS1_10OpaqueTypeILj1EEEjLi3ELi64ELi64EEEvPT_NS1_25CatArrInputTensorMetadataIS5_T0_XT2_EXT3_EEENS1_16TensorSizeStrideIS8_Lj4EEEiS8_
; %bb.0:
	s_load_dword s4, s[0:1], 0xd7c
	s_mov_b32 s8, s3
	s_or_b32 s3, s0, 8
	s_add_u32 s10, s0, 0xd70
	s_mov_b32 s9, 0
	s_addc_u32 s11, s1, 0
	s_waitcnt lgkmcnt(0)
	s_and_b32 s17, s4, 0xffff
	s_lshl_b64 s[14:15], s[8:9], 2
	s_add_u32 s4, s3, s14
	s_addc_u32 s5, s1, s15
	s_load_dword s16, s[4:5], 0x400
	s_mul_i32 s2, s2, s17
	v_add_u32_e32 v0, s2, v0
	s_waitcnt lgkmcnt(0)
	v_cmp_gt_u32_e32 vcc, s16, v0
	s_and_saveexec_b64 s[12:13], vcc
	s_cbranch_execz .LBB114_5
; %bb.1:
	s_mul_i32 s7, s8, 28
	s_mul_hi_u32 s2, s8, 28
	s_add_u32 s18, s4, s7
	s_addc_u32 s19, s5, s2
	s_add_u32 s20, s3, s8
	s_addc_u32 s21, s1, 0
	v_mov_b32_e32 v1, 0
	global_load_ubyte v2, v1, s[20:21] offset:1280
	s_load_dwordx2 s[22:23], s[0:1], 0xd68
	s_load_dwordx4 s[4:7], s[0:1], 0xd58
	s_load_dwordx2 s[2:3], s[0:1], 0x0
	s_load_dwordx2 s[24:25], s[0:1], 0xd4c
	s_waitcnt lgkmcnt(0)
	s_load_dword s7, s[10:11], 0x0
                                        ; kill: killed $sgpr0 killed $sgpr1
                                        ; kill: killed $sgpr10 killed $sgpr11
	s_mul_hi_u32 s26, s8, 7
	s_mul_i32 s27, s8, 7
	s_load_dwordx2 s[0:1], s[18:19], 0x544
	s_load_dwordx4 s[8:11], s[18:19], 0x550
	s_mov_b64 s[12:13], 0
	s_waitcnt lgkmcnt(0)
	s_mul_i32 s7, s7, s17
	s_waitcnt vmcnt(0)
	v_and_b32_e32 v2, 1, v2
	v_cmp_eq_u32_e32 vcc, 1, v2
	s_xor_b64 s[18:19], vcc, -1
	s_add_u32 s20, s20, s27
	s_addc_u32 s21, s21, s26
	s_sub_u32 s11, 0, s14
	s_subb_u32 s14, 0, s15
	s_add_u32 s26, s20, s11
	s_addc_u32 s27, s21, s14
	s_load_dwordx2 s[14:15], s[20:21], 0x0
	s_load_dword s11, s[26:27], 0x200
	s_load_dword s28, s[26:27], 0x300
	s_cmp_eq_u32 s22, 2
	v_cndmask_b32_e64 v2, 0, 1, s[18:19]
	s_waitcnt lgkmcnt(0)
	s_mul_i32 s11, s11, s23
	s_cselect_b32 s17, s28, s25
	s_cselect_b32 s18, s28, s1
	s_cmp_eq_u32 s22, 1
	s_cselect_b32 s19, s28, s24
	s_cselect_b32 s20, s28, s0
	v_cvt_f32_u32_e32 v3, s17
	v_cvt_f32_u32_e32 v4, s18
	;; [unrolled: 1-line block ×4, first 2 shown]
	v_rcp_iflag_f32_e32 v3, v3
	v_rcp_iflag_f32_e32 v4, v4
	v_rcp_iflag_f32_e32 v5, v5
	v_rcp_iflag_f32_e32 v6, v6
	v_mul_f32_e32 v3, 0x4f7ffffe, v3
	v_mul_f32_e32 v4, 0x4f7ffffe, v4
	v_cvt_u32_f32_e32 v3, v3
	v_mul_f32_e32 v5, 0x4f7ffffe, v5
	v_cvt_u32_f32_e32 v7, v4
	;; [unrolled: 2-line block ×3, first 2 shown]
	v_cvt_u32_f32_e32 v8, v4
	s_sub_i32 s21, 0, s17
	s_sub_i32 s22, 0, s18
	;; [unrolled: 1-line block ×4, first 2 shown]
	v_mul_lo_u32 v4, s21, v3
	v_mul_lo_u32 v5, s22, v7
	v_mul_hi_u32 v4, v3, v4
	v_mul_lo_u32 v9, s0, v6
	v_mul_hi_u32 v5, v7, v5
	v_mul_lo_u32 v10, s1, v8
	v_add_u32_e32 v4, v3, v4
	v_mul_hi_u32 v3, v6, v9
	v_add_u32_e32 v5, v7, v5
	v_mul_hi_u32 v7, v8, v10
	v_add_u32_e32 v6, v6, v3
	v_add_u32_e32 v7, v8, v7
	v_cmp_ne_u32_e64 s[0:1], 1, v2
	s_branch .LBB114_3
.LBB114_2:                              ;   in Loop: Header=BB114_3 Depth=1
	v_lshl_add_u64 v[2:3], s[14:15], 0, v[2:3]
	global_load_ubyte v10, v[2:3], off
	v_mul_hi_u32 v8, v4, v0
	v_mad_u64_u32 v[2:3], s[24:25], s21, v8, v[0:1]
	v_not_b32_e32 v9, v8
	v_add_u32_e32 v3, 1, v8
	v_cmp_le_u32_e32 vcc, s17, v2
	s_nop 1
	v_cndmask_b32_e32 v3, v8, v3, vcc
	v_mad_u64_u32 v[8:9], s[24:25], s17, v9, v[0:1]
	v_cndmask_b32_e32 v2, v2, v8, vcc
	v_add_u32_e32 v8, 1, v3
	v_cmp_le_u32_e32 vcc, s17, v2
	s_nop 1
	v_cndmask_b32_e32 v8, v3, v8, vcc
	v_mad_u64_u32 v[2:3], s[24:25], s21, v8, v[0:1]
	v_mul_hi_u32 v3, v8, v6
	v_mul_lo_u32 v9, v3, s19
	v_sub_u32_e32 v9, v8, v9
	v_add_u32_e32 v11, 1, v3
	v_cmp_le_u32_e32 vcc, s19, v9
	v_add_u32_e32 v0, s7, v0
	s_nop 0
	v_cndmask_b32_e32 v3, v3, v11, vcc
	v_subrev_u32_e32 v11, s19, v9
	v_cndmask_b32_e32 v9, v9, v11, vcc
	v_add_u32_e32 v11, 1, v3
	v_cmp_le_u32_e32 vcc, s19, v9
	s_nop 1
	v_cndmask_b32_e32 v3, v3, v11, vcc
	v_mul_lo_u32 v9, v3, s19
	v_sub_u32_e32 v8, v8, v9
	v_mul_lo_u32 v9, v8, s5
	v_mul_lo_u32 v8, v3, s4
	v_mad_u64_u32 v[2:3], s[24:25], v2, s6, v[8:9]
	v_cmp_le_u32_e32 vcc, s16, v0
	v_add3_u32 v2, v2, v9, s11
	s_or_b64 s[12:13], vcc, s[12:13]
	s_waitcnt vmcnt(0)
	global_store_byte v2, v10, s[2:3]
	s_andn2_b64 exec, exec, s[12:13]
	s_cbranch_execz .LBB114_5
.LBB114_3:                              ; =>This Inner Loop Header: Depth=1
	s_and_b64 vcc, exec, s[0:1]
	v_mov_b64_e32 v[2:3], v[0:1]
	s_cbranch_vccnz .LBB114_2
; %bb.4:                                ;   in Loop: Header=BB114_3 Depth=1
	v_mul_hi_u32 v8, v5, v0
	v_mad_u64_u32 v[2:3], s[24:25], s22, v8, v[0:1]
	v_not_b32_e32 v9, v8
	v_add_u32_e32 v3, 1, v8
	v_cmp_le_u32_e32 vcc, s18, v2
	s_nop 1
	v_cndmask_b32_e32 v3, v8, v3, vcc
	v_mad_u64_u32 v[8:9], s[24:25], s18, v9, v[0:1]
	v_cndmask_b32_e32 v2, v2, v8, vcc
	v_add_u32_e32 v8, 1, v3
	v_cmp_le_u32_e32 vcc, s18, v2
	s_nop 1
	v_cndmask_b32_e32 v8, v3, v8, vcc
	v_mad_u64_u32 v[2:3], s[24:25], s22, v8, v[0:1]
	v_mul_hi_u32 v3, v8, v7
	v_mul_lo_u32 v9, v3, s20
	v_sub_u32_e32 v9, v8, v9
	v_add_u32_e32 v10, 1, v3
	v_cmp_le_u32_e32 vcc, s20, v9
	v_mul_lo_u32 v2, v2, s10
	s_nop 0
	v_cndmask_b32_e32 v3, v3, v10, vcc
	v_subrev_u32_e32 v10, s20, v9
	v_cndmask_b32_e32 v9, v9, v10, vcc
	v_add_u32_e32 v10, 1, v3
	v_cmp_le_u32_e32 vcc, s20, v9
	s_nop 1
	v_cndmask_b32_e32 v3, v3, v10, vcc
	v_mul_lo_u32 v9, v3, s20
	v_sub_u32_e32 v8, v8, v9
	v_mul_lo_u32 v8, v8, s9
	v_mul_lo_u32 v3, v3, s8
	v_add3_u32 v2, v2, v3, v8
	v_mov_b32_e32 v3, v1
	s_branch .LBB114_2
.LBB114_5:
	s_endpgm
	.section	.rodata,"a",@progbits
	.p2align	6, 0x0
	.amdhsa_kernel _ZN2at6native12_GLOBAL__N_119CatArrayBatchedCopyINS1_10OpaqueTypeILj1EEEjLi3ELi64ELi64EEEvPT_NS1_25CatArrInputTensorMetadataIS5_T0_XT2_EXT3_EEENS1_16TensorSizeStrideIS8_Lj4EEEiS8_
		.amdhsa_group_segment_fixed_size 0
		.amdhsa_private_segment_fixed_size 0
		.amdhsa_kernarg_size 3696
		.amdhsa_user_sgpr_count 2
		.amdhsa_user_sgpr_dispatch_ptr 0
		.amdhsa_user_sgpr_queue_ptr 0
		.amdhsa_user_sgpr_kernarg_segment_ptr 1
		.amdhsa_user_sgpr_dispatch_id 0
		.amdhsa_user_sgpr_kernarg_preload_length 0
		.amdhsa_user_sgpr_kernarg_preload_offset 0
		.amdhsa_user_sgpr_private_segment_size 0
		.amdhsa_uses_dynamic_stack 0
		.amdhsa_enable_private_segment 0
		.amdhsa_system_sgpr_workgroup_id_x 1
		.amdhsa_system_sgpr_workgroup_id_y 1
		.amdhsa_system_sgpr_workgroup_id_z 0
		.amdhsa_system_sgpr_workgroup_info 0
		.amdhsa_system_vgpr_workitem_id 0
		.amdhsa_next_free_vgpr 12
		.amdhsa_next_free_sgpr 29
		.amdhsa_accum_offset 12
		.amdhsa_reserve_vcc 1
		.amdhsa_float_round_mode_32 0
		.amdhsa_float_round_mode_16_64 0
		.amdhsa_float_denorm_mode_32 3
		.amdhsa_float_denorm_mode_16_64 3
		.amdhsa_dx10_clamp 1
		.amdhsa_ieee_mode 1
		.amdhsa_fp16_overflow 0
		.amdhsa_tg_split 0
		.amdhsa_exception_fp_ieee_invalid_op 0
		.amdhsa_exception_fp_denorm_src 0
		.amdhsa_exception_fp_ieee_div_zero 0
		.amdhsa_exception_fp_ieee_overflow 0
		.amdhsa_exception_fp_ieee_underflow 0
		.amdhsa_exception_fp_ieee_inexact 0
		.amdhsa_exception_int_div_zero 0
	.end_amdhsa_kernel
	.section	.text._ZN2at6native12_GLOBAL__N_119CatArrayBatchedCopyINS1_10OpaqueTypeILj1EEEjLi3ELi64ELi64EEEvPT_NS1_25CatArrInputTensorMetadataIS5_T0_XT2_EXT3_EEENS1_16TensorSizeStrideIS8_Lj4EEEiS8_,"axG",@progbits,_ZN2at6native12_GLOBAL__N_119CatArrayBatchedCopyINS1_10OpaqueTypeILj1EEEjLi3ELi64ELi64EEEvPT_NS1_25CatArrInputTensorMetadataIS5_T0_XT2_EXT3_EEENS1_16TensorSizeStrideIS8_Lj4EEEiS8_,comdat
.Lfunc_end114:
	.size	_ZN2at6native12_GLOBAL__N_119CatArrayBatchedCopyINS1_10OpaqueTypeILj1EEEjLi3ELi64ELi64EEEvPT_NS1_25CatArrInputTensorMetadataIS5_T0_XT2_EXT3_EEENS1_16TensorSizeStrideIS8_Lj4EEEiS8_, .Lfunc_end114-_ZN2at6native12_GLOBAL__N_119CatArrayBatchedCopyINS1_10OpaqueTypeILj1EEEjLi3ELi64ELi64EEEvPT_NS1_25CatArrInputTensorMetadataIS5_T0_XT2_EXT3_EEENS1_16TensorSizeStrideIS8_Lj4EEEiS8_
                                        ; -- End function
	.set _ZN2at6native12_GLOBAL__N_119CatArrayBatchedCopyINS1_10OpaqueTypeILj1EEEjLi3ELi64ELi64EEEvPT_NS1_25CatArrInputTensorMetadataIS5_T0_XT2_EXT3_EEENS1_16TensorSizeStrideIS8_Lj4EEEiS8_.num_vgpr, 12
	.set _ZN2at6native12_GLOBAL__N_119CatArrayBatchedCopyINS1_10OpaqueTypeILj1EEEjLi3ELi64ELi64EEEvPT_NS1_25CatArrInputTensorMetadataIS5_T0_XT2_EXT3_EEENS1_16TensorSizeStrideIS8_Lj4EEEiS8_.num_agpr, 0
	.set _ZN2at6native12_GLOBAL__N_119CatArrayBatchedCopyINS1_10OpaqueTypeILj1EEEjLi3ELi64ELi64EEEvPT_NS1_25CatArrInputTensorMetadataIS5_T0_XT2_EXT3_EEENS1_16TensorSizeStrideIS8_Lj4EEEiS8_.numbered_sgpr, 29
	.set _ZN2at6native12_GLOBAL__N_119CatArrayBatchedCopyINS1_10OpaqueTypeILj1EEEjLi3ELi64ELi64EEEvPT_NS1_25CatArrInputTensorMetadataIS5_T0_XT2_EXT3_EEENS1_16TensorSizeStrideIS8_Lj4EEEiS8_.num_named_barrier, 0
	.set _ZN2at6native12_GLOBAL__N_119CatArrayBatchedCopyINS1_10OpaqueTypeILj1EEEjLi3ELi64ELi64EEEvPT_NS1_25CatArrInputTensorMetadataIS5_T0_XT2_EXT3_EEENS1_16TensorSizeStrideIS8_Lj4EEEiS8_.private_seg_size, 0
	.set _ZN2at6native12_GLOBAL__N_119CatArrayBatchedCopyINS1_10OpaqueTypeILj1EEEjLi3ELi64ELi64EEEvPT_NS1_25CatArrInputTensorMetadataIS5_T0_XT2_EXT3_EEENS1_16TensorSizeStrideIS8_Lj4EEEiS8_.uses_vcc, 1
	.set _ZN2at6native12_GLOBAL__N_119CatArrayBatchedCopyINS1_10OpaqueTypeILj1EEEjLi3ELi64ELi64EEEvPT_NS1_25CatArrInputTensorMetadataIS5_T0_XT2_EXT3_EEENS1_16TensorSizeStrideIS8_Lj4EEEiS8_.uses_flat_scratch, 0
	.set _ZN2at6native12_GLOBAL__N_119CatArrayBatchedCopyINS1_10OpaqueTypeILj1EEEjLi3ELi64ELi64EEEvPT_NS1_25CatArrInputTensorMetadataIS5_T0_XT2_EXT3_EEENS1_16TensorSizeStrideIS8_Lj4EEEiS8_.has_dyn_sized_stack, 0
	.set _ZN2at6native12_GLOBAL__N_119CatArrayBatchedCopyINS1_10OpaqueTypeILj1EEEjLi3ELi64ELi64EEEvPT_NS1_25CatArrInputTensorMetadataIS5_T0_XT2_EXT3_EEENS1_16TensorSizeStrideIS8_Lj4EEEiS8_.has_recursion, 0
	.set _ZN2at6native12_GLOBAL__N_119CatArrayBatchedCopyINS1_10OpaqueTypeILj1EEEjLi3ELi64ELi64EEEvPT_NS1_25CatArrInputTensorMetadataIS5_T0_XT2_EXT3_EEENS1_16TensorSizeStrideIS8_Lj4EEEiS8_.has_indirect_call, 0
	.section	.AMDGPU.csdata,"",@progbits
; Kernel info:
; codeLenInByte = 920
; TotalNumSgprs: 35
; NumVgprs: 12
; NumAgprs: 0
; TotalNumVgprs: 12
; ScratchSize: 0
; MemoryBound: 0
; FloatMode: 240
; IeeeMode: 1
; LDSByteSize: 0 bytes/workgroup (compile time only)
; SGPRBlocks: 4
; VGPRBlocks: 1
; NumSGPRsForWavesPerEU: 35
; NumVGPRsForWavesPerEU: 12
; AccumOffset: 12
; Occupancy: 8
; WaveLimiterHint : 1
; COMPUTE_PGM_RSRC2:SCRATCH_EN: 0
; COMPUTE_PGM_RSRC2:USER_SGPR: 2
; COMPUTE_PGM_RSRC2:TRAP_HANDLER: 0
; COMPUTE_PGM_RSRC2:TGID_X_EN: 1
; COMPUTE_PGM_RSRC2:TGID_Y_EN: 1
; COMPUTE_PGM_RSRC2:TGID_Z_EN: 0
; COMPUTE_PGM_RSRC2:TIDIG_COMP_CNT: 0
; COMPUTE_PGM_RSRC3_GFX90A:ACCUM_OFFSET: 2
; COMPUTE_PGM_RSRC3_GFX90A:TG_SPLIT: 0
	.section	.text._ZN2at6native12_GLOBAL__N_130CatArrayBatchedCopy_vectorizedINS1_10OpaqueTypeILj1EEEjLi4ELi64ELi64ELi16ELi16EEEvPcNS1_25CatArrInputTensorMetadataIT_T0_XT2_EXT3_EEENS1_16TensorSizeStrideIS8_Lj4EEEiS8_,"axG",@progbits,_ZN2at6native12_GLOBAL__N_130CatArrayBatchedCopy_vectorizedINS1_10OpaqueTypeILj1EEEjLi4ELi64ELi64ELi16ELi16EEEvPcNS1_25CatArrInputTensorMetadataIT_T0_XT2_EXT3_EEENS1_16TensorSizeStrideIS8_Lj4EEEiS8_,comdat
	.globl	_ZN2at6native12_GLOBAL__N_130CatArrayBatchedCopy_vectorizedINS1_10OpaqueTypeILj1EEEjLi4ELi64ELi64ELi16ELi16EEEvPcNS1_25CatArrInputTensorMetadataIT_T0_XT2_EXT3_EEENS1_16TensorSizeStrideIS8_Lj4EEEiS8_ ; -- Begin function _ZN2at6native12_GLOBAL__N_130CatArrayBatchedCopy_vectorizedINS1_10OpaqueTypeILj1EEEjLi4ELi64ELi64ELi16ELi16EEEvPcNS1_25CatArrInputTensorMetadataIT_T0_XT2_EXT3_EEENS1_16TensorSizeStrideIS8_Lj4EEEiS8_
	.p2align	8
	.type	_ZN2at6native12_GLOBAL__N_130CatArrayBatchedCopy_vectorizedINS1_10OpaqueTypeILj1EEEjLi4ELi64ELi64ELi16ELi16EEEvPcNS1_25CatArrInputTensorMetadataIT_T0_XT2_EXT3_EEENS1_16TensorSizeStrideIS8_Lj4EEEiS8_,@function
_ZN2at6native12_GLOBAL__N_130CatArrayBatchedCopy_vectorizedINS1_10OpaqueTypeILj1EEEjLi4ELi64ELi64ELi16ELi16EEEvPcNS1_25CatArrInputTensorMetadataIT_T0_XT2_EXT3_EEENS1_16TensorSizeStrideIS8_Lj4EEEiS8_: ; @_ZN2at6native12_GLOBAL__N_130CatArrayBatchedCopy_vectorizedINS1_10OpaqueTypeILj1EEEjLi4ELi64ELi64ELi16ELi16EEEvPcNS1_25CatArrInputTensorMetadataIT_T0_XT2_EXT3_EEENS1_16TensorSizeStrideIS8_Lj4EEEiS8_
; %bb.0:
	s_mov_b32 s4, s3
	s_load_dword s3, s[0:1], 0xd7c
	s_add_u32 s8, s0, 0xd70
	s_mov_b32 s5, 0
	s_addc_u32 s9, s1, 0
	s_lshl_b64 s[10:11], s[4:5], 2
	s_waitcnt lgkmcnt(0)
	s_and_b32 s13, s3, 0xffff
	s_add_u32 s4, s0, s10
	s_addc_u32 s5, s1, s11
	s_load_dword s6, s[4:5], 0x408
	s_mul_i32 s2, s2, s13
	v_add_u32_e32 v0, s2, v0
	s_add_u32 s2, s4, 8
	s_addc_u32 s3, s5, 0
	s_waitcnt lgkmcnt(0)
	s_lshr_b32 s12, s6, 4
	v_cmp_gt_u32_e32 vcc, s12, v0
	s_and_saveexec_b64 s[4:5], vcc
	s_cbranch_execz .LBB115_3
; %bb.1:
	s_add_u32 s2, s2, s10
	s_addc_u32 s3, s3, s11
	s_load_dwordx4 s[4:7], s[0:1], 0xd58
	s_load_dwordx2 s[14:15], s[0:1], 0xd68
	s_load_dwordx2 s[20:21], s[0:1], 0x0
	s_load_dwordx4 s[16:19], s[0:1], 0xd4c
	s_sub_u32 s0, 0, s10
	s_subb_u32 s1, 0, s11
	s_add_u32 s10, s2, s0
	s_addc_u32 s11, s3, s1
	s_waitcnt lgkmcnt(0)
	s_load_dword s19, s[10:11], 0x200
	s_load_dwordx2 s[0:1], s[2:3], 0x0
	s_load_dword s22, s[10:11], 0x300
	s_load_dword s23, s[8:9], 0x0
	s_mov_b64 s[2:3], 0
	s_waitcnt lgkmcnt(0)
	s_mul_i32 s19, s19, s15
	s_and_b32 s8, s19, -16
	s_mul_i32 s22, s22, s15
	s_lshr_b32 s9, s22, 4
	s_cmp_eq_u32 s14, 3
	s_cselect_b32 s10, s9, s18
	v_cvt_f32_u32_e32 v1, s10
	s_cmp_eq_u32 s14, 2
	s_mul_i32 s11, s23, s13
	s_cselect_b32 s13, s9, s17
	v_rcp_iflag_f32_e32 v1, v1
	s_cmp_eq_u32 s14, 1
	v_cvt_f32_u32_e32 v2, s13
	s_cselect_b32 s14, s9, s16
	v_mul_f32_e32 v1, 0x4f7ffffe, v1
	v_cvt_u32_f32_e32 v1, v1
	s_add_u32 s8, s20, s8
	s_addc_u32 s9, s21, 0
	s_sub_i32 s15, 0, s10
	v_mul_lo_u32 v3, s15, v1
	v_rcp_iflag_f32_e32 v4, v2
	v_mul_hi_u32 v2, v1, v3
	v_cvt_f32_u32_e32 v3, s14
	v_add_u32_e32 v2, v1, v2
	v_mul_f32_e32 v1, 0x4f7ffffe, v4
	v_cvt_u32_f32_e32 v4, v1
	v_rcp_iflag_f32_e32 v3, v3
	s_sub_i32 s16, 0, s13
	v_mov_b32_e32 v1, 0
	v_mul_lo_u32 v5, s16, v4
	v_mul_f32_e32 v3, 0x4f7ffffe, v3
	v_cvt_u32_f32_e32 v6, v3
	v_mul_hi_u32 v3, v4, v5
	s_sub_i32 s16, 0, s14
	v_add_u32_e32 v3, v4, v3
	v_mul_lo_u32 v4, s16, v6
	v_mul_hi_u32 v4, v6, v4
	v_add_u32_e32 v4, v6, v4
.LBB115_2:                              ; =>This Inner Loop Header: Depth=1
	v_lshl_add_u64 v[6:7], v[0:1], 4, s[0:1]
	global_load_dwordx4 v[6:9], v[6:7], off
	v_mul_hi_u32 v5, v2, v0
	v_mul_lo_u32 v10, s10, v5
	v_not_b32_e32 v12, v5
	v_sub_u32_e32 v10, v0, v10
	v_add_u32_e32 v14, 1, v5
	v_mad_u64_u32 v[12:13], s[16:17], s10, v12, v[0:1]
	v_cmp_le_u32_e32 vcc, s10, v10
	v_mov_b32_e32 v11, v1
	s_nop 0
	v_cndmask_b32_e32 v5, v5, v14, vcc
	v_cndmask_b32_e32 v10, v10, v12, vcc
	v_add_u32_e32 v12, 1, v5
	v_cmp_le_u32_e32 vcc, s10, v10
	s_nop 1
	v_cndmask_b32_e32 v5, v5, v12, vcc
	v_mul_hi_u32 v14, v5, v3
	v_mad_u64_u32 v[12:13], s[16:17], s15, v5, v[0:1]
	v_add_u32_e32 v0, s11, v0
	v_mul_lo_u32 v13, v14, s13
	v_mul_lo_u32 v10, v12, s7
	v_cmp_le_u32_e32 vcc, s12, v0
	v_sub_u32_e32 v12, v5, v13
	v_add_u32_e32 v15, 1, v14
	s_or_b64 s[2:3], vcc, s[2:3]
	v_cmp_le_u32_e32 vcc, s13, v12
	s_nop 1
	v_cndmask_b32_e32 v13, v14, v15, vcc
	v_subrev_u32_e32 v14, s13, v12
	v_cndmask_b32_e32 v12, v12, v14, vcc
	v_add_u32_e32 v14, 1, v13
	v_cmp_le_u32_e32 vcc, s13, v12
	s_nop 1
	v_cndmask_b32_e32 v14, v13, v14, vcc
	v_mul_lo_u32 v12, v14, s13
	v_mul_hi_u32 v13, v14, v4
	v_sub_u32_e32 v5, v5, v12
	v_mul_lo_u32 v12, v13, s14
	v_sub_u32_e32 v12, v14, v12
	v_add_u32_e32 v15, 1, v13
	v_cmp_le_u32_e32 vcc, s14, v12
	v_mul_lo_u32 v5, v5, s6
	s_nop 0
	v_cndmask_b32_e32 v13, v13, v15, vcc
	v_subrev_u32_e32 v15, s14, v12
	v_cndmask_b32_e32 v12, v12, v15, vcc
	v_add_u32_e32 v15, 1, v13
	v_cmp_le_u32_e32 vcc, s14, v12
	s_nop 1
	v_cndmask_b32_e32 v12, v13, v15, vcc
	v_mul_lo_u32 v15, v12, s14
	v_mad_u64_u32 v[12:13], s[16:17], v12, s4, v[10:11]
	v_sub_u32_e32 v10, v14, v15
	v_mul_lo_u32 v10, v10, s5
	v_add3_u32 v10, v12, v5, v10
	v_lshl_add_u64 v[10:11], v[10:11], 4, s[8:9]
	s_waitcnt vmcnt(0)
	global_store_dwordx4 v[10:11], v[6:9], off
	s_andn2_b64 exec, exec, s[2:3]
	s_cbranch_execnz .LBB115_2
.LBB115_3:
	s_endpgm
	.section	.rodata,"a",@progbits
	.p2align	6, 0x0
	.amdhsa_kernel _ZN2at6native12_GLOBAL__N_130CatArrayBatchedCopy_vectorizedINS1_10OpaqueTypeILj1EEEjLi4ELi64ELi64ELi16ELi16EEEvPcNS1_25CatArrInputTensorMetadataIT_T0_XT2_EXT3_EEENS1_16TensorSizeStrideIS8_Lj4EEEiS8_
		.amdhsa_group_segment_fixed_size 0
		.amdhsa_private_segment_fixed_size 0
		.amdhsa_kernarg_size 3696
		.amdhsa_user_sgpr_count 2
		.amdhsa_user_sgpr_dispatch_ptr 0
		.amdhsa_user_sgpr_queue_ptr 0
		.amdhsa_user_sgpr_kernarg_segment_ptr 1
		.amdhsa_user_sgpr_dispatch_id 0
		.amdhsa_user_sgpr_kernarg_preload_length 0
		.amdhsa_user_sgpr_kernarg_preload_offset 0
		.amdhsa_user_sgpr_private_segment_size 0
		.amdhsa_uses_dynamic_stack 0
		.amdhsa_enable_private_segment 0
		.amdhsa_system_sgpr_workgroup_id_x 1
		.amdhsa_system_sgpr_workgroup_id_y 1
		.amdhsa_system_sgpr_workgroup_id_z 0
		.amdhsa_system_sgpr_workgroup_info 0
		.amdhsa_system_vgpr_workitem_id 0
		.amdhsa_next_free_vgpr 16
		.amdhsa_next_free_sgpr 24
		.amdhsa_accum_offset 16
		.amdhsa_reserve_vcc 1
		.amdhsa_float_round_mode_32 0
		.amdhsa_float_round_mode_16_64 0
		.amdhsa_float_denorm_mode_32 3
		.amdhsa_float_denorm_mode_16_64 3
		.amdhsa_dx10_clamp 1
		.amdhsa_ieee_mode 1
		.amdhsa_fp16_overflow 0
		.amdhsa_tg_split 0
		.amdhsa_exception_fp_ieee_invalid_op 0
		.amdhsa_exception_fp_denorm_src 0
		.amdhsa_exception_fp_ieee_div_zero 0
		.amdhsa_exception_fp_ieee_overflow 0
		.amdhsa_exception_fp_ieee_underflow 0
		.amdhsa_exception_fp_ieee_inexact 0
		.amdhsa_exception_int_div_zero 0
	.end_amdhsa_kernel
	.section	.text._ZN2at6native12_GLOBAL__N_130CatArrayBatchedCopy_vectorizedINS1_10OpaqueTypeILj1EEEjLi4ELi64ELi64ELi16ELi16EEEvPcNS1_25CatArrInputTensorMetadataIT_T0_XT2_EXT3_EEENS1_16TensorSizeStrideIS8_Lj4EEEiS8_,"axG",@progbits,_ZN2at6native12_GLOBAL__N_130CatArrayBatchedCopy_vectorizedINS1_10OpaqueTypeILj1EEEjLi4ELi64ELi64ELi16ELi16EEEvPcNS1_25CatArrInputTensorMetadataIT_T0_XT2_EXT3_EEENS1_16TensorSizeStrideIS8_Lj4EEEiS8_,comdat
.Lfunc_end115:
	.size	_ZN2at6native12_GLOBAL__N_130CatArrayBatchedCopy_vectorizedINS1_10OpaqueTypeILj1EEEjLi4ELi64ELi64ELi16ELi16EEEvPcNS1_25CatArrInputTensorMetadataIT_T0_XT2_EXT3_EEENS1_16TensorSizeStrideIS8_Lj4EEEiS8_, .Lfunc_end115-_ZN2at6native12_GLOBAL__N_130CatArrayBatchedCopy_vectorizedINS1_10OpaqueTypeILj1EEEjLi4ELi64ELi64ELi16ELi16EEEvPcNS1_25CatArrInputTensorMetadataIT_T0_XT2_EXT3_EEENS1_16TensorSizeStrideIS8_Lj4EEEiS8_
                                        ; -- End function
	.set _ZN2at6native12_GLOBAL__N_130CatArrayBatchedCopy_vectorizedINS1_10OpaqueTypeILj1EEEjLi4ELi64ELi64ELi16ELi16EEEvPcNS1_25CatArrInputTensorMetadataIT_T0_XT2_EXT3_EEENS1_16TensorSizeStrideIS8_Lj4EEEiS8_.num_vgpr, 16
	.set _ZN2at6native12_GLOBAL__N_130CatArrayBatchedCopy_vectorizedINS1_10OpaqueTypeILj1EEEjLi4ELi64ELi64ELi16ELi16EEEvPcNS1_25CatArrInputTensorMetadataIT_T0_XT2_EXT3_EEENS1_16TensorSizeStrideIS8_Lj4EEEiS8_.num_agpr, 0
	.set _ZN2at6native12_GLOBAL__N_130CatArrayBatchedCopy_vectorizedINS1_10OpaqueTypeILj1EEEjLi4ELi64ELi64ELi16ELi16EEEvPcNS1_25CatArrInputTensorMetadataIT_T0_XT2_EXT3_EEENS1_16TensorSizeStrideIS8_Lj4EEEiS8_.numbered_sgpr, 24
	.set _ZN2at6native12_GLOBAL__N_130CatArrayBatchedCopy_vectorizedINS1_10OpaqueTypeILj1EEEjLi4ELi64ELi64ELi16ELi16EEEvPcNS1_25CatArrInputTensorMetadataIT_T0_XT2_EXT3_EEENS1_16TensorSizeStrideIS8_Lj4EEEiS8_.num_named_barrier, 0
	.set _ZN2at6native12_GLOBAL__N_130CatArrayBatchedCopy_vectorizedINS1_10OpaqueTypeILj1EEEjLi4ELi64ELi64ELi16ELi16EEEvPcNS1_25CatArrInputTensorMetadataIT_T0_XT2_EXT3_EEENS1_16TensorSizeStrideIS8_Lj4EEEiS8_.private_seg_size, 0
	.set _ZN2at6native12_GLOBAL__N_130CatArrayBatchedCopy_vectorizedINS1_10OpaqueTypeILj1EEEjLi4ELi64ELi64ELi16ELi16EEEvPcNS1_25CatArrInputTensorMetadataIT_T0_XT2_EXT3_EEENS1_16TensorSizeStrideIS8_Lj4EEEiS8_.uses_vcc, 1
	.set _ZN2at6native12_GLOBAL__N_130CatArrayBatchedCopy_vectorizedINS1_10OpaqueTypeILj1EEEjLi4ELi64ELi64ELi16ELi16EEEvPcNS1_25CatArrInputTensorMetadataIT_T0_XT2_EXT3_EEENS1_16TensorSizeStrideIS8_Lj4EEEiS8_.uses_flat_scratch, 0
	.set _ZN2at6native12_GLOBAL__N_130CatArrayBatchedCopy_vectorizedINS1_10OpaqueTypeILj1EEEjLi4ELi64ELi64ELi16ELi16EEEvPcNS1_25CatArrInputTensorMetadataIT_T0_XT2_EXT3_EEENS1_16TensorSizeStrideIS8_Lj4EEEiS8_.has_dyn_sized_stack, 0
	.set _ZN2at6native12_GLOBAL__N_130CatArrayBatchedCopy_vectorizedINS1_10OpaqueTypeILj1EEEjLi4ELi64ELi64ELi16ELi16EEEvPcNS1_25CatArrInputTensorMetadataIT_T0_XT2_EXT3_EEENS1_16TensorSizeStrideIS8_Lj4EEEiS8_.has_recursion, 0
	.set _ZN2at6native12_GLOBAL__N_130CatArrayBatchedCopy_vectorizedINS1_10OpaqueTypeILj1EEEjLi4ELi64ELi64ELi16ELi16EEEvPcNS1_25CatArrInputTensorMetadataIT_T0_XT2_EXT3_EEENS1_16TensorSizeStrideIS8_Lj4EEEiS8_.has_indirect_call, 0
	.section	.AMDGPU.csdata,"",@progbits
; Kernel info:
; codeLenInByte = 708
; TotalNumSgprs: 30
; NumVgprs: 16
; NumAgprs: 0
; TotalNumVgprs: 16
; ScratchSize: 0
; MemoryBound: 0
; FloatMode: 240
; IeeeMode: 1
; LDSByteSize: 0 bytes/workgroup (compile time only)
; SGPRBlocks: 3
; VGPRBlocks: 1
; NumSGPRsForWavesPerEU: 30
; NumVGPRsForWavesPerEU: 16
; AccumOffset: 16
; Occupancy: 8
; WaveLimiterHint : 1
; COMPUTE_PGM_RSRC2:SCRATCH_EN: 0
; COMPUTE_PGM_RSRC2:USER_SGPR: 2
; COMPUTE_PGM_RSRC2:TRAP_HANDLER: 0
; COMPUTE_PGM_RSRC2:TGID_X_EN: 1
; COMPUTE_PGM_RSRC2:TGID_Y_EN: 1
; COMPUTE_PGM_RSRC2:TGID_Z_EN: 0
; COMPUTE_PGM_RSRC2:TIDIG_COMP_CNT: 0
; COMPUTE_PGM_RSRC3_GFX90A:ACCUM_OFFSET: 3
; COMPUTE_PGM_RSRC3_GFX90A:TG_SPLIT: 0
	.section	.text._ZN2at6native12_GLOBAL__N_135CatArrayBatchedCopy_alignedK_contigINS1_10OpaqueTypeILj1EEEjLi4ELi64ELi64ELi16EEEvPT_NS1_25CatArrInputTensorMetadataIS5_T0_XT2_EXT3_EEENS1_16TensorSizeStrideIS8_Lj4EEEiS8_,"axG",@progbits,_ZN2at6native12_GLOBAL__N_135CatArrayBatchedCopy_alignedK_contigINS1_10OpaqueTypeILj1EEEjLi4ELi64ELi64ELi16EEEvPT_NS1_25CatArrInputTensorMetadataIS5_T0_XT2_EXT3_EEENS1_16TensorSizeStrideIS8_Lj4EEEiS8_,comdat
	.globl	_ZN2at6native12_GLOBAL__N_135CatArrayBatchedCopy_alignedK_contigINS1_10OpaqueTypeILj1EEEjLi4ELi64ELi64ELi16EEEvPT_NS1_25CatArrInputTensorMetadataIS5_T0_XT2_EXT3_EEENS1_16TensorSizeStrideIS8_Lj4EEEiS8_ ; -- Begin function _ZN2at6native12_GLOBAL__N_135CatArrayBatchedCopy_alignedK_contigINS1_10OpaqueTypeILj1EEEjLi4ELi64ELi64ELi16EEEvPT_NS1_25CatArrInputTensorMetadataIS5_T0_XT2_EXT3_EEENS1_16TensorSizeStrideIS8_Lj4EEEiS8_
	.p2align	8
	.type	_ZN2at6native12_GLOBAL__N_135CatArrayBatchedCopy_alignedK_contigINS1_10OpaqueTypeILj1EEEjLi4ELi64ELi64ELi16EEEvPT_NS1_25CatArrInputTensorMetadataIS5_T0_XT2_EXT3_EEENS1_16TensorSizeStrideIS8_Lj4EEEiS8_,@function
_ZN2at6native12_GLOBAL__N_135CatArrayBatchedCopy_alignedK_contigINS1_10OpaqueTypeILj1EEEjLi4ELi64ELi64ELi16EEEvPT_NS1_25CatArrInputTensorMetadataIS5_T0_XT2_EXT3_EEENS1_16TensorSizeStrideIS8_Lj4EEEiS8_: ; @_ZN2at6native12_GLOBAL__N_135CatArrayBatchedCopy_alignedK_contigINS1_10OpaqueTypeILj1EEEjLi4ELi64ELi64ELi16EEEvPT_NS1_25CatArrInputTensorMetadataIS5_T0_XT2_EXT3_EEENS1_16TensorSizeStrideIS8_Lj4EEEiS8_
; %bb.0:
	s_mov_b32 s4, s3
	s_load_dword s3, s[0:1], 0xd7c
	s_add_u32 s18, s0, 0xd70
	s_mov_b32 s5, 0
	s_addc_u32 s19, s1, 0
	s_lshl_b64 s[4:5], s[4:5], 2
	s_waitcnt lgkmcnt(0)
	s_and_b32 s20, s3, 0xffff
	s_add_u32 s6, s0, s4
	s_addc_u32 s7, s1, s5
	s_load_dword s22, s[6:7], 0x408
	s_mul_i32 s2, s2, s20
	v_add_lshl_u32 v16, s2, v0, 4
	s_add_u32 s6, s6, 8
	s_addc_u32 s7, s7, 0
	s_waitcnt lgkmcnt(0)
	v_cmp_gt_u32_e32 vcc, s22, v16
	s_and_saveexec_b64 s[2:3], vcc
	s_cbranch_execz .LBB116_10
; %bb.1:
	s_add_u32 s14, s6, s4
	s_addc_u32 s15, s7, s5
	s_sub_u32 s4, 0, s4
	s_load_dwordx2 s[2:3], s[0:1], 0x0
	s_subb_u32 s5, 0, s5
	s_add_u32 s16, s14, s4
	s_addc_u32 s17, s15, s5
	s_load_dword s21, s[0:1], 0xd6c
	s_load_dword s23, s[16:17], 0x200
	s_load_dwordx8 s[4:11], s[0:1], 0xd4c
	s_load_dwordx2 s[12:13], s[14:15], 0x0
	s_load_dword s24, s[16:17], 0x300
	v_add_u32_e32 v0, 16, v16
	s_mov_b64 s[14:15], 0
	s_waitcnt lgkmcnt(0)
	s_mul_i32 s23, s23, s21
	v_cmp_ge_u32_e32 vcc, s22, v0
	s_and_saveexec_b64 s[16:17], vcc
	s_cbranch_execz .LBB116_7
; %bb.2:
	s_load_dword s0, s[18:19], 0x0
	v_mov_b32_e32 v17, 0
	s_mov_b32 s19, 0
	v_add_u32_e32 v22, 1, v16
	v_mov_b32_e32 v4, v17
	s_waitcnt lgkmcnt(0)
	s_mul_i32 s0, s0, s20
	s_lshl_b32 s18, s0, 4
	s_cmp_eq_u32 s11, 3
	s_cselect_b32 s25, s24, s6
	s_cmp_eq_u32 s11, 2
	v_cvt_f32_u32_e32 v0, s25
	s_cselect_b32 s26, s24, s5
	s_cmp_eq_u32 s11, 1
	v_cvt_f32_u32_e32 v1, s26
	s_cselect_b32 s27, s24, s4
	v_rcp_iflag_f32_e32 v0, v0
	v_cvt_f32_u32_e32 v2, s27
	v_rcp_iflag_f32_e32 v1, v1
	s_sub_i32 s28, 0, s25
	v_mul_f32_e32 v0, 0x4f7ffffe, v0
	v_rcp_iflag_f32_e32 v2, v2
	v_cvt_u32_f32_e32 v0, v0
	v_mul_f32_e32 v1, 0x4f7ffffe, v1
	v_cvt_u32_f32_e32 v1, v1
	v_mul_f32_e32 v2, 0x4f7ffffe, v2
	v_mul_lo_u32 v3, s28, v0
	v_cvt_u32_f32_e32 v2, v2
	v_mul_hi_u32 v3, v0, v3
	s_sub_i32 s0, 0, s26
	v_add_u32_e32 v19, v0, v3
	v_mul_lo_u32 v0, s0, v1
	v_mul_hi_u32 v0, v1, v0
	s_sub_i32 s0, 0, s27
	v_add_u32_e32 v20, v1, v0
	v_mul_lo_u32 v0, s0, v2
	v_mul_hi_u32 v0, v2, v0
	v_add_u32_e32 v21, v2, v0
	v_mov_b32_e32 v0, v17
	v_mov_b32_e32 v1, v17
	;; [unrolled: 1-line block ×15, first 2 shown]
.LBB116_3:                              ; =>This Loop Header: Depth=1
                                        ;     Child Loop BB116_4 Depth 2
	s_mov_b64 s[20:21], 0
	v_mov_b32_e32 v23, v16
	v_mov_b32_e32 v24, v22
.LBB116_4:                              ;   Parent Loop BB116_3 Depth=1
                                        ; =>  This Inner Loop Header: Depth=2
	v_mul_hi_u32 v25, v19, v24
	v_mul_hi_u32 v26, v19, v23
	v_add_u32_e32 v18, s20, v16
	v_mul_lo_u32 v28, s25, v25
	v_not_b32_e32 v29, v26
	v_mul_hi_u32 v30, v18, v19
	v_mad_u64_u32 v[26:27], s[0:1], s28, v26, v[18:19]
	v_not_b32_e32 v25, v25
	v_add_u32_e32 v27, 1, v18
	v_sub_u32_e32 v31, v22, v28
	v_add_u32_e32 v32, 1, v30
	v_mad_u64_u32 v[28:29], s[0:1], s25, v29, v[18:19]
	v_cmp_le_u32_e32 vcc, s25, v26
	v_mul_lo_u32 v25, s25, v25
	v_mul_hi_u32 v27, v27, v19
	v_cndmask_b32_e32 v29, v30, v32, vcc
	v_cndmask_b32_e32 v26, v26, v28, vcc
	v_add_u32_e32 v28, s20, v31
	v_add_u32_e32 v30, 1, v27
	v_add3_u32 v25, v22, v25, s20
	v_add_u32_e32 v31, 1, v29
	v_cmp_le_u32_e32 vcc, s25, v28
	v_cmp_le_u32_e64 s[0:1], s25, v26
	s_add_i32 s29, s20, 1
	v_cndmask_b32_e32 v30, v27, v30, vcc
	v_cndmask_b32_e64 v31, v29, v31, s[0:1]
	v_cndmask_b32_e32 v25, v28, v25, vcc
	v_add_u32_e32 v28, 1, v30
	v_mul_hi_u32 v32, v31, v20
	v_mad_u64_u32 v[26:27], s[0:1], s28, v31, v[18:19]
	v_cmp_le_u32_e32 vcc, s25, v25
	v_mul_lo_u32 v27, v32, s26
	v_mul_lo_u32 v26, v26, s10
	v_cndmask_b32_e32 v25, v30, v28, vcc
	v_mul_hi_u32 v33, v25, v20
	v_mad_u64_u32 v[28:29], s[0:1], s28, v25, v[18:19]
	v_sub_u32_e32 v18, v31, v27
	v_add_u32_e32 v30, 1, v32
	v_mul_lo_u32 v27, v33, s26
	v_cmp_le_u32_e32 vcc, s26, v18
	v_sub_u32_e32 v27, v25, v27
	v_add_u32_e32 v29, 1, v33
	v_cndmask_b32_e32 v30, v32, v30, vcc
	v_subrev_u32_e32 v32, s26, v18
	v_cndmask_b32_e32 v18, v18, v32, vcc
	v_cmp_le_u32_e32 vcc, s26, v27
	v_add_u32_e32 v32, 1, v30
	v_cmp_le_u32_e64 s[0:1], s26, v18
	v_cndmask_b32_e32 v29, v33, v29, vcc
	v_subrev_u32_e32 v33, s26, v27
	v_cndmask_b32_e64 v18, v30, v32, s[0:1]
	v_cndmask_b32_e32 v27, v27, v33, vcc
	v_add_u32_e32 v30, 1, v29
	v_mul_lo_u32 v32, v18, s26
	v_mul_hi_u32 v33, v18, v21
	v_cmp_le_u32_e32 vcc, s26, v27
	v_sub_u32_e32 v27, v31, v32
	v_mul_lo_u32 v35, v27, s9
	v_cndmask_b32_e32 v29, v29, v30, vcc
	v_mul_lo_u32 v30, v33, s27
	v_sub_u32_e32 v27, v18, v30
	v_add_u32_e32 v31, 1, v33
	v_mul_hi_u32 v34, v29, v21
	v_cmp_le_u32_e32 vcc, s27, v27
	v_mul_lo_u32 v30, v34, s27
	v_mul_lo_u32 v32, v29, s26
	v_cndmask_b32_e32 v31, v33, v31, vcc
	v_subrev_u32_e32 v33, s27, v27
	v_sub_u32_e32 v30, v29, v30
	v_cndmask_b32_e32 v27, v27, v33, vcc
	v_sub_u32_e32 v25, v25, v32
	v_add_u32_e32 v32, 1, v34
	v_add_u32_e32 v33, 1, v31
	v_cmp_le_u32_e32 vcc, s27, v30
	v_cmp_le_u32_e64 s[0:1], s27, v27
	v_mul_lo_u32 v28, s10, v28
	v_cndmask_b32_e32 v32, v34, v32, vcc
	v_subrev_u32_e32 v34, s27, v30
	v_cndmask_b32_e64 v27, v31, v33, s[0:1]
	v_cndmask_b32_e32 v30, v30, v34, vcc
	v_mul_lo_u32 v33, v27, s27
	v_add_u32_e32 v31, 1, v32
	v_mad_u64_u32 v[26:27], s[0:1], v27, s7, v[26:27]
	v_cmp_le_u32_e32 vcc, s27, v30
	v_sub_u32_e32 v18, v18, v33
	v_mul_lo_u32 v18, v18, s8
	v_cndmask_b32_e32 v27, v32, v31, vcc
	v_mul_lo_u32 v30, v27, s27
	v_add3_u32 v18, v26, v35, v18
	s_set_gpr_idx_on s20, gpr_idx(DST)
	v_mov_b32_e32 v0, v18
	s_set_gpr_idx_off
	s_add_u32 s20, s20, 2
	v_mul_lo_u32 v27, v27, s7
	v_sub_u32_e32 v29, v29, v30
	s_addc_u32 s21, s21, 0
	v_add_u32_e32 v24, 2, v24
	v_add_u32_e32 v23, 2, v23
	v_mul_lo_u32 v25, v25, s9
	v_add3_u32 v27, v28, s10, v27
	v_mul_lo_u32 v26, v29, s8
	s_cmp_eq_u32 s20, 16
	v_add3_u32 v18, v27, v25, v26
	s_set_gpr_idx_on s29, gpr_idx(DST)
	v_mov_b32_e32 v0, v18
	s_set_gpr_idx_off
	s_cbranch_scc0 .LBB116_4
; %bb.5:                                ;   in Loop: Header=BB116_3 Depth=1
	global_load_dwordx4 v[24:27], v16, s[12:13]
	v_lshl_add_u64 v[16:17], v[16:17], 0, s[18:19]
	v_add_u32_e32 v42, 16, v16
	v_cmp_lt_u32_e32 vcc, s22, v42
	v_add_u32_e32 v18, s23, v0
	s_or_b64 s[14:15], vcc, s[14:15]
	v_add_u32_e32 v22, s18, v22
	v_add_u32_e32 v23, s23, v1
	;; [unrolled: 1-line block ×16, first 2 shown]
	s_waitcnt vmcnt(0)
	v_lshrrev_b32_e32 v42, 8, v24
	v_lshrrev_b32_e32 v43, 24, v24
	;; [unrolled: 1-line block ×8, first 2 shown]
	global_store_byte v18, v24, s[2:3]
	global_store_byte v23, v42, s[2:3]
	global_store_byte_d16_hi v28, v24, s[2:3]
	global_store_byte v29, v43, s[2:3]
	global_store_byte v30, v25, s[2:3]
	global_store_byte v31, v44, s[2:3]
	global_store_byte_d16_hi v32, v25, s[2:3]
	global_store_byte v33, v45, s[2:3]
	;; [unrolled: 4-line block ×4, first 2 shown]
	s_andn2_b64 exec, exec, s[14:15]
	s_cbranch_execnz .LBB116_3
; %bb.6:
	s_or_b64 exec, exec, s[14:15]
.LBB116_7:
	s_or_b64 exec, exec, s[16:17]
	v_cmp_gt_u32_e32 vcc, s22, v16
	s_and_b64 exec, exec, vcc
	s_cbranch_execz .LBB116_10
; %bb.8:
	s_cmp_eq_u32 s11, 3
	s_cselect_b32 s6, s24, s6
	v_cvt_f32_u32_e32 v0, s6
	s_cmp_eq_u32 s11, 2
	s_cselect_b32 s5, s24, s5
	v_cvt_f32_u32_e32 v1, s5
	v_rcp_iflag_f32_e32 v0, v0
	s_cmp_eq_u32 s11, 1
	s_cselect_b32 s4, s24, s4
	v_cvt_f32_u32_e32 v2, s4
	v_mul_f32_e32 v0, 0x4f7ffffe, v0
	v_cvt_u32_f32_e32 v0, v0
	v_rcp_iflag_f32_e32 v1, v1
	s_sub_i32 s11, 0, s6
	v_rcp_iflag_f32_e32 v2, v2
	v_mul_lo_u32 v3, s11, v0
	v_mul_f32_e32 v1, 0x4f7ffffe, v1
	v_mul_hi_u32 v3, v0, v3
	v_add_u32_e32 v0, v0, v3
	v_cvt_u32_f32_e32 v3, v1
	v_mul_f32_e32 v2, 0x4f7ffffe, v2
	v_cvt_u32_f32_e32 v2, v2
	s_sub_i32 s0, 0, s5
	v_mul_lo_u32 v4, s0, v3
	v_mul_hi_u32 v4, v3, v4
	s_sub_i32 s0, 0, s4
	v_add_u32_e32 v4, v3, v4
	v_mul_lo_u32 v3, s0, v2
	v_mul_hi_u32 v3, v2, v3
	v_mov_b32_e32 v1, 0
	v_add_u32_e32 v5, v2, v3
	v_mad_u64_u32 v[2:3], s[0:1], v16, v0, 0
	v_mov_b32_e32 v17, v1
	s_mov_b64 s[0:1], 0
.LBB116_9:                              ; =>This Inner Loop Header: Depth=1
	v_lshl_add_u64 v[6:7], s[12:13], 0, v[16:17]
	global_load_ubyte v8, v[6:7], off
	v_mul_lo_u32 v6, s6, v3
	v_not_b32_e32 v7, v3
	v_sub_u32_e32 v10, v16, v6
	v_add_u32_e32 v9, 1, v3
	v_mad_u64_u32 v[6:7], s[14:15], s6, v7, v[16:17]
	v_cmp_le_u32_e32 vcc, s6, v10
	s_nop 1
	v_cndmask_b32_e32 v7, v3, v9, vcc
	v_cndmask_b32_e32 v6, v10, v6, vcc
	v_add_u32_e32 v9, 1, v7
	v_cmp_le_u32_e32 vcc, s6, v6
	v_lshl_add_u64 v[2:3], v[2:3], 0, v[0:1]
	s_nop 0
	v_cndmask_b32_e32 v9, v7, v9, vcc
	v_mul_hi_u32 v10, v9, v4
	v_mad_u64_u32 v[6:7], s[14:15], s11, v9, v[16:17]
	v_lshl_add_u64 v[16:17], v[16:17], 0, 1
	v_mul_lo_u32 v7, v10, s5
	v_cmp_le_u32_e32 vcc, s22, v16
	v_sub_u32_e32 v7, v9, v7
	v_add_u32_e32 v11, 1, v10
	s_or_b64 s[0:1], vcc, s[0:1]
	v_cmp_le_u32_e32 vcc, s5, v7
	v_mul_lo_u32 v6, v6, s10
	s_nop 0
	v_cndmask_b32_e32 v10, v10, v11, vcc
	v_subrev_u32_e32 v11, s5, v7
	v_cndmask_b32_e32 v7, v7, v11, vcc
	v_add_u32_e32 v11, 1, v10
	v_cmp_le_u32_e32 vcc, s5, v7
	s_nop 1
	v_cndmask_b32_e32 v7, v10, v11, vcc
	v_mul_hi_u32 v10, v7, v5
	v_mul_lo_u32 v11, v7, s5
	v_mul_lo_u32 v12, v10, s4
	v_sub_u32_e32 v9, v9, v11
	v_sub_u32_e32 v11, v7, v12
	v_add_u32_e32 v13, 1, v10
	v_cmp_le_u32_e32 vcc, s4, v11
	v_subrev_u32_e32 v12, s4, v11
	v_mul_lo_u32 v9, v9, s9
	v_cndmask_b32_e32 v10, v10, v13, vcc
	v_cndmask_b32_e32 v11, v11, v12, vcc
	v_add_u32_e32 v12, 1, v10
	v_cmp_le_u32_e32 vcc, s4, v11
	s_nop 1
	v_cndmask_b32_e32 v10, v10, v12, vcc
	v_mul_lo_u32 v11, v10, s4
	v_mul_lo_u32 v10, v10, s7
	v_sub_u32_e32 v7, v7, v11
	v_add3_u32 v6, v10, v6, v9
	v_mul_lo_u32 v7, v7, s8
	v_add3_u32 v6, v6, v7, s23
	s_waitcnt vmcnt(0)
	global_store_byte v6, v8, s[2:3]
	s_andn2_b64 exec, exec, s[0:1]
	s_cbranch_execnz .LBB116_9
.LBB116_10:
	s_endpgm
	.section	.rodata,"a",@progbits
	.p2align	6, 0x0
	.amdhsa_kernel _ZN2at6native12_GLOBAL__N_135CatArrayBatchedCopy_alignedK_contigINS1_10OpaqueTypeILj1EEEjLi4ELi64ELi64ELi16EEEvPT_NS1_25CatArrInputTensorMetadataIS5_T0_XT2_EXT3_EEENS1_16TensorSizeStrideIS8_Lj4EEEiS8_
		.amdhsa_group_segment_fixed_size 0
		.amdhsa_private_segment_fixed_size 0
		.amdhsa_kernarg_size 3696
		.amdhsa_user_sgpr_count 2
		.amdhsa_user_sgpr_dispatch_ptr 0
		.amdhsa_user_sgpr_queue_ptr 0
		.amdhsa_user_sgpr_kernarg_segment_ptr 1
		.amdhsa_user_sgpr_dispatch_id 0
		.amdhsa_user_sgpr_kernarg_preload_length 0
		.amdhsa_user_sgpr_kernarg_preload_offset 0
		.amdhsa_user_sgpr_private_segment_size 0
		.amdhsa_uses_dynamic_stack 0
		.amdhsa_enable_private_segment 0
		.amdhsa_system_sgpr_workgroup_id_x 1
		.amdhsa_system_sgpr_workgroup_id_y 1
		.amdhsa_system_sgpr_workgroup_id_z 0
		.amdhsa_system_sgpr_workgroup_info 0
		.amdhsa_system_vgpr_workitem_id 0
		.amdhsa_next_free_vgpr 50
		.amdhsa_next_free_sgpr 30
		.amdhsa_accum_offset 52
		.amdhsa_reserve_vcc 1
		.amdhsa_float_round_mode_32 0
		.amdhsa_float_round_mode_16_64 0
		.amdhsa_float_denorm_mode_32 3
		.amdhsa_float_denorm_mode_16_64 3
		.amdhsa_dx10_clamp 1
		.amdhsa_ieee_mode 1
		.amdhsa_fp16_overflow 0
		.amdhsa_tg_split 0
		.amdhsa_exception_fp_ieee_invalid_op 0
		.amdhsa_exception_fp_denorm_src 0
		.amdhsa_exception_fp_ieee_div_zero 0
		.amdhsa_exception_fp_ieee_overflow 0
		.amdhsa_exception_fp_ieee_underflow 0
		.amdhsa_exception_fp_ieee_inexact 0
		.amdhsa_exception_int_div_zero 0
	.end_amdhsa_kernel
	.section	.text._ZN2at6native12_GLOBAL__N_135CatArrayBatchedCopy_alignedK_contigINS1_10OpaqueTypeILj1EEEjLi4ELi64ELi64ELi16EEEvPT_NS1_25CatArrInputTensorMetadataIS5_T0_XT2_EXT3_EEENS1_16TensorSizeStrideIS8_Lj4EEEiS8_,"axG",@progbits,_ZN2at6native12_GLOBAL__N_135CatArrayBatchedCopy_alignedK_contigINS1_10OpaqueTypeILj1EEEjLi4ELi64ELi64ELi16EEEvPT_NS1_25CatArrInputTensorMetadataIS5_T0_XT2_EXT3_EEENS1_16TensorSizeStrideIS8_Lj4EEEiS8_,comdat
.Lfunc_end116:
	.size	_ZN2at6native12_GLOBAL__N_135CatArrayBatchedCopy_alignedK_contigINS1_10OpaqueTypeILj1EEEjLi4ELi64ELi64ELi16EEEvPT_NS1_25CatArrInputTensorMetadataIS5_T0_XT2_EXT3_EEENS1_16TensorSizeStrideIS8_Lj4EEEiS8_, .Lfunc_end116-_ZN2at6native12_GLOBAL__N_135CatArrayBatchedCopy_alignedK_contigINS1_10OpaqueTypeILj1EEEjLi4ELi64ELi64ELi16EEEvPT_NS1_25CatArrInputTensorMetadataIS5_T0_XT2_EXT3_EEENS1_16TensorSizeStrideIS8_Lj4EEEiS8_
                                        ; -- End function
	.set _ZN2at6native12_GLOBAL__N_135CatArrayBatchedCopy_alignedK_contigINS1_10OpaqueTypeILj1EEEjLi4ELi64ELi64ELi16EEEvPT_NS1_25CatArrInputTensorMetadataIS5_T0_XT2_EXT3_EEENS1_16TensorSizeStrideIS8_Lj4EEEiS8_.num_vgpr, 50
	.set _ZN2at6native12_GLOBAL__N_135CatArrayBatchedCopy_alignedK_contigINS1_10OpaqueTypeILj1EEEjLi4ELi64ELi64ELi16EEEvPT_NS1_25CatArrInputTensorMetadataIS5_T0_XT2_EXT3_EEENS1_16TensorSizeStrideIS8_Lj4EEEiS8_.num_agpr, 0
	.set _ZN2at6native12_GLOBAL__N_135CatArrayBatchedCopy_alignedK_contigINS1_10OpaqueTypeILj1EEEjLi4ELi64ELi64ELi16EEEvPT_NS1_25CatArrInputTensorMetadataIS5_T0_XT2_EXT3_EEENS1_16TensorSizeStrideIS8_Lj4EEEiS8_.numbered_sgpr, 30
	.set _ZN2at6native12_GLOBAL__N_135CatArrayBatchedCopy_alignedK_contigINS1_10OpaqueTypeILj1EEEjLi4ELi64ELi64ELi16EEEvPT_NS1_25CatArrInputTensorMetadataIS5_T0_XT2_EXT3_EEENS1_16TensorSizeStrideIS8_Lj4EEEiS8_.num_named_barrier, 0
	.set _ZN2at6native12_GLOBAL__N_135CatArrayBatchedCopy_alignedK_contigINS1_10OpaqueTypeILj1EEEjLi4ELi64ELi64ELi16EEEvPT_NS1_25CatArrInputTensorMetadataIS5_T0_XT2_EXT3_EEENS1_16TensorSizeStrideIS8_Lj4EEEiS8_.private_seg_size, 0
	.set _ZN2at6native12_GLOBAL__N_135CatArrayBatchedCopy_alignedK_contigINS1_10OpaqueTypeILj1EEEjLi4ELi64ELi64ELi16EEEvPT_NS1_25CatArrInputTensorMetadataIS5_T0_XT2_EXT3_EEENS1_16TensorSizeStrideIS8_Lj4EEEiS8_.uses_vcc, 1
	.set _ZN2at6native12_GLOBAL__N_135CatArrayBatchedCopy_alignedK_contigINS1_10OpaqueTypeILj1EEEjLi4ELi64ELi64ELi16EEEvPT_NS1_25CatArrInputTensorMetadataIS5_T0_XT2_EXT3_EEENS1_16TensorSizeStrideIS8_Lj4EEEiS8_.uses_flat_scratch, 0
	.set _ZN2at6native12_GLOBAL__N_135CatArrayBatchedCopy_alignedK_contigINS1_10OpaqueTypeILj1EEEjLi4ELi64ELi64ELi16EEEvPT_NS1_25CatArrInputTensorMetadataIS5_T0_XT2_EXT3_EEENS1_16TensorSizeStrideIS8_Lj4EEEiS8_.has_dyn_sized_stack, 0
	.set _ZN2at6native12_GLOBAL__N_135CatArrayBatchedCopy_alignedK_contigINS1_10OpaqueTypeILj1EEEjLi4ELi64ELi64ELi16EEEvPT_NS1_25CatArrInputTensorMetadataIS5_T0_XT2_EXT3_EEENS1_16TensorSizeStrideIS8_Lj4EEEiS8_.has_recursion, 0
	.set _ZN2at6native12_GLOBAL__N_135CatArrayBatchedCopy_alignedK_contigINS1_10OpaqueTypeILj1EEEjLi4ELi64ELi64ELi16EEEvPT_NS1_25CatArrInputTensorMetadataIS5_T0_XT2_EXT3_EEENS1_16TensorSizeStrideIS8_Lj4EEEiS8_.has_indirect_call, 0
	.section	.AMDGPU.csdata,"",@progbits
; Kernel info:
; codeLenInByte = 1832
; TotalNumSgprs: 36
; NumVgprs: 50
; NumAgprs: 0
; TotalNumVgprs: 50
; ScratchSize: 0
; MemoryBound: 0
; FloatMode: 240
; IeeeMode: 1
; LDSByteSize: 0 bytes/workgroup (compile time only)
; SGPRBlocks: 4
; VGPRBlocks: 6
; NumSGPRsForWavesPerEU: 36
; NumVGPRsForWavesPerEU: 50
; AccumOffset: 52
; Occupancy: 8
; WaveLimiterHint : 1
; COMPUTE_PGM_RSRC2:SCRATCH_EN: 0
; COMPUTE_PGM_RSRC2:USER_SGPR: 2
; COMPUTE_PGM_RSRC2:TRAP_HANDLER: 0
; COMPUTE_PGM_RSRC2:TGID_X_EN: 1
; COMPUTE_PGM_RSRC2:TGID_Y_EN: 1
; COMPUTE_PGM_RSRC2:TGID_Z_EN: 0
; COMPUTE_PGM_RSRC2:TIDIG_COMP_CNT: 0
; COMPUTE_PGM_RSRC3_GFX90A:ACCUM_OFFSET: 12
; COMPUTE_PGM_RSRC3_GFX90A:TG_SPLIT: 0
	.section	.text._ZN2at6native12_GLOBAL__N_135CatArrayBatchedCopy_alignedK_contigINS1_10OpaqueTypeILj1EEEjLi4ELi64ELi64ELi8EEEvPT_NS1_25CatArrInputTensorMetadataIS5_T0_XT2_EXT3_EEENS1_16TensorSizeStrideIS8_Lj4EEEiS8_,"axG",@progbits,_ZN2at6native12_GLOBAL__N_135CatArrayBatchedCopy_alignedK_contigINS1_10OpaqueTypeILj1EEEjLi4ELi64ELi64ELi8EEEvPT_NS1_25CatArrInputTensorMetadataIS5_T0_XT2_EXT3_EEENS1_16TensorSizeStrideIS8_Lj4EEEiS8_,comdat
	.globl	_ZN2at6native12_GLOBAL__N_135CatArrayBatchedCopy_alignedK_contigINS1_10OpaqueTypeILj1EEEjLi4ELi64ELi64ELi8EEEvPT_NS1_25CatArrInputTensorMetadataIS5_T0_XT2_EXT3_EEENS1_16TensorSizeStrideIS8_Lj4EEEiS8_ ; -- Begin function _ZN2at6native12_GLOBAL__N_135CatArrayBatchedCopy_alignedK_contigINS1_10OpaqueTypeILj1EEEjLi4ELi64ELi64ELi8EEEvPT_NS1_25CatArrInputTensorMetadataIS5_T0_XT2_EXT3_EEENS1_16TensorSizeStrideIS8_Lj4EEEiS8_
	.p2align	8
	.type	_ZN2at6native12_GLOBAL__N_135CatArrayBatchedCopy_alignedK_contigINS1_10OpaqueTypeILj1EEEjLi4ELi64ELi64ELi8EEEvPT_NS1_25CatArrInputTensorMetadataIS5_T0_XT2_EXT3_EEENS1_16TensorSizeStrideIS8_Lj4EEEiS8_,@function
_ZN2at6native12_GLOBAL__N_135CatArrayBatchedCopy_alignedK_contigINS1_10OpaqueTypeILj1EEEjLi4ELi64ELi64ELi8EEEvPT_NS1_25CatArrInputTensorMetadataIS5_T0_XT2_EXT3_EEENS1_16TensorSizeStrideIS8_Lj4EEEiS8_: ; @_ZN2at6native12_GLOBAL__N_135CatArrayBatchedCopy_alignedK_contigINS1_10OpaqueTypeILj1EEEjLi4ELi64ELi64ELi8EEEvPT_NS1_25CatArrInputTensorMetadataIS5_T0_XT2_EXT3_EEENS1_16TensorSizeStrideIS8_Lj4EEEiS8_
; %bb.0:
	s_mov_b32 s4, s3
	s_load_dword s3, s[0:1], 0xd7c
	s_add_u32 s18, s0, 0xd70
	s_mov_b32 s5, 0
	s_addc_u32 s19, s1, 0
	s_lshl_b64 s[4:5], s[4:5], 2
	s_waitcnt lgkmcnt(0)
	s_and_b32 s20, s3, 0xffff
	s_add_u32 s6, s0, s4
	s_addc_u32 s7, s1, s5
	s_load_dword s22, s[6:7], 0x408
	s_mul_i32 s2, s2, s20
	v_add_lshl_u32 v8, s2, v0, 3
	s_add_u32 s6, s6, 8
	s_addc_u32 s7, s7, 0
	s_waitcnt lgkmcnt(0)
	v_cmp_gt_u32_e32 vcc, s22, v8
	s_and_saveexec_b64 s[2:3], vcc
	s_cbranch_execz .LBB117_10
; %bb.1:
	s_add_u32 s14, s6, s4
	s_addc_u32 s15, s7, s5
	s_sub_u32 s4, 0, s4
	s_load_dwordx2 s[2:3], s[0:1], 0x0
	s_subb_u32 s5, 0, s5
	s_add_u32 s16, s14, s4
	s_addc_u32 s17, s15, s5
	s_load_dword s21, s[0:1], 0xd6c
	s_load_dword s23, s[16:17], 0x200
	s_load_dwordx8 s[4:11], s[0:1], 0xd4c
	s_load_dwordx2 s[12:13], s[14:15], 0x0
	s_load_dword s24, s[16:17], 0x300
	v_add_u32_e32 v0, 8, v8
	s_mov_b64 s[14:15], 0
	s_waitcnt lgkmcnt(0)
	s_mul_i32 s23, s23, s21
	v_cmp_ge_u32_e32 vcc, s22, v0
	s_and_saveexec_b64 s[16:17], vcc
	s_cbranch_execz .LBB117_7
; %bb.2:
	s_load_dword s0, s[18:19], 0x0
	v_mov_b32_e32 v9, 0
	s_mov_b32 s19, 0
	v_add_u32_e32 v13, 1, v8
	v_mov_b32_e32 v4, v9
	s_waitcnt lgkmcnt(0)
	s_mul_i32 s0, s0, s20
	s_lshl_b32 s18, s0, 3
	s_cmp_eq_u32 s11, 3
	s_cselect_b32 s25, s24, s6
	s_cmp_eq_u32 s11, 2
	v_cvt_f32_u32_e32 v0, s25
	s_cselect_b32 s26, s24, s5
	s_cmp_eq_u32 s11, 1
	v_cvt_f32_u32_e32 v1, s26
	s_cselect_b32 s27, s24, s4
	v_rcp_iflag_f32_e32 v0, v0
	v_cvt_f32_u32_e32 v2, s27
	v_rcp_iflag_f32_e32 v1, v1
	s_sub_i32 s28, 0, s25
	v_mul_f32_e32 v0, 0x4f7ffffe, v0
	v_rcp_iflag_f32_e32 v2, v2
	v_cvt_u32_f32_e32 v0, v0
	v_mul_f32_e32 v1, 0x4f7ffffe, v1
	v_cvt_u32_f32_e32 v1, v1
	v_mul_f32_e32 v2, 0x4f7ffffe, v2
	v_mul_lo_u32 v3, s28, v0
	v_cvt_u32_f32_e32 v2, v2
	v_mul_hi_u32 v3, v0, v3
	s_sub_i32 s0, 0, s26
	v_add_u32_e32 v10, v0, v3
	v_mul_lo_u32 v0, s0, v1
	v_mul_hi_u32 v0, v1, v0
	s_sub_i32 s0, 0, s27
	v_add_u32_e32 v11, v1, v0
	v_mul_lo_u32 v0, s0, v2
	v_mul_hi_u32 v0, v2, v0
	v_add_u32_e32 v12, v2, v0
	v_mov_b32_e32 v0, v9
	v_mov_b32_e32 v1, v9
	;; [unrolled: 1-line block ×7, first 2 shown]
.LBB117_3:                              ; =>This Loop Header: Depth=1
                                        ;     Child Loop BB117_4 Depth 2
	s_mov_b64 s[20:21], 0
	v_mov_b32_e32 v14, v8
	v_mov_b32_e32 v15, v13
.LBB117_4:                              ;   Parent Loop BB117_3 Depth=1
                                        ; =>  This Inner Loop Header: Depth=2
	v_mul_hi_u32 v17, v10, v14
	v_add_u32_e32 v16, s20, v8
	v_mul_hi_u32 v20, v16, v10
	v_mad_u64_u32 v[18:19], s[0:1], s28, v17, v[16:17]
	v_add_u32_e32 v21, 1, v20
	v_cmp_le_u32_e32 vcc, s25, v18
	v_not_b32_e32 v17, v17
	s_cmp_eq_u32 s20, 0
	v_cndmask_b32_e32 v19, v20, v21, vcc
	v_mad_u64_u32 v[20:21], s[0:1], s25, v17, v[16:17]
	v_cndmask_b32_e32 v17, v18, v20, vcc
	v_add_u32_e32 v18, 1, v19
	v_cmp_le_u32_e32 vcc, s25, v17
	v_add_u32_e32 v14, 2, v14
	s_nop 0
	v_cndmask_b32_e32 v17, v19, v18, vcc
	v_mul_hi_u32 v18, v17, v11
	v_mul_lo_u32 v19, v18, s26
	v_sub_u32_e32 v19, v17, v19
	v_add_u32_e32 v20, 1, v18
	v_cmp_le_u32_e32 vcc, s26, v19
	s_nop 1
	v_cndmask_b32_e32 v18, v18, v20, vcc
	v_subrev_u32_e32 v20, s26, v19
	v_cndmask_b32_e32 v19, v19, v20, vcc
	v_add_u32_e32 v20, 1, v18
	v_cmp_le_u32_e32 vcc, s26, v19
	s_nop 1
	v_cndmask_b32_e32 v20, v18, v20, vcc
	v_mul_hi_u32 v18, v20, v12
	v_mul_lo_u32 v19, v18, s27
	v_sub_u32_e32 v19, v20, v19
	v_add_u32_e32 v21, 1, v18
	v_cmp_le_u32_e32 vcc, s27, v19
	s_nop 1
	v_cndmask_b32_e32 v18, v18, v21, vcc
	v_subrev_u32_e32 v21, s27, v19
	v_cndmask_b32_e32 v19, v19, v21, vcc
	v_add_u32_e32 v21, 1, v18
	v_cmp_le_u32_e32 vcc, s27, v19
	s_nop 1
	v_cndmask_b32_e32 v21, v18, v21, vcc
	v_mul_lo_u32 v18, v20, s26
	v_sub_u32_e32 v22, v17, v18
	v_mad_u64_u32 v[18:19], s[0:1], s28, v17, v[16:17]
	v_mul_lo_u32 v18, v18, s10
	v_mul_lo_u32 v17, v21, s27
	v_mad_u64_u32 v[18:19], s[0:1], v21, s7, v[18:19]
	v_sub_u32_e32 v17, v20, v17
	v_mul_lo_u32 v19, v22, s9
	v_mul_lo_u32 v17, v17, s8
	v_add3_u32 v17, v18, v19, v17
	s_cselect_b64 vcc, -1, 0
	s_cmp_eq_u32 s20, 1
	v_cndmask_b32_e32 v18, v0, v17, vcc
	s_cselect_b64 vcc, -1, 0
	v_mul_hi_u32 v0, v10, v15
	v_cndmask_b32_e32 v19, v1, v17, vcc
	v_mul_lo_u32 v1, s25, v0
	v_sub_u32_e32 v1, v13, v1
	v_add_u32_e32 v20, 1, v16
	v_not_b32_e32 v0, v0
	v_mul_hi_u32 v20, v20, v10
	v_add_u32_e32 v1, s20, v1
	v_mul_lo_u32 v0, s25, v0
	v_add_u32_e32 v21, 1, v20
	v_cmp_le_u32_e32 vcc, s25, v1
	v_add3_u32 v0, v13, v0, s20
	s_cmp_eq_u32 s20, 2
	v_cndmask_b32_e32 v20, v20, v21, vcc
	v_cndmask_b32_e32 v0, v1, v0, vcc
	v_add_u32_e32 v1, 1, v20
	v_cmp_le_u32_e32 vcc, s25, v0
	v_add_u32_e32 v15, 2, v15
	s_nop 0
	v_cndmask_b32_e32 v20, v20, v1, vcc
	v_mad_u64_u32 v[0:1], s[0:1], s28, v20, v[16:17]
	v_mul_hi_u32 v1, v20, v11
	v_mul_lo_u32 v16, v1, s26
	v_sub_u32_e32 v16, v20, v16
	v_add_u32_e32 v21, 1, v1
	v_cmp_le_u32_e32 vcc, s26, v16
	v_mul_lo_u32 v0, s10, v0
	s_nop 0
	v_cndmask_b32_e32 v1, v1, v21, vcc
	v_subrev_u32_e32 v21, s26, v16
	v_cndmask_b32_e32 v16, v16, v21, vcc
	v_add_u32_e32 v21, 1, v1
	v_cmp_le_u32_e32 vcc, s26, v16
	s_nop 1
	v_cndmask_b32_e32 v1, v1, v21, vcc
	v_mul_lo_u32 v16, v1, s26
	v_sub_u32_e32 v16, v20, v16
	v_mul_hi_u32 v20, v1, v12
	v_mul_lo_u32 v21, v20, s27
	v_sub_u32_e32 v21, v1, v21
	v_add_u32_e32 v22, 1, v20
	v_cmp_le_u32_e32 vcc, s27, v21
	v_mul_lo_u32 v16, v16, s9
	s_nop 0
	v_cndmask_b32_e32 v20, v20, v22, vcc
	v_subrev_u32_e32 v22, s27, v21
	v_cndmask_b32_e32 v21, v21, v22, vcc
	v_add_u32_e32 v22, 1, v20
	v_cmp_le_u32_e32 vcc, s27, v21
	s_nop 1
	v_cndmask_b32_e32 v20, v20, v22, vcc
	v_mul_lo_u32 v21, v20, s27
	v_sub_u32_e32 v1, v1, v21
	v_mul_lo_u32 v20, v20, s7
	v_add3_u32 v0, v0, s10, v20
	v_mul_lo_u32 v1, v1, s8
	s_cselect_b64 vcc, -1, 0
	s_cmp_eq_u32 s20, 3
	v_add3_u32 v0, v0, v16, v1
	v_cndmask_b32_e32 v1, v2, v17, vcc
	s_cselect_b64 vcc, -1, 0
	s_cmp_eq_u32 s20, 4
	v_cndmask_b32_e32 v2, v3, v17, vcc
	s_cselect_b64 vcc, -1, 0
	s_cmp_eq_u32 s20, 5
	;; [unrolled: 3-line block ×4, first 2 shown]
	v_cndmask_b32_e32 v5, v6, v17, vcc
	s_cselect_b64 vcc, -1, 0
	s_add_i32 s0, s20, 1
	s_cmp_eq_u32 s0, 7
	v_cndmask_b32_e32 v6, v7, v17, vcc
	s_cselect_b64 vcc, -1, 0
	s_cmp_eq_u32 s0, 6
	v_cndmask_b32_e32 v7, v6, v0, vcc
	s_cselect_b64 vcc, -1, 0
	;; [unrolled: 3-line block ×7, first 2 shown]
	s_cmp_eq_u32 s0, 0
	s_cselect_b64 s[0:1], -1, 0
	s_add_u32 s20, s20, 2
	s_addc_u32 s21, s21, 0
	s_cmp_eq_u32 s20, 8
	v_cndmask_b32_e32 v1, v19, v0, vcc
	v_cndmask_b32_e64 v0, v18, v0, s[0:1]
	s_cbranch_scc0 .LBB117_4
; %bb.5:                                ;   in Loop: Header=BB117_3 Depth=1
	global_load_dwordx2 v[14:15], v8, s[12:13]
	v_add_u32_e32 v16, s23, v0
	v_lshl_add_u64 v[8:9], v[8:9], 0, s[18:19]
	v_add_u32_e32 v13, s18, v13
	s_waitcnt vmcnt(0)
	global_store_byte v16, v14, s[2:3]
	v_add_u32_e32 v16, s23, v1
	v_lshrrev_b32_e32 v17, 8, v14
	global_store_byte v16, v17, s[2:3]
	v_add_u32_e32 v16, s23, v2
	global_store_byte_d16_hi v16, v14, s[2:3]
	v_add_u32_e32 v16, s23, v3
	v_lshrrev_b32_e32 v14, 24, v14
	global_store_byte v16, v14, s[2:3]
	v_add_u32_e32 v14, s23, v4
	global_store_byte v14, v15, s[2:3]
	v_add_u32_e32 v14, s23, v5
	v_lshrrev_b32_e32 v16, 8, v15
	global_store_byte v14, v16, s[2:3]
	v_add_u32_e32 v14, s23, v6
	global_store_byte_d16_hi v14, v15, s[2:3]
	v_lshrrev_b32_e32 v14, 24, v15
	v_add_u32_e32 v15, s23, v7
	global_store_byte v15, v14, s[2:3]
	v_add_u32_e32 v14, 8, v8
	v_cmp_lt_u32_e32 vcc, s22, v14
	s_or_b64 s[14:15], vcc, s[14:15]
	s_andn2_b64 exec, exec, s[14:15]
	s_cbranch_execnz .LBB117_3
; %bb.6:
	s_or_b64 exec, exec, s[14:15]
.LBB117_7:
	s_or_b64 exec, exec, s[16:17]
	v_cmp_gt_u32_e32 vcc, s22, v8
	s_and_b64 exec, exec, vcc
	s_cbranch_execz .LBB117_10
; %bb.8:
	s_cmp_eq_u32 s11, 3
	s_cselect_b32 s6, s24, s6
	v_cvt_f32_u32_e32 v0, s6
	s_cmp_eq_u32 s11, 2
	s_cselect_b32 s5, s24, s5
	v_cvt_f32_u32_e32 v1, s5
	v_rcp_iflag_f32_e32 v0, v0
	s_cmp_eq_u32 s11, 1
	s_cselect_b32 s4, s24, s4
	v_cvt_f32_u32_e32 v2, s4
	v_mul_f32_e32 v0, 0x4f7ffffe, v0
	v_cvt_u32_f32_e32 v0, v0
	v_rcp_iflag_f32_e32 v1, v1
	s_sub_i32 s11, 0, s6
	v_rcp_iflag_f32_e32 v2, v2
	v_mul_lo_u32 v3, s11, v0
	v_mul_f32_e32 v1, 0x4f7ffffe, v1
	v_mul_hi_u32 v3, v0, v3
	v_add_u32_e32 v0, v0, v3
	v_cvt_u32_f32_e32 v3, v1
	v_mul_f32_e32 v2, 0x4f7ffffe, v2
	v_cvt_u32_f32_e32 v2, v2
	s_sub_i32 s0, 0, s5
	v_mul_lo_u32 v4, s0, v3
	v_mul_hi_u32 v4, v3, v4
	s_sub_i32 s0, 0, s4
	v_add_u32_e32 v4, v3, v4
	v_mul_lo_u32 v3, s0, v2
	v_mul_hi_u32 v3, v2, v3
	v_mov_b32_e32 v1, 0
	v_add_u32_e32 v5, v2, v3
	v_mad_u64_u32 v[2:3], s[0:1], v8, v0, 0
	v_mov_b32_e32 v9, v1
	s_mov_b64 s[0:1], 0
.LBB117_9:                              ; =>This Inner Loop Header: Depth=1
	v_lshl_add_u64 v[6:7], s[12:13], 0, v[8:9]
	global_load_ubyte v10, v[6:7], off
	v_mul_lo_u32 v6, s6, v3
	v_not_b32_e32 v7, v3
	v_sub_u32_e32 v12, v8, v6
	v_add_u32_e32 v11, 1, v3
	v_mad_u64_u32 v[6:7], s[14:15], s6, v7, v[8:9]
	v_cmp_le_u32_e32 vcc, s6, v12
	s_nop 1
	v_cndmask_b32_e32 v7, v3, v11, vcc
	v_cndmask_b32_e32 v6, v12, v6, vcc
	v_add_u32_e32 v11, 1, v7
	v_cmp_le_u32_e32 vcc, s6, v6
	v_lshl_add_u64 v[2:3], v[2:3], 0, v[0:1]
	s_nop 0
	v_cndmask_b32_e32 v11, v7, v11, vcc
	v_mul_hi_u32 v12, v11, v4
	v_mad_u64_u32 v[6:7], s[14:15], s11, v11, v[8:9]
	v_lshl_add_u64 v[8:9], v[8:9], 0, 1
	v_mul_lo_u32 v7, v12, s5
	v_cmp_le_u32_e32 vcc, s22, v8
	v_sub_u32_e32 v7, v11, v7
	v_add_u32_e32 v13, 1, v12
	s_or_b64 s[0:1], vcc, s[0:1]
	v_cmp_le_u32_e32 vcc, s5, v7
	v_mul_lo_u32 v6, v6, s10
	s_nop 0
	v_cndmask_b32_e32 v12, v12, v13, vcc
	v_subrev_u32_e32 v13, s5, v7
	v_cndmask_b32_e32 v7, v7, v13, vcc
	v_add_u32_e32 v13, 1, v12
	v_cmp_le_u32_e32 vcc, s5, v7
	s_nop 1
	v_cndmask_b32_e32 v7, v12, v13, vcc
	v_mul_hi_u32 v12, v7, v5
	v_mul_lo_u32 v13, v7, s5
	v_mul_lo_u32 v14, v12, s4
	v_sub_u32_e32 v11, v11, v13
	v_sub_u32_e32 v13, v7, v14
	v_add_u32_e32 v15, 1, v12
	v_cmp_le_u32_e32 vcc, s4, v13
	v_subrev_u32_e32 v14, s4, v13
	v_mul_lo_u32 v11, v11, s9
	v_cndmask_b32_e32 v12, v12, v15, vcc
	v_cndmask_b32_e32 v13, v13, v14, vcc
	v_add_u32_e32 v14, 1, v12
	v_cmp_le_u32_e32 vcc, s4, v13
	s_nop 1
	v_cndmask_b32_e32 v12, v12, v14, vcc
	v_mul_lo_u32 v13, v12, s4
	v_mul_lo_u32 v12, v12, s7
	v_sub_u32_e32 v7, v7, v13
	v_add3_u32 v6, v12, v6, v11
	v_mul_lo_u32 v7, v7, s8
	v_add3_u32 v6, v6, v7, s23
	s_waitcnt vmcnt(0)
	global_store_byte v6, v10, s[2:3]
	s_andn2_b64 exec, exec, s[0:1]
	s_cbranch_execnz .LBB117_9
.LBB117_10:
	s_endpgm
	.section	.rodata,"a",@progbits
	.p2align	6, 0x0
	.amdhsa_kernel _ZN2at6native12_GLOBAL__N_135CatArrayBatchedCopy_alignedK_contigINS1_10OpaqueTypeILj1EEEjLi4ELi64ELi64ELi8EEEvPT_NS1_25CatArrInputTensorMetadataIS5_T0_XT2_EXT3_EEENS1_16TensorSizeStrideIS8_Lj4EEEiS8_
		.amdhsa_group_segment_fixed_size 0
		.amdhsa_private_segment_fixed_size 0
		.amdhsa_kernarg_size 3696
		.amdhsa_user_sgpr_count 2
		.amdhsa_user_sgpr_dispatch_ptr 0
		.amdhsa_user_sgpr_queue_ptr 0
		.amdhsa_user_sgpr_kernarg_segment_ptr 1
		.amdhsa_user_sgpr_dispatch_id 0
		.amdhsa_user_sgpr_kernarg_preload_length 0
		.amdhsa_user_sgpr_kernarg_preload_offset 0
		.amdhsa_user_sgpr_private_segment_size 0
		.amdhsa_uses_dynamic_stack 0
		.amdhsa_enable_private_segment 0
		.amdhsa_system_sgpr_workgroup_id_x 1
		.amdhsa_system_sgpr_workgroup_id_y 1
		.amdhsa_system_sgpr_workgroup_id_z 0
		.amdhsa_system_sgpr_workgroup_info 0
		.amdhsa_system_vgpr_workitem_id 0
		.amdhsa_next_free_vgpr 23
		.amdhsa_next_free_sgpr 29
		.amdhsa_accum_offset 24
		.amdhsa_reserve_vcc 1
		.amdhsa_float_round_mode_32 0
		.amdhsa_float_round_mode_16_64 0
		.amdhsa_float_denorm_mode_32 3
		.amdhsa_float_denorm_mode_16_64 3
		.amdhsa_dx10_clamp 1
		.amdhsa_ieee_mode 1
		.amdhsa_fp16_overflow 0
		.amdhsa_tg_split 0
		.amdhsa_exception_fp_ieee_invalid_op 0
		.amdhsa_exception_fp_denorm_src 0
		.amdhsa_exception_fp_ieee_div_zero 0
		.amdhsa_exception_fp_ieee_overflow 0
		.amdhsa_exception_fp_ieee_underflow 0
		.amdhsa_exception_fp_ieee_inexact 0
		.amdhsa_exception_int_div_zero 0
	.end_amdhsa_kernel
	.section	.text._ZN2at6native12_GLOBAL__N_135CatArrayBatchedCopy_alignedK_contigINS1_10OpaqueTypeILj1EEEjLi4ELi64ELi64ELi8EEEvPT_NS1_25CatArrInputTensorMetadataIS5_T0_XT2_EXT3_EEENS1_16TensorSizeStrideIS8_Lj4EEEiS8_,"axG",@progbits,_ZN2at6native12_GLOBAL__N_135CatArrayBatchedCopy_alignedK_contigINS1_10OpaqueTypeILj1EEEjLi4ELi64ELi64ELi8EEEvPT_NS1_25CatArrInputTensorMetadataIS5_T0_XT2_EXT3_EEENS1_16TensorSizeStrideIS8_Lj4EEEiS8_,comdat
.Lfunc_end117:
	.size	_ZN2at6native12_GLOBAL__N_135CatArrayBatchedCopy_alignedK_contigINS1_10OpaqueTypeILj1EEEjLi4ELi64ELi64ELi8EEEvPT_NS1_25CatArrInputTensorMetadataIS5_T0_XT2_EXT3_EEENS1_16TensorSizeStrideIS8_Lj4EEEiS8_, .Lfunc_end117-_ZN2at6native12_GLOBAL__N_135CatArrayBatchedCopy_alignedK_contigINS1_10OpaqueTypeILj1EEEjLi4ELi64ELi64ELi8EEEvPT_NS1_25CatArrInputTensorMetadataIS5_T0_XT2_EXT3_EEENS1_16TensorSizeStrideIS8_Lj4EEEiS8_
                                        ; -- End function
	.set _ZN2at6native12_GLOBAL__N_135CatArrayBatchedCopy_alignedK_contigINS1_10OpaqueTypeILj1EEEjLi4ELi64ELi64ELi8EEEvPT_NS1_25CatArrInputTensorMetadataIS5_T0_XT2_EXT3_EEENS1_16TensorSizeStrideIS8_Lj4EEEiS8_.num_vgpr, 23
	.set _ZN2at6native12_GLOBAL__N_135CatArrayBatchedCopy_alignedK_contigINS1_10OpaqueTypeILj1EEEjLi4ELi64ELi64ELi8EEEvPT_NS1_25CatArrInputTensorMetadataIS5_T0_XT2_EXT3_EEENS1_16TensorSizeStrideIS8_Lj4EEEiS8_.num_agpr, 0
	.set _ZN2at6native12_GLOBAL__N_135CatArrayBatchedCopy_alignedK_contigINS1_10OpaqueTypeILj1EEEjLi4ELi64ELi64ELi8EEEvPT_NS1_25CatArrInputTensorMetadataIS5_T0_XT2_EXT3_EEENS1_16TensorSizeStrideIS8_Lj4EEEiS8_.numbered_sgpr, 29
	.set _ZN2at6native12_GLOBAL__N_135CatArrayBatchedCopy_alignedK_contigINS1_10OpaqueTypeILj1EEEjLi4ELi64ELi64ELi8EEEvPT_NS1_25CatArrInputTensorMetadataIS5_T0_XT2_EXT3_EEENS1_16TensorSizeStrideIS8_Lj4EEEiS8_.num_named_barrier, 0
	.set _ZN2at6native12_GLOBAL__N_135CatArrayBatchedCopy_alignedK_contigINS1_10OpaqueTypeILj1EEEjLi4ELi64ELi64ELi8EEEvPT_NS1_25CatArrInputTensorMetadataIS5_T0_XT2_EXT3_EEENS1_16TensorSizeStrideIS8_Lj4EEEiS8_.private_seg_size, 0
	.set _ZN2at6native12_GLOBAL__N_135CatArrayBatchedCopy_alignedK_contigINS1_10OpaqueTypeILj1EEEjLi4ELi64ELi64ELi8EEEvPT_NS1_25CatArrInputTensorMetadataIS5_T0_XT2_EXT3_EEENS1_16TensorSizeStrideIS8_Lj4EEEiS8_.uses_vcc, 1
	.set _ZN2at6native12_GLOBAL__N_135CatArrayBatchedCopy_alignedK_contigINS1_10OpaqueTypeILj1EEEjLi4ELi64ELi64ELi8EEEvPT_NS1_25CatArrInputTensorMetadataIS5_T0_XT2_EXT3_EEENS1_16TensorSizeStrideIS8_Lj4EEEiS8_.uses_flat_scratch, 0
	.set _ZN2at6native12_GLOBAL__N_135CatArrayBatchedCopy_alignedK_contigINS1_10OpaqueTypeILj1EEEjLi4ELi64ELi64ELi8EEEvPT_NS1_25CatArrInputTensorMetadataIS5_T0_XT2_EXT3_EEENS1_16TensorSizeStrideIS8_Lj4EEEiS8_.has_dyn_sized_stack, 0
	.set _ZN2at6native12_GLOBAL__N_135CatArrayBatchedCopy_alignedK_contigINS1_10OpaqueTypeILj1EEEjLi4ELi64ELi64ELi8EEEvPT_NS1_25CatArrInputTensorMetadataIS5_T0_XT2_EXT3_EEENS1_16TensorSizeStrideIS8_Lj4EEEiS8_.has_recursion, 0
	.set _ZN2at6native12_GLOBAL__N_135CatArrayBatchedCopy_alignedK_contigINS1_10OpaqueTypeILj1EEEjLi4ELi64ELi64ELi8EEEvPT_NS1_25CatArrInputTensorMetadataIS5_T0_XT2_EXT3_EEENS1_16TensorSizeStrideIS8_Lj4EEEiS8_.has_indirect_call, 0
	.section	.AMDGPU.csdata,"",@progbits
; Kernel info:
; codeLenInByte = 1876
; TotalNumSgprs: 35
; NumVgprs: 23
; NumAgprs: 0
; TotalNumVgprs: 23
; ScratchSize: 0
; MemoryBound: 0
; FloatMode: 240
; IeeeMode: 1
; LDSByteSize: 0 bytes/workgroup (compile time only)
; SGPRBlocks: 4
; VGPRBlocks: 2
; NumSGPRsForWavesPerEU: 35
; NumVGPRsForWavesPerEU: 23
; AccumOffset: 24
; Occupancy: 8
; WaveLimiterHint : 1
; COMPUTE_PGM_RSRC2:SCRATCH_EN: 0
; COMPUTE_PGM_RSRC2:USER_SGPR: 2
; COMPUTE_PGM_RSRC2:TRAP_HANDLER: 0
; COMPUTE_PGM_RSRC2:TGID_X_EN: 1
; COMPUTE_PGM_RSRC2:TGID_Y_EN: 1
; COMPUTE_PGM_RSRC2:TGID_Z_EN: 0
; COMPUTE_PGM_RSRC2:TIDIG_COMP_CNT: 0
; COMPUTE_PGM_RSRC3_GFX90A:ACCUM_OFFSET: 5
; COMPUTE_PGM_RSRC3_GFX90A:TG_SPLIT: 0
	.section	.text._ZN2at6native12_GLOBAL__N_126CatArrayBatchedCopy_contigINS1_10OpaqueTypeILj1EEEjLi4ELi64ELi64EEEvPT_NS1_25CatArrInputTensorMetadataIS5_T0_XT2_EXT3_EEENS1_16TensorSizeStrideIS8_Lj4EEEiS8_,"axG",@progbits,_ZN2at6native12_GLOBAL__N_126CatArrayBatchedCopy_contigINS1_10OpaqueTypeILj1EEEjLi4ELi64ELi64EEEvPT_NS1_25CatArrInputTensorMetadataIS5_T0_XT2_EXT3_EEENS1_16TensorSizeStrideIS8_Lj4EEEiS8_,comdat
	.globl	_ZN2at6native12_GLOBAL__N_126CatArrayBatchedCopy_contigINS1_10OpaqueTypeILj1EEEjLi4ELi64ELi64EEEvPT_NS1_25CatArrInputTensorMetadataIS5_T0_XT2_EXT3_EEENS1_16TensorSizeStrideIS8_Lj4EEEiS8_ ; -- Begin function _ZN2at6native12_GLOBAL__N_126CatArrayBatchedCopy_contigINS1_10OpaqueTypeILj1EEEjLi4ELi64ELi64EEEvPT_NS1_25CatArrInputTensorMetadataIS5_T0_XT2_EXT3_EEENS1_16TensorSizeStrideIS8_Lj4EEEiS8_
	.p2align	8
	.type	_ZN2at6native12_GLOBAL__N_126CatArrayBatchedCopy_contigINS1_10OpaqueTypeILj1EEEjLi4ELi64ELi64EEEvPT_NS1_25CatArrInputTensorMetadataIS5_T0_XT2_EXT3_EEENS1_16TensorSizeStrideIS8_Lj4EEEiS8_,@function
_ZN2at6native12_GLOBAL__N_126CatArrayBatchedCopy_contigINS1_10OpaqueTypeILj1EEEjLi4ELi64ELi64EEEvPT_NS1_25CatArrInputTensorMetadataIS5_T0_XT2_EXT3_EEENS1_16TensorSizeStrideIS8_Lj4EEEiS8_: ; @_ZN2at6native12_GLOBAL__N_126CatArrayBatchedCopy_contigINS1_10OpaqueTypeILj1EEEjLi4ELi64ELi64EEEvPT_NS1_25CatArrInputTensorMetadataIS5_T0_XT2_EXT3_EEENS1_16TensorSizeStrideIS8_Lj4EEEiS8_
; %bb.0:
	s_mov_b32 s4, s3
	s_load_dword s3, s[0:1], 0xd7c
	s_add_u32 s16, s0, 0xd70
	s_mov_b32 s5, 0
	s_addc_u32 s17, s1, 0
	s_lshl_b64 s[14:15], s[4:5], 2
	s_waitcnt lgkmcnt(0)
	s_and_b32 s19, s3, 0xffff
	s_add_u32 s4, s0, s14
	s_addc_u32 s5, s1, s15
	s_load_dword s18, s[4:5], 0x408
	s_mul_i32 s2, s2, s19
	v_add_u32_e32 v0, s2, v0
	s_add_u32 s20, s4, 8
	s_addc_u32 s21, s5, 0
	s_waitcnt lgkmcnt(0)
	v_cmp_gt_u32_e32 vcc, s18, v0
	s_and_saveexec_b64 s[2:3], vcc
	s_cbranch_execz .LBB118_3
; %bb.1:
	s_add_u32 s20, s20, s14
	s_load_dwordx2 s[2:3], s[0:1], 0xd5c
	s_load_dwordx4 s[4:7], s[0:1], 0xd58
	s_load_dwordx2 s[12:13], s[0:1], 0x0
	s_load_dwordx4 s[8:11], s[0:1], 0xd4c
	s_addc_u32 s21, s21, s15
	s_waitcnt lgkmcnt(0)
	s_sub_u32 s5, 0, s14
	s_subb_u32 s6, 0, s15
	s_add_u32 s22, s20, s5
	s_addc_u32 s23, s21, s6
	s_load_dwordx2 s[24:25], s[0:1], 0xd68
	s_load_dwordx2 s[14:15], s[20:21], 0x0
	s_load_dword s11, s[22:23], 0x300
	s_load_dword s26, s[22:23], 0x200
	s_mov_b32 s5, s7
	s_waitcnt lgkmcnt(0)
	s_cmp_eq_u32 s24, 3
	s_load_dword s16, s[16:17], 0x0
	s_cselect_b32 s6, s11, s10
	v_cvt_f32_u32_e32 v1, s6
	s_cmp_eq_u32 s24, 2
	s_cselect_b32 s9, s11, s9
	s_cmp_eq_u32 s24, 1
	v_cvt_f32_u32_e32 v2, s9
	s_cselect_b32 s8, s11, s8
	v_rcp_iflag_f32_e32 v1, v1
	v_cvt_f32_u32_e32 v4, s8
	v_rcp_iflag_f32_e32 v2, v2
	s_sub_i32 s11, 0, s6
	v_mul_f32_e32 v1, 0x4f7ffffe, v1
	v_rcp_iflag_f32_e32 v4, v4
	v_cvt_u32_f32_e32 v1, v1
	v_mul_f32_e32 v2, 0x4f7ffffe, v2
	v_cvt_u32_f32_e32 v2, v2
	v_mul_f32_e32 v4, 0x4f7ffffe, v4
	v_mul_lo_u32 v3, s11, v1
	v_cvt_u32_f32_e32 v4, v4
	s_waitcnt lgkmcnt(0)
	s_mul_i32 s10, s16, s19
	v_mul_hi_u32 v3, v1, v3
	s_sub_i32 s16, 0, s9
	v_add_u32_e32 v1, v1, v3
	v_mul_lo_u32 v3, s16, v2
	v_mul_hi_u32 v3, v2, v3
	s_sub_i32 s16, 0, s8
	v_add_u32_e32 v2, v2, v3
	v_mul_lo_u32 v3, s16, v4
	v_mul_hi_u32 v3, v4, v3
	s_mov_b64 s[0:1], 0
	s_mul_i32 s7, s26, s25
	v_add_u32_e32 v3, v4, v3
.LBB118_2:                              ; =>This Inner Loop Header: Depth=1
	global_load_ubyte v6, v0, s[14:15]
	v_mul_hi_u32 v7, v1, v0
	v_mul_lo_u32 v4, s6, v7
	v_not_b32_e32 v5, v7
	v_sub_u32_e32 v9, v0, v4
	v_add_u32_e32 v8, 1, v7
	v_mad_u64_u32 v[4:5], s[16:17], s6, v5, v[0:1]
	v_cmp_le_u32_e32 vcc, s6, v9
	s_nop 1
	v_cndmask_b32_e32 v5, v7, v8, vcc
	v_cndmask_b32_e32 v4, v9, v4, vcc
	v_add_u32_e32 v7, 1, v5
	v_cmp_le_u32_e32 vcc, s6, v4
	s_nop 1
	v_cndmask_b32_e32 v7, v5, v7, vcc
	v_mul_hi_u32 v8, v7, v2
	v_mad_u64_u32 v[4:5], s[16:17], s11, v7, v[0:1]
	v_add_u32_e32 v0, s10, v0
	v_mul_lo_u32 v5, v8, s9
	v_cmp_le_u32_e32 vcc, s18, v0
	v_sub_u32_e32 v5, v7, v5
	v_add_u32_e32 v9, 1, v8
	s_or_b64 s[0:1], vcc, s[0:1]
	v_cmp_le_u32_e32 vcc, s9, v5
	v_mul_lo_u32 v4, v4, s5
	s_nop 0
	v_cndmask_b32_e32 v8, v8, v9, vcc
	v_subrev_u32_e32 v9, s9, v5
	v_cndmask_b32_e32 v5, v5, v9, vcc
	v_add_u32_e32 v9, 1, v8
	v_cmp_le_u32_e32 vcc, s9, v5
	s_nop 1
	v_cndmask_b32_e32 v5, v8, v9, vcc
	v_mul_hi_u32 v8, v5, v3
	v_mul_lo_u32 v9, v5, s9
	v_mul_lo_u32 v10, v8, s8
	v_sub_u32_e32 v7, v7, v9
	v_sub_u32_e32 v9, v5, v10
	v_add_u32_e32 v11, 1, v8
	v_cmp_le_u32_e32 vcc, s8, v9
	v_subrev_u32_e32 v10, s8, v9
	v_mul_lo_u32 v7, v7, s3
	v_cndmask_b32_e32 v8, v8, v11, vcc
	v_cndmask_b32_e32 v9, v9, v10, vcc
	v_add_u32_e32 v10, 1, v8
	v_cmp_le_u32_e32 vcc, s8, v9
	s_nop 1
	v_cndmask_b32_e32 v8, v8, v10, vcc
	v_mul_lo_u32 v9, v8, s8
	v_mul_lo_u32 v8, v8, s4
	v_sub_u32_e32 v5, v5, v9
	v_add3_u32 v4, v4, s7, v8
	v_mul_lo_u32 v5, v5, s2
	v_add3_u32 v4, v4, v7, v5
	s_waitcnt vmcnt(0)
	global_store_byte v4, v6, s[12:13]
	s_andn2_b64 exec, exec, s[0:1]
	s_cbranch_execnz .LBB118_2
.LBB118_3:
	s_endpgm
	.section	.rodata,"a",@progbits
	.p2align	6, 0x0
	.amdhsa_kernel _ZN2at6native12_GLOBAL__N_126CatArrayBatchedCopy_contigINS1_10OpaqueTypeILj1EEEjLi4ELi64ELi64EEEvPT_NS1_25CatArrInputTensorMetadataIS5_T0_XT2_EXT3_EEENS1_16TensorSizeStrideIS8_Lj4EEEiS8_
		.amdhsa_group_segment_fixed_size 0
		.amdhsa_private_segment_fixed_size 0
		.amdhsa_kernarg_size 3696
		.amdhsa_user_sgpr_count 2
		.amdhsa_user_sgpr_dispatch_ptr 0
		.amdhsa_user_sgpr_queue_ptr 0
		.amdhsa_user_sgpr_kernarg_segment_ptr 1
		.amdhsa_user_sgpr_dispatch_id 0
		.amdhsa_user_sgpr_kernarg_preload_length 0
		.amdhsa_user_sgpr_kernarg_preload_offset 0
		.amdhsa_user_sgpr_private_segment_size 0
		.amdhsa_uses_dynamic_stack 0
		.amdhsa_enable_private_segment 0
		.amdhsa_system_sgpr_workgroup_id_x 1
		.amdhsa_system_sgpr_workgroup_id_y 1
		.amdhsa_system_sgpr_workgroup_id_z 0
		.amdhsa_system_sgpr_workgroup_info 0
		.amdhsa_system_vgpr_workitem_id 0
		.amdhsa_next_free_vgpr 12
		.amdhsa_next_free_sgpr 27
		.amdhsa_accum_offset 12
		.amdhsa_reserve_vcc 1
		.amdhsa_float_round_mode_32 0
		.amdhsa_float_round_mode_16_64 0
		.amdhsa_float_denorm_mode_32 3
		.amdhsa_float_denorm_mode_16_64 3
		.amdhsa_dx10_clamp 1
		.amdhsa_ieee_mode 1
		.amdhsa_fp16_overflow 0
		.amdhsa_tg_split 0
		.amdhsa_exception_fp_ieee_invalid_op 0
		.amdhsa_exception_fp_denorm_src 0
		.amdhsa_exception_fp_ieee_div_zero 0
		.amdhsa_exception_fp_ieee_overflow 0
		.amdhsa_exception_fp_ieee_underflow 0
		.amdhsa_exception_fp_ieee_inexact 0
		.amdhsa_exception_int_div_zero 0
	.end_amdhsa_kernel
	.section	.text._ZN2at6native12_GLOBAL__N_126CatArrayBatchedCopy_contigINS1_10OpaqueTypeILj1EEEjLi4ELi64ELi64EEEvPT_NS1_25CatArrInputTensorMetadataIS5_T0_XT2_EXT3_EEENS1_16TensorSizeStrideIS8_Lj4EEEiS8_,"axG",@progbits,_ZN2at6native12_GLOBAL__N_126CatArrayBatchedCopy_contigINS1_10OpaqueTypeILj1EEEjLi4ELi64ELi64EEEvPT_NS1_25CatArrInputTensorMetadataIS5_T0_XT2_EXT3_EEENS1_16TensorSizeStrideIS8_Lj4EEEiS8_,comdat
.Lfunc_end118:
	.size	_ZN2at6native12_GLOBAL__N_126CatArrayBatchedCopy_contigINS1_10OpaqueTypeILj1EEEjLi4ELi64ELi64EEEvPT_NS1_25CatArrInputTensorMetadataIS5_T0_XT2_EXT3_EEENS1_16TensorSizeStrideIS8_Lj4EEEiS8_, .Lfunc_end118-_ZN2at6native12_GLOBAL__N_126CatArrayBatchedCopy_contigINS1_10OpaqueTypeILj1EEEjLi4ELi64ELi64EEEvPT_NS1_25CatArrInputTensorMetadataIS5_T0_XT2_EXT3_EEENS1_16TensorSizeStrideIS8_Lj4EEEiS8_
                                        ; -- End function
	.set _ZN2at6native12_GLOBAL__N_126CatArrayBatchedCopy_contigINS1_10OpaqueTypeILj1EEEjLi4ELi64ELi64EEEvPT_NS1_25CatArrInputTensorMetadataIS5_T0_XT2_EXT3_EEENS1_16TensorSizeStrideIS8_Lj4EEEiS8_.num_vgpr, 12
	.set _ZN2at6native12_GLOBAL__N_126CatArrayBatchedCopy_contigINS1_10OpaqueTypeILj1EEEjLi4ELi64ELi64EEEvPT_NS1_25CatArrInputTensorMetadataIS5_T0_XT2_EXT3_EEENS1_16TensorSizeStrideIS8_Lj4EEEiS8_.num_agpr, 0
	.set _ZN2at6native12_GLOBAL__N_126CatArrayBatchedCopy_contigINS1_10OpaqueTypeILj1EEEjLi4ELi64ELi64EEEvPT_NS1_25CatArrInputTensorMetadataIS5_T0_XT2_EXT3_EEENS1_16TensorSizeStrideIS8_Lj4EEEiS8_.numbered_sgpr, 27
	.set _ZN2at6native12_GLOBAL__N_126CatArrayBatchedCopy_contigINS1_10OpaqueTypeILj1EEEjLi4ELi64ELi64EEEvPT_NS1_25CatArrInputTensorMetadataIS5_T0_XT2_EXT3_EEENS1_16TensorSizeStrideIS8_Lj4EEEiS8_.num_named_barrier, 0
	.set _ZN2at6native12_GLOBAL__N_126CatArrayBatchedCopy_contigINS1_10OpaqueTypeILj1EEEjLi4ELi64ELi64EEEvPT_NS1_25CatArrInputTensorMetadataIS5_T0_XT2_EXT3_EEENS1_16TensorSizeStrideIS8_Lj4EEEiS8_.private_seg_size, 0
	.set _ZN2at6native12_GLOBAL__N_126CatArrayBatchedCopy_contigINS1_10OpaqueTypeILj1EEEjLi4ELi64ELi64EEEvPT_NS1_25CatArrInputTensorMetadataIS5_T0_XT2_EXT3_EEENS1_16TensorSizeStrideIS8_Lj4EEEiS8_.uses_vcc, 1
	.set _ZN2at6native12_GLOBAL__N_126CatArrayBatchedCopy_contigINS1_10OpaqueTypeILj1EEEjLi4ELi64ELi64EEEvPT_NS1_25CatArrInputTensorMetadataIS5_T0_XT2_EXT3_EEENS1_16TensorSizeStrideIS8_Lj4EEEiS8_.uses_flat_scratch, 0
	.set _ZN2at6native12_GLOBAL__N_126CatArrayBatchedCopy_contigINS1_10OpaqueTypeILj1EEEjLi4ELi64ELi64EEEvPT_NS1_25CatArrInputTensorMetadataIS5_T0_XT2_EXT3_EEENS1_16TensorSizeStrideIS8_Lj4EEEiS8_.has_dyn_sized_stack, 0
	.set _ZN2at6native12_GLOBAL__N_126CatArrayBatchedCopy_contigINS1_10OpaqueTypeILj1EEEjLi4ELi64ELi64EEEvPT_NS1_25CatArrInputTensorMetadataIS5_T0_XT2_EXT3_EEENS1_16TensorSizeStrideIS8_Lj4EEEiS8_.has_recursion, 0
	.set _ZN2at6native12_GLOBAL__N_126CatArrayBatchedCopy_contigINS1_10OpaqueTypeILj1EEEjLi4ELi64ELi64EEEvPT_NS1_25CatArrInputTensorMetadataIS5_T0_XT2_EXT3_EEENS1_16TensorSizeStrideIS8_Lj4EEEiS8_.has_indirect_call, 0
	.section	.AMDGPU.csdata,"",@progbits
; Kernel info:
; codeLenInByte = 680
; TotalNumSgprs: 33
; NumVgprs: 12
; NumAgprs: 0
; TotalNumVgprs: 12
; ScratchSize: 0
; MemoryBound: 0
; FloatMode: 240
; IeeeMode: 1
; LDSByteSize: 0 bytes/workgroup (compile time only)
; SGPRBlocks: 4
; VGPRBlocks: 1
; NumSGPRsForWavesPerEU: 33
; NumVGPRsForWavesPerEU: 12
; AccumOffset: 12
; Occupancy: 8
; WaveLimiterHint : 1
; COMPUTE_PGM_RSRC2:SCRATCH_EN: 0
; COMPUTE_PGM_RSRC2:USER_SGPR: 2
; COMPUTE_PGM_RSRC2:TRAP_HANDLER: 0
; COMPUTE_PGM_RSRC2:TGID_X_EN: 1
; COMPUTE_PGM_RSRC2:TGID_Y_EN: 1
; COMPUTE_PGM_RSRC2:TGID_Z_EN: 0
; COMPUTE_PGM_RSRC2:TIDIG_COMP_CNT: 0
; COMPUTE_PGM_RSRC3_GFX90A:ACCUM_OFFSET: 2
; COMPUTE_PGM_RSRC3_GFX90A:TG_SPLIT: 0
	.section	.text._ZN2at6native12_GLOBAL__N_119CatArrayBatchedCopyINS1_10OpaqueTypeILj1EEEjLi4ELi64ELi64EEEvPT_NS1_25CatArrInputTensorMetadataIS5_T0_XT2_EXT3_EEENS1_16TensorSizeStrideIS8_Lj4EEEiS8_,"axG",@progbits,_ZN2at6native12_GLOBAL__N_119CatArrayBatchedCopyINS1_10OpaqueTypeILj1EEEjLi4ELi64ELi64EEEvPT_NS1_25CatArrInputTensorMetadataIS5_T0_XT2_EXT3_EEENS1_16TensorSizeStrideIS8_Lj4EEEiS8_,comdat
	.globl	_ZN2at6native12_GLOBAL__N_119CatArrayBatchedCopyINS1_10OpaqueTypeILj1EEEjLi4ELi64ELi64EEEvPT_NS1_25CatArrInputTensorMetadataIS5_T0_XT2_EXT3_EEENS1_16TensorSizeStrideIS8_Lj4EEEiS8_ ; -- Begin function _ZN2at6native12_GLOBAL__N_119CatArrayBatchedCopyINS1_10OpaqueTypeILj1EEEjLi4ELi64ELi64EEEvPT_NS1_25CatArrInputTensorMetadataIS5_T0_XT2_EXT3_EEENS1_16TensorSizeStrideIS8_Lj4EEEiS8_
	.p2align	8
	.type	_ZN2at6native12_GLOBAL__N_119CatArrayBatchedCopyINS1_10OpaqueTypeILj1EEEjLi4ELi64ELi64EEEvPT_NS1_25CatArrInputTensorMetadataIS5_T0_XT2_EXT3_EEENS1_16TensorSizeStrideIS8_Lj4EEEiS8_,@function
_ZN2at6native12_GLOBAL__N_119CatArrayBatchedCopyINS1_10OpaqueTypeILj1EEEjLi4ELi64ELi64EEEvPT_NS1_25CatArrInputTensorMetadataIS5_T0_XT2_EXT3_EEENS1_16TensorSizeStrideIS8_Lj4EEEiS8_: ; @_ZN2at6native12_GLOBAL__N_119CatArrayBatchedCopyINS1_10OpaqueTypeILj1EEEjLi4ELi64ELi64EEEvPT_NS1_25CatArrInputTensorMetadataIS5_T0_XT2_EXT3_EEENS1_16TensorSizeStrideIS8_Lj4EEEiS8_
; %bb.0:
	s_load_dword s4, s[0:1], 0xd7c
	s_mov_b32 s10, s3
	s_or_b32 s3, s0, 8
	s_add_u32 s16, s0, 0xd70
	s_mov_b32 s11, 0
	s_addc_u32 s17, s1, 0
	s_waitcnt lgkmcnt(0)
	s_and_b32 s18, s4, 0xffff
	s_lshl_b64 s[8:9], s[10:11], 2
	s_add_u32 s4, s3, s8
	s_addc_u32 s5, s1, s9
	s_load_dword s24, s[4:5], 0x400
	s_mul_i32 s2, s2, s18
	v_add_u32_e32 v0, s2, v0
	s_waitcnt lgkmcnt(0)
	v_cmp_gt_u32_e32 vcc, s24, v0
	s_and_saveexec_b64 s[12:13], vcc
	s_cbranch_execz .LBB119_5
; %bb.1:
	s_mul_i32 s7, s10, 28
	s_mul_hi_u32 s2, s10, 28
	s_add_u32 s20, s4, s7
	s_addc_u32 s21, s5, s2
	s_add_u32 s26, s3, s10
	s_addc_u32 s27, s1, 0
	v_mov_b32_e32 v1, 0
	global_load_ubyte v2, v1, s[26:27] offset:1280
	s_mul_hi_u32 s19, s10, 7
	s_mul_i32 s25, s10, 7
	s_load_dwordx4 s[4:7], s[0:1], 0xd58
	s_load_dwordx2 s[22:23], s[0:1], 0xd68
	s_load_dwordx2 s[2:3], s[0:1], 0x0
	s_load_dwordx4 s[12:15], s[0:1], 0xd4c
	s_waitcnt lgkmcnt(0)
	s_load_dword s15, s[16:17], 0x0
                                        ; kill: killed $sgpr0 killed $sgpr1
	s_load_dwordx2 s[0:1], s[20:21], 0x544
	s_load_dword s30, s[20:21], 0x54c
                                        ; kill: killed $sgpr16 killed $sgpr17
	s_mov_b64 s[16:17], 0
	s_waitcnt lgkmcnt(0)
	s_mul_i32 s15, s15, s18
	s_waitcnt vmcnt(0)
	v_and_b32_e32 v2, 1, v2
	v_cmp_eq_u32_e32 vcc, 1, v2
	s_xor_b64 s[10:11], vcc, -1
	s_add_u32 s26, s26, s25
	s_addc_u32 s27, s27, s19
	s_sub_u32 s8, 0, s8
	s_subb_u32 s9, 0, s9
	s_add_u32 s28, s26, s8
	s_addc_u32 s29, s27, s9
	v_cndmask_b32_e64 v2, 0, 1, s[10:11]
	s_load_dword s25, s[28:29], 0x200
	s_load_dword s31, s[28:29], 0x300
	s_load_dwordx4 s[8:11], s[20:21], 0x550
	s_load_dwordx2 s[18:19], s[26:27], 0x0
	s_cmp_eq_u32 s22, 3
	s_waitcnt lgkmcnt(0)
	s_mul_i32 s20, s25, s23
	s_cselect_b32 s14, s31, s14
	s_cselect_b32 s21, s31, s30
	s_cmp_eq_u32 s22, 2
	s_cselect_b32 s13, s31, s13
	s_cselect_b32 s23, s31, s1
	s_cmp_eq_u32 s22, 1
	v_cvt_f32_u32_e32 v3, s14
	v_cvt_f32_u32_e32 v4, s21
	s_cselect_b32 s12, s31, s12
	s_cselect_b32 s22, s31, s0
	v_cvt_f32_u32_e32 v5, s13
	v_cvt_f32_u32_e32 v6, s23
	;; [unrolled: 1-line block ×4, first 2 shown]
	v_rcp_iflag_f32_e32 v3, v3
	v_rcp_iflag_f32_e32 v4, v4
	;; [unrolled: 1-line block ×6, first 2 shown]
	v_mul_f32_e32 v3, 0x4f7ffffe, v3
	v_mul_f32_e32 v4, 0x4f7ffffe, v4
	v_cvt_u32_f32_e32 v3, v3
	v_mul_f32_e32 v5, 0x4f7ffffe, v5
	v_cvt_u32_f32_e32 v9, v4
	;; [unrolled: 2-line block ×5, first 2 shown]
	v_cvt_u32_f32_e32 v10, v4
	s_sub_i32 s25, 0, s14
	s_sub_i32 s26, 0, s21
	;; [unrolled: 1-line block ×4, first 2 shown]
	v_mul_lo_u32 v4, s25, v3
	v_mul_lo_u32 v5, s26, v9
	s_sub_i32 s27, 0, s12
	s_sub_i32 s28, 0, s22
	v_mul_hi_u32 v4, v3, v4
	v_mul_lo_u32 v11, s0, v6
	v_mul_hi_u32 v5, v9, v5
	v_mul_lo_u32 v12, s1, v7
	v_add_u32_e32 v4, v3, v4
	v_mul_hi_u32 v3, v6, v11
	v_mul_lo_u32 v11, s27, v8
	v_add_u32_e32 v5, v9, v5
	;; [unrolled: 3-line block ×3, first 2 shown]
	v_mul_hi_u32 v3, v8, v11
	v_add_u32_e32 v7, v7, v9
	v_mul_hi_u32 v9, v10, v12
	v_add_u32_e32 v8, v8, v3
	v_add_u32_e32 v9, v10, v9
	v_cmp_ne_u32_e64 s[0:1], 1, v2
	s_branch .LBB119_3
.LBB119_2:                              ;   in Loop: Header=BB119_3 Depth=1
	v_lshl_add_u64 v[2:3], s[18:19], 0, v[2:3]
	global_load_ubyte v12, v[2:3], off
	v_mul_hi_u32 v10, v4, v0
	v_mad_u64_u32 v[2:3], s[28:29], s25, v10, v[0:1]
	v_not_b32_e32 v11, v10
	v_add_u32_e32 v3, 1, v10
	v_cmp_le_u32_e32 vcc, s14, v2
	s_nop 1
	v_cndmask_b32_e32 v3, v10, v3, vcc
	v_mad_u64_u32 v[10:11], s[28:29], s14, v11, v[0:1]
	v_cndmask_b32_e32 v2, v2, v10, vcc
	v_add_u32_e32 v10, 1, v3
	v_cmp_le_u32_e32 vcc, s14, v2
	s_nop 1
	v_cndmask_b32_e32 v2, v3, v10, vcc
	v_mul_hi_u32 v3, v2, v6
	v_mul_lo_u32 v10, v3, s13
	v_sub_u32_e32 v10, v2, v10
	v_add_u32_e32 v11, 1, v3
	v_cmp_le_u32_e32 vcc, s13, v10
	s_nop 1
	v_cndmask_b32_e32 v3, v3, v11, vcc
	v_subrev_u32_e32 v11, s13, v10
	v_cndmask_b32_e32 v10, v10, v11, vcc
	v_add_u32_e32 v11, 1, v3
	v_cmp_le_u32_e32 vcc, s13, v10
	s_nop 1
	v_cndmask_b32_e32 v10, v3, v11, vcc
	v_mul_lo_u32 v3, v10, s13
	v_sub_u32_e32 v3, v2, v3
	v_mul_lo_u32 v11, v3, s6
	v_mad_u64_u32 v[2:3], s[28:29], s25, v2, v[0:1]
	v_mul_hi_u32 v3, v10, v8
	v_mul_lo_u32 v13, v3, s12
	v_sub_u32_e32 v13, v10, v13
	v_add_u32_e32 v14, 1, v3
	v_cmp_le_u32_e32 vcc, s12, v13
	v_mul_lo_u32 v2, v2, s7
	v_add_u32_e32 v0, s15, v0
	v_cndmask_b32_e32 v3, v3, v14, vcc
	v_subrev_u32_e32 v14, s12, v13
	v_cndmask_b32_e32 v13, v13, v14, vcc
	v_add_u32_e32 v14, 1, v3
	v_cmp_le_u32_e32 vcc, s12, v13
	s_nop 1
	v_cndmask_b32_e32 v3, v3, v14, vcc
	v_mul_lo_u32 v13, v3, s12
	v_sub_u32_e32 v10, v10, v13
	v_mul_lo_u32 v3, v3, s4
	v_mul_lo_u32 v10, v10, s5
	v_add3_u32 v2, v3, v2, v11
	v_cmp_le_u32_e32 vcc, s24, v0
	v_add3_u32 v2, v2, v10, s20
	s_or_b64 s[16:17], vcc, s[16:17]
	s_waitcnt vmcnt(0)
	global_store_byte v2, v12, s[2:3]
	s_andn2_b64 exec, exec, s[16:17]
	s_cbranch_execz .LBB119_5
.LBB119_3:                              ; =>This Inner Loop Header: Depth=1
	s_and_b64 vcc, exec, s[0:1]
	v_mov_b64_e32 v[2:3], v[0:1]
	s_cbranch_vccnz .LBB119_2
; %bb.4:                                ;   in Loop: Header=BB119_3 Depth=1
	v_mul_hi_u32 v10, v5, v0
	v_mad_u64_u32 v[2:3], s[28:29], s26, v10, v[0:1]
	v_not_b32_e32 v11, v10
	v_add_u32_e32 v3, 1, v10
	v_cmp_le_u32_e32 vcc, s21, v2
	s_nop 1
	v_cndmask_b32_e32 v3, v10, v3, vcc
	v_mad_u64_u32 v[10:11], s[28:29], s21, v11, v[0:1]
	v_cndmask_b32_e32 v2, v2, v10, vcc
	v_add_u32_e32 v10, 1, v3
	v_cmp_le_u32_e32 vcc, s21, v2
	s_nop 1
	v_cndmask_b32_e32 v2, v3, v10, vcc
	v_mul_hi_u32 v3, v2, v7
	v_mul_lo_u32 v10, v3, s23
	v_sub_u32_e32 v10, v2, v10
	v_add_u32_e32 v11, 1, v3
	v_cmp_le_u32_e32 vcc, s23, v10
	s_nop 1
	v_cndmask_b32_e32 v3, v3, v11, vcc
	v_subrev_u32_e32 v11, s23, v10
	v_cndmask_b32_e32 v10, v10, v11, vcc
	v_add_u32_e32 v11, 1, v3
	v_cmp_le_u32_e32 vcc, s23, v10
	s_nop 1
	v_cndmask_b32_e32 v10, v3, v11, vcc
	v_mul_lo_u32 v3, v10, s23
	v_sub_u32_e32 v3, v2, v3
	v_mul_lo_u32 v11, v3, s10
	v_mad_u64_u32 v[2:3], s[28:29], s26, v2, v[0:1]
	v_mul_hi_u32 v3, v10, v9
	v_mul_lo_u32 v12, v3, s22
	v_sub_u32_e32 v12, v10, v12
	v_add_u32_e32 v13, 1, v3
	v_cmp_le_u32_e32 vcc, s22, v12
	v_mul_lo_u32 v2, v2, s11
	s_nop 0
	v_cndmask_b32_e32 v3, v3, v13, vcc
	v_subrev_u32_e32 v13, s22, v12
	v_cndmask_b32_e32 v12, v12, v13, vcc
	v_add_u32_e32 v13, 1, v3
	v_cmp_le_u32_e32 vcc, s22, v12
	s_nop 1
	v_cndmask_b32_e32 v3, v3, v13, vcc
	v_mul_lo_u32 v12, v3, s22
	v_sub_u32_e32 v10, v10, v12
	v_mul_lo_u32 v10, v10, s9
	v_mad_u64_u32 v[2:3], s[28:29], v3, s8, v[2:3]
	v_add3_u32 v2, v2, v11, v10
	v_mov_b32_e32 v3, v1
	s_branch .LBB119_2
.LBB119_5:
	s_endpgm
	.section	.rodata,"a",@progbits
	.p2align	6, 0x0
	.amdhsa_kernel _ZN2at6native12_GLOBAL__N_119CatArrayBatchedCopyINS1_10OpaqueTypeILj1EEEjLi4ELi64ELi64EEEvPT_NS1_25CatArrInputTensorMetadataIS5_T0_XT2_EXT3_EEENS1_16TensorSizeStrideIS8_Lj4EEEiS8_
		.amdhsa_group_segment_fixed_size 0
		.amdhsa_private_segment_fixed_size 0
		.amdhsa_kernarg_size 3696
		.amdhsa_user_sgpr_count 2
		.amdhsa_user_sgpr_dispatch_ptr 0
		.amdhsa_user_sgpr_queue_ptr 0
		.amdhsa_user_sgpr_kernarg_segment_ptr 1
		.amdhsa_user_sgpr_dispatch_id 0
		.amdhsa_user_sgpr_kernarg_preload_length 0
		.amdhsa_user_sgpr_kernarg_preload_offset 0
		.amdhsa_user_sgpr_private_segment_size 0
		.amdhsa_uses_dynamic_stack 0
		.amdhsa_enable_private_segment 0
		.amdhsa_system_sgpr_workgroup_id_x 1
		.amdhsa_system_sgpr_workgroup_id_y 1
		.amdhsa_system_sgpr_workgroup_id_z 0
		.amdhsa_system_sgpr_workgroup_info 0
		.amdhsa_system_vgpr_workitem_id 0
		.amdhsa_next_free_vgpr 15
		.amdhsa_next_free_sgpr 32
		.amdhsa_accum_offset 16
		.amdhsa_reserve_vcc 1
		.amdhsa_float_round_mode_32 0
		.amdhsa_float_round_mode_16_64 0
		.amdhsa_float_denorm_mode_32 3
		.amdhsa_float_denorm_mode_16_64 3
		.amdhsa_dx10_clamp 1
		.amdhsa_ieee_mode 1
		.amdhsa_fp16_overflow 0
		.amdhsa_tg_split 0
		.amdhsa_exception_fp_ieee_invalid_op 0
		.amdhsa_exception_fp_denorm_src 0
		.amdhsa_exception_fp_ieee_div_zero 0
		.amdhsa_exception_fp_ieee_overflow 0
		.amdhsa_exception_fp_ieee_underflow 0
		.amdhsa_exception_fp_ieee_inexact 0
		.amdhsa_exception_int_div_zero 0
	.end_amdhsa_kernel
	.section	.text._ZN2at6native12_GLOBAL__N_119CatArrayBatchedCopyINS1_10OpaqueTypeILj1EEEjLi4ELi64ELi64EEEvPT_NS1_25CatArrInputTensorMetadataIS5_T0_XT2_EXT3_EEENS1_16TensorSizeStrideIS8_Lj4EEEiS8_,"axG",@progbits,_ZN2at6native12_GLOBAL__N_119CatArrayBatchedCopyINS1_10OpaqueTypeILj1EEEjLi4ELi64ELi64EEEvPT_NS1_25CatArrInputTensorMetadataIS5_T0_XT2_EXT3_EEENS1_16TensorSizeStrideIS8_Lj4EEEiS8_,comdat
.Lfunc_end119:
	.size	_ZN2at6native12_GLOBAL__N_119CatArrayBatchedCopyINS1_10OpaqueTypeILj1EEEjLi4ELi64ELi64EEEvPT_NS1_25CatArrInputTensorMetadataIS5_T0_XT2_EXT3_EEENS1_16TensorSizeStrideIS8_Lj4EEEiS8_, .Lfunc_end119-_ZN2at6native12_GLOBAL__N_119CatArrayBatchedCopyINS1_10OpaqueTypeILj1EEEjLi4ELi64ELi64EEEvPT_NS1_25CatArrInputTensorMetadataIS5_T0_XT2_EXT3_EEENS1_16TensorSizeStrideIS8_Lj4EEEiS8_
                                        ; -- End function
	.set _ZN2at6native12_GLOBAL__N_119CatArrayBatchedCopyINS1_10OpaqueTypeILj1EEEjLi4ELi64ELi64EEEvPT_NS1_25CatArrInputTensorMetadataIS5_T0_XT2_EXT3_EEENS1_16TensorSizeStrideIS8_Lj4EEEiS8_.num_vgpr, 15
	.set _ZN2at6native12_GLOBAL__N_119CatArrayBatchedCopyINS1_10OpaqueTypeILj1EEEjLi4ELi64ELi64EEEvPT_NS1_25CatArrInputTensorMetadataIS5_T0_XT2_EXT3_EEENS1_16TensorSizeStrideIS8_Lj4EEEiS8_.num_agpr, 0
	.set _ZN2at6native12_GLOBAL__N_119CatArrayBatchedCopyINS1_10OpaqueTypeILj1EEEjLi4ELi64ELi64EEEvPT_NS1_25CatArrInputTensorMetadataIS5_T0_XT2_EXT3_EEENS1_16TensorSizeStrideIS8_Lj4EEEiS8_.numbered_sgpr, 32
	.set _ZN2at6native12_GLOBAL__N_119CatArrayBatchedCopyINS1_10OpaqueTypeILj1EEEjLi4ELi64ELi64EEEvPT_NS1_25CatArrInputTensorMetadataIS5_T0_XT2_EXT3_EEENS1_16TensorSizeStrideIS8_Lj4EEEiS8_.num_named_barrier, 0
	.set _ZN2at6native12_GLOBAL__N_119CatArrayBatchedCopyINS1_10OpaqueTypeILj1EEEjLi4ELi64ELi64EEEvPT_NS1_25CatArrInputTensorMetadataIS5_T0_XT2_EXT3_EEENS1_16TensorSizeStrideIS8_Lj4EEEiS8_.private_seg_size, 0
	.set _ZN2at6native12_GLOBAL__N_119CatArrayBatchedCopyINS1_10OpaqueTypeILj1EEEjLi4ELi64ELi64EEEvPT_NS1_25CatArrInputTensorMetadataIS5_T0_XT2_EXT3_EEENS1_16TensorSizeStrideIS8_Lj4EEEiS8_.uses_vcc, 1
	.set _ZN2at6native12_GLOBAL__N_119CatArrayBatchedCopyINS1_10OpaqueTypeILj1EEEjLi4ELi64ELi64EEEvPT_NS1_25CatArrInputTensorMetadataIS5_T0_XT2_EXT3_EEENS1_16TensorSizeStrideIS8_Lj4EEEiS8_.uses_flat_scratch, 0
	.set _ZN2at6native12_GLOBAL__N_119CatArrayBatchedCopyINS1_10OpaqueTypeILj1EEEjLi4ELi64ELi64EEEvPT_NS1_25CatArrInputTensorMetadataIS5_T0_XT2_EXT3_EEENS1_16TensorSizeStrideIS8_Lj4EEEiS8_.has_dyn_sized_stack, 0
	.set _ZN2at6native12_GLOBAL__N_119CatArrayBatchedCopyINS1_10OpaqueTypeILj1EEEjLi4ELi64ELi64EEEvPT_NS1_25CatArrInputTensorMetadataIS5_T0_XT2_EXT3_EEENS1_16TensorSizeStrideIS8_Lj4EEEiS8_.has_recursion, 0
	.set _ZN2at6native12_GLOBAL__N_119CatArrayBatchedCopyINS1_10OpaqueTypeILj1EEEjLi4ELi64ELi64EEEvPT_NS1_25CatArrInputTensorMetadataIS5_T0_XT2_EXT3_EEENS1_16TensorSizeStrideIS8_Lj4EEEiS8_.has_indirect_call, 0
	.section	.AMDGPU.csdata,"",@progbits
; Kernel info:
; codeLenInByte = 1192
; TotalNumSgprs: 38
; NumVgprs: 15
; NumAgprs: 0
; TotalNumVgprs: 15
; ScratchSize: 0
; MemoryBound: 0
; FloatMode: 240
; IeeeMode: 1
; LDSByteSize: 0 bytes/workgroup (compile time only)
; SGPRBlocks: 4
; VGPRBlocks: 1
; NumSGPRsForWavesPerEU: 38
; NumVGPRsForWavesPerEU: 15
; AccumOffset: 16
; Occupancy: 8
; WaveLimiterHint : 1
; COMPUTE_PGM_RSRC2:SCRATCH_EN: 0
; COMPUTE_PGM_RSRC2:USER_SGPR: 2
; COMPUTE_PGM_RSRC2:TRAP_HANDLER: 0
; COMPUTE_PGM_RSRC2:TGID_X_EN: 1
; COMPUTE_PGM_RSRC2:TGID_Y_EN: 1
; COMPUTE_PGM_RSRC2:TGID_Z_EN: 0
; COMPUTE_PGM_RSRC2:TIDIG_COMP_CNT: 0
; COMPUTE_PGM_RSRC3_GFX90A:ACCUM_OFFSET: 3
; COMPUTE_PGM_RSRC3_GFX90A:TG_SPLIT: 0
	.section	.text._ZN2at6native12_GLOBAL__N_130CatArrayBatchedCopy_vectorizedINS1_10OpaqueTypeILj2EEEjLi1ELi64ELi64ELi16ELi8EEEvPcNS1_25CatArrInputTensorMetadataIT_T0_XT2_EXT3_EEENS1_16TensorSizeStrideIS8_Lj4EEEiS8_,"axG",@progbits,_ZN2at6native12_GLOBAL__N_130CatArrayBatchedCopy_vectorizedINS1_10OpaqueTypeILj2EEEjLi1ELi64ELi64ELi16ELi8EEEvPcNS1_25CatArrInputTensorMetadataIT_T0_XT2_EXT3_EEENS1_16TensorSizeStrideIS8_Lj4EEEiS8_,comdat
	.globl	_ZN2at6native12_GLOBAL__N_130CatArrayBatchedCopy_vectorizedINS1_10OpaqueTypeILj2EEEjLi1ELi64ELi64ELi16ELi8EEEvPcNS1_25CatArrInputTensorMetadataIT_T0_XT2_EXT3_EEENS1_16TensorSizeStrideIS8_Lj4EEEiS8_ ; -- Begin function _ZN2at6native12_GLOBAL__N_130CatArrayBatchedCopy_vectorizedINS1_10OpaqueTypeILj2EEEjLi1ELi64ELi64ELi16ELi8EEEvPcNS1_25CatArrInputTensorMetadataIT_T0_XT2_EXT3_EEENS1_16TensorSizeStrideIS8_Lj4EEEiS8_
	.p2align	8
	.type	_ZN2at6native12_GLOBAL__N_130CatArrayBatchedCopy_vectorizedINS1_10OpaqueTypeILj2EEEjLi1ELi64ELi64ELi16ELi8EEEvPcNS1_25CatArrInputTensorMetadataIT_T0_XT2_EXT3_EEENS1_16TensorSizeStrideIS8_Lj4EEEiS8_,@function
_ZN2at6native12_GLOBAL__N_130CatArrayBatchedCopy_vectorizedINS1_10OpaqueTypeILj2EEEjLi1ELi64ELi64ELi16ELi8EEEvPcNS1_25CatArrInputTensorMetadataIT_T0_XT2_EXT3_EEENS1_16TensorSizeStrideIS8_Lj4EEEiS8_: ; @_ZN2at6native12_GLOBAL__N_130CatArrayBatchedCopy_vectorizedINS1_10OpaqueTypeILj2EEEjLi1ELi64ELi64ELi16ELi8EEEvPcNS1_25CatArrInputTensorMetadataIT_T0_XT2_EXT3_EEENS1_16TensorSizeStrideIS8_Lj4EEEiS8_
; %bb.0:
	s_mov_b32 s4, s3
	s_load_dword s3, s[0:1], 0xd7c
	s_add_u32 s6, s0, 0xd70
	s_mov_b32 s5, 0
	s_addc_u32 s7, s1, 0
	s_lshl_b64 s[8:9], s[4:5], 2
	s_waitcnt lgkmcnt(0)
	s_and_b32 s11, s3, 0xffff
	s_add_u32 s12, s0, s8
	s_addc_u32 s13, s1, s9
	s_load_dword s4, s[12:13], 0x408
	s_mul_i32 s2, s2, s11
	v_add_u32_e32 v0, s2, v0
	s_add_u32 s2, s12, 8
	s_addc_u32 s3, s13, 0
	s_waitcnt lgkmcnt(0)
	s_lshr_b32 s10, s4, 3
	v_cmp_gt_u32_e32 vcc, s10, v0
	s_and_saveexec_b64 s[12:13], vcc
	s_cbranch_execz .LBB120_3
; %bb.1:
	s_add_u32 s12, s2, s8
	s_addc_u32 s13, s3, s9
	s_sub_u32 s2, 0, s8
	s_subb_u32 s3, 0, s9
	s_add_u32 s8, s12, s2
	s_addc_u32 s9, s13, s3
	s_load_dword s4, s[8:9], 0x200
	s_load_dwordx2 s[14:15], s[0:1], 0x0
	s_load_dword s16, s[0:1], 0xd6c
	s_load_dwordx2 s[2:3], s[12:13], 0x0
	s_load_dword s17, s[0:1], 0xd58
	s_load_dword s18, s[6:7], 0x0
	s_mov_b64 s[0:1], 0
	s_waitcnt lgkmcnt(0)
	s_mul_i32 s4, s4, s16
	s_lshr_b32 s4, s4, 3
	s_lshl_b64 s[4:5], s[4:5], 4
	s_mul_i32 s6, s18, s11
	s_add_u32 s4, s14, s4
	s_addc_u32 s5, s15, s5
	v_mul_lo_u32 v2, s17, v0
	s_mul_i32 s7, s6, s17
	v_mov_b32_e32 v3, 0
.LBB120_2:                              ; =>This Inner Loop Header: Depth=1
	v_mov_b32_e32 v1, v3
	v_lshl_add_u64 v[4:5], v[0:1], 4, s[2:3]
	global_load_dwordx4 v[4:7], v[4:5], off
	v_add_u32_e32 v0, s6, v0
	v_cmp_le_u32_e32 vcc, s10, v0
	v_lshl_add_u64 v[8:9], v[2:3], 4, s[4:5]
	v_add_u32_e32 v2, s7, v2
	s_or_b64 s[0:1], vcc, s[0:1]
	s_waitcnt vmcnt(0)
	global_store_dwordx4 v[8:9], v[4:7], off
	s_andn2_b64 exec, exec, s[0:1]
	s_cbranch_execnz .LBB120_2
.LBB120_3:
	s_endpgm
	.section	.rodata,"a",@progbits
	.p2align	6, 0x0
	.amdhsa_kernel _ZN2at6native12_GLOBAL__N_130CatArrayBatchedCopy_vectorizedINS1_10OpaqueTypeILj2EEEjLi1ELi64ELi64ELi16ELi8EEEvPcNS1_25CatArrInputTensorMetadataIT_T0_XT2_EXT3_EEENS1_16TensorSizeStrideIS8_Lj4EEEiS8_
		.amdhsa_group_segment_fixed_size 0
		.amdhsa_private_segment_fixed_size 0
		.amdhsa_kernarg_size 3696
		.amdhsa_user_sgpr_count 2
		.amdhsa_user_sgpr_dispatch_ptr 0
		.amdhsa_user_sgpr_queue_ptr 0
		.amdhsa_user_sgpr_kernarg_segment_ptr 1
		.amdhsa_user_sgpr_dispatch_id 0
		.amdhsa_user_sgpr_kernarg_preload_length 0
		.amdhsa_user_sgpr_kernarg_preload_offset 0
		.amdhsa_user_sgpr_private_segment_size 0
		.amdhsa_uses_dynamic_stack 0
		.amdhsa_enable_private_segment 0
		.amdhsa_system_sgpr_workgroup_id_x 1
		.amdhsa_system_sgpr_workgroup_id_y 1
		.amdhsa_system_sgpr_workgroup_id_z 0
		.amdhsa_system_sgpr_workgroup_info 0
		.amdhsa_system_vgpr_workitem_id 0
		.amdhsa_next_free_vgpr 10
		.amdhsa_next_free_sgpr 19
		.amdhsa_accum_offset 12
		.amdhsa_reserve_vcc 1
		.amdhsa_float_round_mode_32 0
		.amdhsa_float_round_mode_16_64 0
		.amdhsa_float_denorm_mode_32 3
		.amdhsa_float_denorm_mode_16_64 3
		.amdhsa_dx10_clamp 1
		.amdhsa_ieee_mode 1
		.amdhsa_fp16_overflow 0
		.amdhsa_tg_split 0
		.amdhsa_exception_fp_ieee_invalid_op 0
		.amdhsa_exception_fp_denorm_src 0
		.amdhsa_exception_fp_ieee_div_zero 0
		.amdhsa_exception_fp_ieee_overflow 0
		.amdhsa_exception_fp_ieee_underflow 0
		.amdhsa_exception_fp_ieee_inexact 0
		.amdhsa_exception_int_div_zero 0
	.end_amdhsa_kernel
	.section	.text._ZN2at6native12_GLOBAL__N_130CatArrayBatchedCopy_vectorizedINS1_10OpaqueTypeILj2EEEjLi1ELi64ELi64ELi16ELi8EEEvPcNS1_25CatArrInputTensorMetadataIT_T0_XT2_EXT3_EEENS1_16TensorSizeStrideIS8_Lj4EEEiS8_,"axG",@progbits,_ZN2at6native12_GLOBAL__N_130CatArrayBatchedCopy_vectorizedINS1_10OpaqueTypeILj2EEEjLi1ELi64ELi64ELi16ELi8EEEvPcNS1_25CatArrInputTensorMetadataIT_T0_XT2_EXT3_EEENS1_16TensorSizeStrideIS8_Lj4EEEiS8_,comdat
.Lfunc_end120:
	.size	_ZN2at6native12_GLOBAL__N_130CatArrayBatchedCopy_vectorizedINS1_10OpaqueTypeILj2EEEjLi1ELi64ELi64ELi16ELi8EEEvPcNS1_25CatArrInputTensorMetadataIT_T0_XT2_EXT3_EEENS1_16TensorSizeStrideIS8_Lj4EEEiS8_, .Lfunc_end120-_ZN2at6native12_GLOBAL__N_130CatArrayBatchedCopy_vectorizedINS1_10OpaqueTypeILj2EEEjLi1ELi64ELi64ELi16ELi8EEEvPcNS1_25CatArrInputTensorMetadataIT_T0_XT2_EXT3_EEENS1_16TensorSizeStrideIS8_Lj4EEEiS8_
                                        ; -- End function
	.set _ZN2at6native12_GLOBAL__N_130CatArrayBatchedCopy_vectorizedINS1_10OpaqueTypeILj2EEEjLi1ELi64ELi64ELi16ELi8EEEvPcNS1_25CatArrInputTensorMetadataIT_T0_XT2_EXT3_EEENS1_16TensorSizeStrideIS8_Lj4EEEiS8_.num_vgpr, 10
	.set _ZN2at6native12_GLOBAL__N_130CatArrayBatchedCopy_vectorizedINS1_10OpaqueTypeILj2EEEjLi1ELi64ELi64ELi16ELi8EEEvPcNS1_25CatArrInputTensorMetadataIT_T0_XT2_EXT3_EEENS1_16TensorSizeStrideIS8_Lj4EEEiS8_.num_agpr, 0
	.set _ZN2at6native12_GLOBAL__N_130CatArrayBatchedCopy_vectorizedINS1_10OpaqueTypeILj2EEEjLi1ELi64ELi64ELi16ELi8EEEvPcNS1_25CatArrInputTensorMetadataIT_T0_XT2_EXT3_EEENS1_16TensorSizeStrideIS8_Lj4EEEiS8_.numbered_sgpr, 19
	.set _ZN2at6native12_GLOBAL__N_130CatArrayBatchedCopy_vectorizedINS1_10OpaqueTypeILj2EEEjLi1ELi64ELi64ELi16ELi8EEEvPcNS1_25CatArrInputTensorMetadataIT_T0_XT2_EXT3_EEENS1_16TensorSizeStrideIS8_Lj4EEEiS8_.num_named_barrier, 0
	.set _ZN2at6native12_GLOBAL__N_130CatArrayBatchedCopy_vectorizedINS1_10OpaqueTypeILj2EEEjLi1ELi64ELi64ELi16ELi8EEEvPcNS1_25CatArrInputTensorMetadataIT_T0_XT2_EXT3_EEENS1_16TensorSizeStrideIS8_Lj4EEEiS8_.private_seg_size, 0
	.set _ZN2at6native12_GLOBAL__N_130CatArrayBatchedCopy_vectorizedINS1_10OpaqueTypeILj2EEEjLi1ELi64ELi64ELi16ELi8EEEvPcNS1_25CatArrInputTensorMetadataIT_T0_XT2_EXT3_EEENS1_16TensorSizeStrideIS8_Lj4EEEiS8_.uses_vcc, 1
	.set _ZN2at6native12_GLOBAL__N_130CatArrayBatchedCopy_vectorizedINS1_10OpaqueTypeILj2EEEjLi1ELi64ELi64ELi16ELi8EEEvPcNS1_25CatArrInputTensorMetadataIT_T0_XT2_EXT3_EEENS1_16TensorSizeStrideIS8_Lj4EEEiS8_.uses_flat_scratch, 0
	.set _ZN2at6native12_GLOBAL__N_130CatArrayBatchedCopy_vectorizedINS1_10OpaqueTypeILj2EEEjLi1ELi64ELi64ELi16ELi8EEEvPcNS1_25CatArrInputTensorMetadataIT_T0_XT2_EXT3_EEENS1_16TensorSizeStrideIS8_Lj4EEEiS8_.has_dyn_sized_stack, 0
	.set _ZN2at6native12_GLOBAL__N_130CatArrayBatchedCopy_vectorizedINS1_10OpaqueTypeILj2EEEjLi1ELi64ELi64ELi16ELi8EEEvPcNS1_25CatArrInputTensorMetadataIT_T0_XT2_EXT3_EEENS1_16TensorSizeStrideIS8_Lj4EEEiS8_.has_recursion, 0
	.set _ZN2at6native12_GLOBAL__N_130CatArrayBatchedCopy_vectorizedINS1_10OpaqueTypeILj2EEEjLi1ELi64ELi64ELi16ELi8EEEvPcNS1_25CatArrInputTensorMetadataIT_T0_XT2_EXT3_EEENS1_16TensorSizeStrideIS8_Lj4EEEiS8_.has_indirect_call, 0
	.section	.AMDGPU.csdata,"",@progbits
; Kernel info:
; codeLenInByte = 284
; TotalNumSgprs: 25
; NumVgprs: 10
; NumAgprs: 0
; TotalNumVgprs: 10
; ScratchSize: 0
; MemoryBound: 0
; FloatMode: 240
; IeeeMode: 1
; LDSByteSize: 0 bytes/workgroup (compile time only)
; SGPRBlocks: 3
; VGPRBlocks: 1
; NumSGPRsForWavesPerEU: 25
; NumVGPRsForWavesPerEU: 10
; AccumOffset: 12
; Occupancy: 8
; WaveLimiterHint : 1
; COMPUTE_PGM_RSRC2:SCRATCH_EN: 0
; COMPUTE_PGM_RSRC2:USER_SGPR: 2
; COMPUTE_PGM_RSRC2:TRAP_HANDLER: 0
; COMPUTE_PGM_RSRC2:TGID_X_EN: 1
; COMPUTE_PGM_RSRC2:TGID_Y_EN: 1
; COMPUTE_PGM_RSRC2:TGID_Z_EN: 0
; COMPUTE_PGM_RSRC2:TIDIG_COMP_CNT: 0
; COMPUTE_PGM_RSRC3_GFX90A:ACCUM_OFFSET: 2
; COMPUTE_PGM_RSRC3_GFX90A:TG_SPLIT: 0
	.section	.text._ZN2at6native12_GLOBAL__N_135CatArrayBatchedCopy_alignedK_contigINS1_10OpaqueTypeILj2EEEjLi1ELi64ELi64ELi16EEEvPT_NS1_25CatArrInputTensorMetadataIS5_T0_XT2_EXT3_EEENS1_16TensorSizeStrideIS8_Lj4EEEiS8_,"axG",@progbits,_ZN2at6native12_GLOBAL__N_135CatArrayBatchedCopy_alignedK_contigINS1_10OpaqueTypeILj2EEEjLi1ELi64ELi64ELi16EEEvPT_NS1_25CatArrInputTensorMetadataIS5_T0_XT2_EXT3_EEENS1_16TensorSizeStrideIS8_Lj4EEEiS8_,comdat
	.globl	_ZN2at6native12_GLOBAL__N_135CatArrayBatchedCopy_alignedK_contigINS1_10OpaqueTypeILj2EEEjLi1ELi64ELi64ELi16EEEvPT_NS1_25CatArrInputTensorMetadataIS5_T0_XT2_EXT3_EEENS1_16TensorSizeStrideIS8_Lj4EEEiS8_ ; -- Begin function _ZN2at6native12_GLOBAL__N_135CatArrayBatchedCopy_alignedK_contigINS1_10OpaqueTypeILj2EEEjLi1ELi64ELi64ELi16EEEvPT_NS1_25CatArrInputTensorMetadataIS5_T0_XT2_EXT3_EEENS1_16TensorSizeStrideIS8_Lj4EEEiS8_
	.p2align	8
	.type	_ZN2at6native12_GLOBAL__N_135CatArrayBatchedCopy_alignedK_contigINS1_10OpaqueTypeILj2EEEjLi1ELi64ELi64ELi16EEEvPT_NS1_25CatArrInputTensorMetadataIS5_T0_XT2_EXT3_EEENS1_16TensorSizeStrideIS8_Lj4EEEiS8_,@function
_ZN2at6native12_GLOBAL__N_135CatArrayBatchedCopy_alignedK_contigINS1_10OpaqueTypeILj2EEEjLi1ELi64ELi64ELi16EEEvPT_NS1_25CatArrInputTensorMetadataIS5_T0_XT2_EXT3_EEENS1_16TensorSizeStrideIS8_Lj4EEEiS8_: ; @_ZN2at6native12_GLOBAL__N_135CatArrayBatchedCopy_alignedK_contigINS1_10OpaqueTypeILj2EEEjLi1ELi64ELi64ELi16EEEvPT_NS1_25CatArrInputTensorMetadataIS5_T0_XT2_EXT3_EEENS1_16TensorSizeStrideIS8_Lj4EEEiS8_
; %bb.0:
	s_mov_b32 s4, s3
	s_load_dword s3, s[0:1], 0xd7c
	s_add_u32 s8, s0, 0xd70
	s_addc_u32 s9, s1, 0
	s_mov_b32 s5, 0
	s_waitcnt lgkmcnt(0)
	s_and_b32 s13, s3, 0xffff
	s_mul_i32 s6, s2, s13
	s_lshl_b64 s[2:3], s[4:5], 2
	s_add_u32 s4, s0, s2
	s_addc_u32 s5, s1, s3
	s_load_dword s10, s[4:5], 0x408
	v_add_u32_e32 v1, s6, v0
	v_lshlrev_b32_e32 v0, 3, v1
	s_add_u32 s4, s4, 8
	s_addc_u32 s5, s5, 0
	s_waitcnt lgkmcnt(0)
	v_cmp_gt_u32_e32 vcc, s10, v0
	s_and_saveexec_b64 s[6:7], vcc
	s_cbranch_execz .LBB121_8
; %bb.1:
	s_add_u32 s6, s4, s2
	s_addc_u32 s7, s5, s3
	s_sub_u32 s2, 0, s2
	s_subb_u32 s3, 0, s3
	s_add_u32 s14, s6, s2
	s_addc_u32 s15, s7, s3
	s_load_dword s12, s[14:15], 0x200
	s_load_dword s16, s[0:1], 0xd6c
	s_load_dwordx2 s[2:3], s[0:1], 0x0
	s_load_dwordx2 s[4:5], s[6:7], 0x0
	s_load_dword s11, s[0:1], 0xd58
	v_add_u32_e32 v2, 8, v0
	s_mov_b64 s[0:1], 0
	s_waitcnt lgkmcnt(0)
	s_mul_i32 s12, s12, s16
	v_cmp_ge_u32_e32 vcc, s10, v2
	s_and_saveexec_b64 s[6:7], vcc
	s_cbranch_execz .LBB121_5
; %bb.2:
	s_load_dword s8, s[8:9], 0x0
	v_mul_lo_u32 v2, s11, v0
	v_add_u32_e32 v3, 2, v0
	v_add_u32_e32 v4, 3, v0
	;; [unrolled: 1-line block ×3, first 2 shown]
	s_waitcnt lgkmcnt(0)
	s_mul_i32 s9, s8, s13
	s_lshl_b32 s8, s9, 3
	s_mul_i32 s9, s9, s11
	v_add_u32_e32 v6, 5, v0
	v_add_u32_e32 v7, 6, v0
	;; [unrolled: 1-line block ×3, first 2 shown]
	v_mul_lo_u32 v1, s11, v1
	v_add_u32_e32 v2, s11, v2
	s_lshl_b32 s9, s9, 3
	v_mul_lo_u32 v3, s11, v3
	v_mul_lo_u32 v4, s11, v4
	;; [unrolled: 1-line block ×6, first 2 shown]
	v_lshlrev_b32_e32 v9, 3, v1
	v_mov_b32_e32 v1, 0
	s_mov_b32 s13, s12
.LBB121_3:                              ; =>This Inner Loop Header: Depth=1
	v_lshl_add_u64 v[10:11], v[0:1], 1, s[4:5]
	global_load_dwordx4 v[10:13], v[10:11], off
	v_add_u32_e32 v0, s8, v0
	v_add_u32_e32 v30, 8, v0
	;; [unrolled: 1-line block ×3, first 2 shown]
	v_mov_b32_e32 v15, v1
	v_add_u32_e32 v16, s13, v2
	v_add_u32_e32 v18, s13, v3
	;; [unrolled: 1-line block ×7, first 2 shown]
	s_add_i32 s13, s13, s9
	v_cmp_lt_u32_e32 vcc, s10, v30
	v_mov_b32_e32 v17, v1
	v_mov_b32_e32 v19, v1
	;; [unrolled: 1-line block ×7, first 2 shown]
	v_lshl_add_u64 v[14:15], v[14:15], 1, s[2:3]
	s_or_b64 s[0:1], vcc, s[0:1]
	v_lshl_add_u64 v[16:17], v[16:17], 1, s[2:3]
	v_lshl_add_u64 v[18:19], v[18:19], 1, s[2:3]
	;; [unrolled: 1-line block ×7, first 2 shown]
	s_waitcnt vmcnt(0)
	global_store_short v[14:15], v10, off
	global_store_short_d16_hi v[16:17], v10, off
	global_store_short v[18:19], v11, off
	global_store_short_d16_hi v[20:21], v11, off
	;; [unrolled: 2-line block ×4, first 2 shown]
	s_andn2_b64 exec, exec, s[0:1]
	s_cbranch_execnz .LBB121_3
; %bb.4:
	s_or_b64 exec, exec, s[0:1]
.LBB121_5:
	s_or_b64 exec, exec, s[6:7]
	v_cmp_gt_u32_e32 vcc, s10, v0
	s_and_b64 exec, exec, vcc
	s_cbranch_execz .LBB121_8
; %bb.6:
	v_mov_b32_e32 v3, 0
	v_mov_b32_e32 v1, v3
	v_lshl_add_u64 v[4:5], v[0:1], 1, s[4:5]
	v_mul_lo_u32 v1, v0, s11
	v_add_u32_e32 v2, s12, v1
	s_mov_b64 s[0:1], 0
.LBB121_7:                              ; =>This Inner Loop Header: Depth=1
	global_load_ushort v1, v[4:5], off
	v_add_u32_e32 v0, 1, v0
	v_cmp_le_u32_e32 vcc, s10, v0
	v_lshl_add_u64 v[6:7], v[2:3], 1, s[2:3]
	v_lshl_add_u64 v[4:5], v[4:5], 0, 2
	v_add_u32_e32 v2, s11, v2
	s_or_b64 s[0:1], vcc, s[0:1]
	s_waitcnt vmcnt(0)
	global_store_short v[6:7], v1, off
	s_andn2_b64 exec, exec, s[0:1]
	s_cbranch_execnz .LBB121_7
.LBB121_8:
	s_endpgm
	.section	.rodata,"a",@progbits
	.p2align	6, 0x0
	.amdhsa_kernel _ZN2at6native12_GLOBAL__N_135CatArrayBatchedCopy_alignedK_contigINS1_10OpaqueTypeILj2EEEjLi1ELi64ELi64ELi16EEEvPT_NS1_25CatArrInputTensorMetadataIS5_T0_XT2_EXT3_EEENS1_16TensorSizeStrideIS8_Lj4EEEiS8_
		.amdhsa_group_segment_fixed_size 0
		.amdhsa_private_segment_fixed_size 0
		.amdhsa_kernarg_size 3696
		.amdhsa_user_sgpr_count 2
		.amdhsa_user_sgpr_dispatch_ptr 0
		.amdhsa_user_sgpr_queue_ptr 0
		.amdhsa_user_sgpr_kernarg_segment_ptr 1
		.amdhsa_user_sgpr_dispatch_id 0
		.amdhsa_user_sgpr_kernarg_preload_length 0
		.amdhsa_user_sgpr_kernarg_preload_offset 0
		.amdhsa_user_sgpr_private_segment_size 0
		.amdhsa_uses_dynamic_stack 0
		.amdhsa_enable_private_segment 0
		.amdhsa_system_sgpr_workgroup_id_x 1
		.amdhsa_system_sgpr_workgroup_id_y 1
		.amdhsa_system_sgpr_workgroup_id_z 0
		.amdhsa_system_sgpr_workgroup_info 0
		.amdhsa_system_vgpr_workitem_id 0
		.amdhsa_next_free_vgpr 31
		.amdhsa_next_free_sgpr 17
		.amdhsa_accum_offset 32
		.amdhsa_reserve_vcc 1
		.amdhsa_float_round_mode_32 0
		.amdhsa_float_round_mode_16_64 0
		.amdhsa_float_denorm_mode_32 3
		.amdhsa_float_denorm_mode_16_64 3
		.amdhsa_dx10_clamp 1
		.amdhsa_ieee_mode 1
		.amdhsa_fp16_overflow 0
		.amdhsa_tg_split 0
		.amdhsa_exception_fp_ieee_invalid_op 0
		.amdhsa_exception_fp_denorm_src 0
		.amdhsa_exception_fp_ieee_div_zero 0
		.amdhsa_exception_fp_ieee_overflow 0
		.amdhsa_exception_fp_ieee_underflow 0
		.amdhsa_exception_fp_ieee_inexact 0
		.amdhsa_exception_int_div_zero 0
	.end_amdhsa_kernel
	.section	.text._ZN2at6native12_GLOBAL__N_135CatArrayBatchedCopy_alignedK_contigINS1_10OpaqueTypeILj2EEEjLi1ELi64ELi64ELi16EEEvPT_NS1_25CatArrInputTensorMetadataIS5_T0_XT2_EXT3_EEENS1_16TensorSizeStrideIS8_Lj4EEEiS8_,"axG",@progbits,_ZN2at6native12_GLOBAL__N_135CatArrayBatchedCopy_alignedK_contigINS1_10OpaqueTypeILj2EEEjLi1ELi64ELi64ELi16EEEvPT_NS1_25CatArrInputTensorMetadataIS5_T0_XT2_EXT3_EEENS1_16TensorSizeStrideIS8_Lj4EEEiS8_,comdat
.Lfunc_end121:
	.size	_ZN2at6native12_GLOBAL__N_135CatArrayBatchedCopy_alignedK_contigINS1_10OpaqueTypeILj2EEEjLi1ELi64ELi64ELi16EEEvPT_NS1_25CatArrInputTensorMetadataIS5_T0_XT2_EXT3_EEENS1_16TensorSizeStrideIS8_Lj4EEEiS8_, .Lfunc_end121-_ZN2at6native12_GLOBAL__N_135CatArrayBatchedCopy_alignedK_contigINS1_10OpaqueTypeILj2EEEjLi1ELi64ELi64ELi16EEEvPT_NS1_25CatArrInputTensorMetadataIS5_T0_XT2_EXT3_EEENS1_16TensorSizeStrideIS8_Lj4EEEiS8_
                                        ; -- End function
	.set _ZN2at6native12_GLOBAL__N_135CatArrayBatchedCopy_alignedK_contigINS1_10OpaqueTypeILj2EEEjLi1ELi64ELi64ELi16EEEvPT_NS1_25CatArrInputTensorMetadataIS5_T0_XT2_EXT3_EEENS1_16TensorSizeStrideIS8_Lj4EEEiS8_.num_vgpr, 31
	.set _ZN2at6native12_GLOBAL__N_135CatArrayBatchedCopy_alignedK_contigINS1_10OpaqueTypeILj2EEEjLi1ELi64ELi64ELi16EEEvPT_NS1_25CatArrInputTensorMetadataIS5_T0_XT2_EXT3_EEENS1_16TensorSizeStrideIS8_Lj4EEEiS8_.num_agpr, 0
	.set _ZN2at6native12_GLOBAL__N_135CatArrayBatchedCopy_alignedK_contigINS1_10OpaqueTypeILj2EEEjLi1ELi64ELi64ELi16EEEvPT_NS1_25CatArrInputTensorMetadataIS5_T0_XT2_EXT3_EEENS1_16TensorSizeStrideIS8_Lj4EEEiS8_.numbered_sgpr, 17
	.set _ZN2at6native12_GLOBAL__N_135CatArrayBatchedCopy_alignedK_contigINS1_10OpaqueTypeILj2EEEjLi1ELi64ELi64ELi16EEEvPT_NS1_25CatArrInputTensorMetadataIS5_T0_XT2_EXT3_EEENS1_16TensorSizeStrideIS8_Lj4EEEiS8_.num_named_barrier, 0
	.set _ZN2at6native12_GLOBAL__N_135CatArrayBatchedCopy_alignedK_contigINS1_10OpaqueTypeILj2EEEjLi1ELi64ELi64ELi16EEEvPT_NS1_25CatArrInputTensorMetadataIS5_T0_XT2_EXT3_EEENS1_16TensorSizeStrideIS8_Lj4EEEiS8_.private_seg_size, 0
	.set _ZN2at6native12_GLOBAL__N_135CatArrayBatchedCopy_alignedK_contigINS1_10OpaqueTypeILj2EEEjLi1ELi64ELi64ELi16EEEvPT_NS1_25CatArrInputTensorMetadataIS5_T0_XT2_EXT3_EEENS1_16TensorSizeStrideIS8_Lj4EEEiS8_.uses_vcc, 1
	.set _ZN2at6native12_GLOBAL__N_135CatArrayBatchedCopy_alignedK_contigINS1_10OpaqueTypeILj2EEEjLi1ELi64ELi64ELi16EEEvPT_NS1_25CatArrInputTensorMetadataIS5_T0_XT2_EXT3_EEENS1_16TensorSizeStrideIS8_Lj4EEEiS8_.uses_flat_scratch, 0
	.set _ZN2at6native12_GLOBAL__N_135CatArrayBatchedCopy_alignedK_contigINS1_10OpaqueTypeILj2EEEjLi1ELi64ELi64ELi16EEEvPT_NS1_25CatArrInputTensorMetadataIS5_T0_XT2_EXT3_EEENS1_16TensorSizeStrideIS8_Lj4EEEiS8_.has_dyn_sized_stack, 0
	.set _ZN2at6native12_GLOBAL__N_135CatArrayBatchedCopy_alignedK_contigINS1_10OpaqueTypeILj2EEEjLi1ELi64ELi64ELi16EEEvPT_NS1_25CatArrInputTensorMetadataIS5_T0_XT2_EXT3_EEENS1_16TensorSizeStrideIS8_Lj4EEEiS8_.has_recursion, 0
	.set _ZN2at6native12_GLOBAL__N_135CatArrayBatchedCopy_alignedK_contigINS1_10OpaqueTypeILj2EEEjLi1ELi64ELi64ELi16EEEvPT_NS1_25CatArrInputTensorMetadataIS5_T0_XT2_EXT3_EEENS1_16TensorSizeStrideIS8_Lj4EEEiS8_.has_indirect_call, 0
	.section	.AMDGPU.csdata,"",@progbits
; Kernel info:
; codeLenInByte = 676
; TotalNumSgprs: 23
; NumVgprs: 31
; NumAgprs: 0
; TotalNumVgprs: 31
; ScratchSize: 0
; MemoryBound: 0
; FloatMode: 240
; IeeeMode: 1
; LDSByteSize: 0 bytes/workgroup (compile time only)
; SGPRBlocks: 2
; VGPRBlocks: 3
; NumSGPRsForWavesPerEU: 23
; NumVGPRsForWavesPerEU: 31
; AccumOffset: 32
; Occupancy: 8
; WaveLimiterHint : 1
; COMPUTE_PGM_RSRC2:SCRATCH_EN: 0
; COMPUTE_PGM_RSRC2:USER_SGPR: 2
; COMPUTE_PGM_RSRC2:TRAP_HANDLER: 0
; COMPUTE_PGM_RSRC2:TGID_X_EN: 1
; COMPUTE_PGM_RSRC2:TGID_Y_EN: 1
; COMPUTE_PGM_RSRC2:TGID_Z_EN: 0
; COMPUTE_PGM_RSRC2:TIDIG_COMP_CNT: 0
; COMPUTE_PGM_RSRC3_GFX90A:ACCUM_OFFSET: 7
; COMPUTE_PGM_RSRC3_GFX90A:TG_SPLIT: 0
	.section	.text._ZN2at6native12_GLOBAL__N_135CatArrayBatchedCopy_alignedK_contigINS1_10OpaqueTypeILj2EEEjLi1ELi64ELi64ELi8EEEvPT_NS1_25CatArrInputTensorMetadataIS5_T0_XT2_EXT3_EEENS1_16TensorSizeStrideIS8_Lj4EEEiS8_,"axG",@progbits,_ZN2at6native12_GLOBAL__N_135CatArrayBatchedCopy_alignedK_contigINS1_10OpaqueTypeILj2EEEjLi1ELi64ELi64ELi8EEEvPT_NS1_25CatArrInputTensorMetadataIS5_T0_XT2_EXT3_EEENS1_16TensorSizeStrideIS8_Lj4EEEiS8_,comdat
	.globl	_ZN2at6native12_GLOBAL__N_135CatArrayBatchedCopy_alignedK_contigINS1_10OpaqueTypeILj2EEEjLi1ELi64ELi64ELi8EEEvPT_NS1_25CatArrInputTensorMetadataIS5_T0_XT2_EXT3_EEENS1_16TensorSizeStrideIS8_Lj4EEEiS8_ ; -- Begin function _ZN2at6native12_GLOBAL__N_135CatArrayBatchedCopy_alignedK_contigINS1_10OpaqueTypeILj2EEEjLi1ELi64ELi64ELi8EEEvPT_NS1_25CatArrInputTensorMetadataIS5_T0_XT2_EXT3_EEENS1_16TensorSizeStrideIS8_Lj4EEEiS8_
	.p2align	8
	.type	_ZN2at6native12_GLOBAL__N_135CatArrayBatchedCopy_alignedK_contigINS1_10OpaqueTypeILj2EEEjLi1ELi64ELi64ELi8EEEvPT_NS1_25CatArrInputTensorMetadataIS5_T0_XT2_EXT3_EEENS1_16TensorSizeStrideIS8_Lj4EEEiS8_,@function
_ZN2at6native12_GLOBAL__N_135CatArrayBatchedCopy_alignedK_contigINS1_10OpaqueTypeILj2EEEjLi1ELi64ELi64ELi8EEEvPT_NS1_25CatArrInputTensorMetadataIS5_T0_XT2_EXT3_EEENS1_16TensorSizeStrideIS8_Lj4EEEiS8_: ; @_ZN2at6native12_GLOBAL__N_135CatArrayBatchedCopy_alignedK_contigINS1_10OpaqueTypeILj2EEEjLi1ELi64ELi64ELi8EEEvPT_NS1_25CatArrInputTensorMetadataIS5_T0_XT2_EXT3_EEENS1_16TensorSizeStrideIS8_Lj4EEEiS8_
; %bb.0:
	s_mov_b32 s4, s3
	s_load_dword s3, s[0:1], 0xd7c
	s_add_u32 s8, s0, 0xd70
	s_addc_u32 s9, s1, 0
	s_mov_b32 s5, 0
	s_waitcnt lgkmcnt(0)
	s_and_b32 s13, s3, 0xffff
	s_mul_i32 s6, s2, s13
	s_lshl_b64 s[2:3], s[4:5], 2
	s_add_u32 s4, s0, s2
	s_addc_u32 s5, s1, s3
	s_load_dword s10, s[4:5], 0x408
	v_add_u32_e32 v1, s6, v0
	v_lshlrev_b32_e32 v0, 2, v1
	s_add_u32 s4, s4, 8
	s_addc_u32 s5, s5, 0
	s_waitcnt lgkmcnt(0)
	v_cmp_gt_u32_e32 vcc, s10, v0
	s_and_saveexec_b64 s[6:7], vcc
	s_cbranch_execz .LBB122_8
; %bb.1:
	s_add_u32 s6, s4, s2
	s_addc_u32 s7, s5, s3
	s_sub_u32 s2, 0, s2
	s_subb_u32 s3, 0, s3
	s_add_u32 s14, s6, s2
	s_addc_u32 s15, s7, s3
	s_load_dword s12, s[14:15], 0x200
	s_load_dword s16, s[0:1], 0xd6c
	s_load_dwordx2 s[2:3], s[0:1], 0x0
	s_load_dwordx2 s[4:5], s[6:7], 0x0
	s_load_dword s11, s[0:1], 0xd58
	v_add_u32_e32 v2, 4, v0
	s_mov_b64 s[0:1], 0
	s_waitcnt lgkmcnt(0)
	s_mul_i32 s12, s12, s16
	v_cmp_ge_u32_e32 vcc, s10, v2
	s_and_saveexec_b64 s[6:7], vcc
	s_cbranch_execz .LBB122_5
; %bb.2:
	s_load_dword s8, s[8:9], 0x0
	v_mul_lo_u32 v2, s11, v0
	v_add_u32_e32 v3, 2, v0
	v_add_u32_e32 v4, 3, v0
	v_mul_lo_u32 v1, s11, v1
	s_waitcnt lgkmcnt(0)
	s_mul_i32 s9, s8, s13
	s_lshl_b32 s8, s9, 2
	s_mul_i32 s9, s9, s11
	v_add_u32_e32 v2, s11, v2
	s_lshl_b32 s9, s9, 2
	v_mul_lo_u32 v3, s11, v3
	v_mul_lo_u32 v4, s11, v4
	v_lshlrev_b32_e32 v5, 2, v1
	v_mov_b32_e32 v1, 0
	s_mov_b32 s13, s12
.LBB122_3:                              ; =>This Inner Loop Header: Depth=1
	v_lshl_add_u64 v[6:7], v[0:1], 1, s[4:5]
	global_load_dwordx2 v[6:7], v[6:7], off
	v_add_u32_e32 v0, s8, v0
	v_add_u32_e32 v16, 4, v0
	;; [unrolled: 1-line block ×3, first 2 shown]
	v_mov_b32_e32 v9, v1
	v_add_u32_e32 v10, s13, v2
	v_add_u32_e32 v12, s13, v3
	;; [unrolled: 1-line block ×3, first 2 shown]
	s_add_i32 s13, s13, s9
	v_cmp_lt_u32_e32 vcc, s10, v16
	v_mov_b32_e32 v11, v1
	v_mov_b32_e32 v13, v1
	;; [unrolled: 1-line block ×3, first 2 shown]
	v_lshl_add_u64 v[8:9], v[8:9], 1, s[2:3]
	s_or_b64 s[0:1], vcc, s[0:1]
	v_lshl_add_u64 v[10:11], v[10:11], 1, s[2:3]
	v_lshl_add_u64 v[12:13], v[12:13], 1, s[2:3]
	;; [unrolled: 1-line block ×3, first 2 shown]
	s_waitcnt vmcnt(0)
	global_store_short v[8:9], v6, off
	global_store_short_d16_hi v[10:11], v6, off
	global_store_short v[12:13], v7, off
	global_store_short_d16_hi v[14:15], v7, off
	s_andn2_b64 exec, exec, s[0:1]
	s_cbranch_execnz .LBB122_3
; %bb.4:
	s_or_b64 exec, exec, s[0:1]
.LBB122_5:
	s_or_b64 exec, exec, s[6:7]
	v_cmp_gt_u32_e32 vcc, s10, v0
	s_and_b64 exec, exec, vcc
	s_cbranch_execz .LBB122_8
; %bb.6:
	v_mov_b32_e32 v3, 0
	v_mov_b32_e32 v1, v3
	v_lshl_add_u64 v[4:5], v[0:1], 1, s[4:5]
	v_mul_lo_u32 v1, v0, s11
	v_add_u32_e32 v2, s12, v1
	s_mov_b64 s[0:1], 0
.LBB122_7:                              ; =>This Inner Loop Header: Depth=1
	global_load_ushort v1, v[4:5], off
	v_add_u32_e32 v0, 1, v0
	v_cmp_le_u32_e32 vcc, s10, v0
	v_lshl_add_u64 v[6:7], v[2:3], 1, s[2:3]
	v_lshl_add_u64 v[4:5], v[4:5], 0, 2
	v_add_u32_e32 v2, s11, v2
	s_or_b64 s[0:1], vcc, s[0:1]
	s_waitcnt vmcnt(0)
	global_store_short v[6:7], v1, off
	s_andn2_b64 exec, exec, s[0:1]
	s_cbranch_execnz .LBB122_7
.LBB122_8:
	s_endpgm
	.section	.rodata,"a",@progbits
	.p2align	6, 0x0
	.amdhsa_kernel _ZN2at6native12_GLOBAL__N_135CatArrayBatchedCopy_alignedK_contigINS1_10OpaqueTypeILj2EEEjLi1ELi64ELi64ELi8EEEvPT_NS1_25CatArrInputTensorMetadataIS5_T0_XT2_EXT3_EEENS1_16TensorSizeStrideIS8_Lj4EEEiS8_
		.amdhsa_group_segment_fixed_size 0
		.amdhsa_private_segment_fixed_size 0
		.amdhsa_kernarg_size 3696
		.amdhsa_user_sgpr_count 2
		.amdhsa_user_sgpr_dispatch_ptr 0
		.amdhsa_user_sgpr_queue_ptr 0
		.amdhsa_user_sgpr_kernarg_segment_ptr 1
		.amdhsa_user_sgpr_dispatch_id 0
		.amdhsa_user_sgpr_kernarg_preload_length 0
		.amdhsa_user_sgpr_kernarg_preload_offset 0
		.amdhsa_user_sgpr_private_segment_size 0
		.amdhsa_uses_dynamic_stack 0
		.amdhsa_enable_private_segment 0
		.amdhsa_system_sgpr_workgroup_id_x 1
		.amdhsa_system_sgpr_workgroup_id_y 1
		.amdhsa_system_sgpr_workgroup_id_z 0
		.amdhsa_system_sgpr_workgroup_info 0
		.amdhsa_system_vgpr_workitem_id 0
		.amdhsa_next_free_vgpr 17
		.amdhsa_next_free_sgpr 17
		.amdhsa_accum_offset 20
		.amdhsa_reserve_vcc 1
		.amdhsa_float_round_mode_32 0
		.amdhsa_float_round_mode_16_64 0
		.amdhsa_float_denorm_mode_32 3
		.amdhsa_float_denorm_mode_16_64 3
		.amdhsa_dx10_clamp 1
		.amdhsa_ieee_mode 1
		.amdhsa_fp16_overflow 0
		.amdhsa_tg_split 0
		.amdhsa_exception_fp_ieee_invalid_op 0
		.amdhsa_exception_fp_denorm_src 0
		.amdhsa_exception_fp_ieee_div_zero 0
		.amdhsa_exception_fp_ieee_overflow 0
		.amdhsa_exception_fp_ieee_underflow 0
		.amdhsa_exception_fp_ieee_inexact 0
		.amdhsa_exception_int_div_zero 0
	.end_amdhsa_kernel
	.section	.text._ZN2at6native12_GLOBAL__N_135CatArrayBatchedCopy_alignedK_contigINS1_10OpaqueTypeILj2EEEjLi1ELi64ELi64ELi8EEEvPT_NS1_25CatArrInputTensorMetadataIS5_T0_XT2_EXT3_EEENS1_16TensorSizeStrideIS8_Lj4EEEiS8_,"axG",@progbits,_ZN2at6native12_GLOBAL__N_135CatArrayBatchedCopy_alignedK_contigINS1_10OpaqueTypeILj2EEEjLi1ELi64ELi64ELi8EEEvPT_NS1_25CatArrInputTensorMetadataIS5_T0_XT2_EXT3_EEENS1_16TensorSizeStrideIS8_Lj4EEEiS8_,comdat
.Lfunc_end122:
	.size	_ZN2at6native12_GLOBAL__N_135CatArrayBatchedCopy_alignedK_contigINS1_10OpaqueTypeILj2EEEjLi1ELi64ELi64ELi8EEEvPT_NS1_25CatArrInputTensorMetadataIS5_T0_XT2_EXT3_EEENS1_16TensorSizeStrideIS8_Lj4EEEiS8_, .Lfunc_end122-_ZN2at6native12_GLOBAL__N_135CatArrayBatchedCopy_alignedK_contigINS1_10OpaqueTypeILj2EEEjLi1ELi64ELi64ELi8EEEvPT_NS1_25CatArrInputTensorMetadataIS5_T0_XT2_EXT3_EEENS1_16TensorSizeStrideIS8_Lj4EEEiS8_
                                        ; -- End function
	.set _ZN2at6native12_GLOBAL__N_135CatArrayBatchedCopy_alignedK_contigINS1_10OpaqueTypeILj2EEEjLi1ELi64ELi64ELi8EEEvPT_NS1_25CatArrInputTensorMetadataIS5_T0_XT2_EXT3_EEENS1_16TensorSizeStrideIS8_Lj4EEEiS8_.num_vgpr, 17
	.set _ZN2at6native12_GLOBAL__N_135CatArrayBatchedCopy_alignedK_contigINS1_10OpaqueTypeILj2EEEjLi1ELi64ELi64ELi8EEEvPT_NS1_25CatArrInputTensorMetadataIS5_T0_XT2_EXT3_EEENS1_16TensorSizeStrideIS8_Lj4EEEiS8_.num_agpr, 0
	.set _ZN2at6native12_GLOBAL__N_135CatArrayBatchedCopy_alignedK_contigINS1_10OpaqueTypeILj2EEEjLi1ELi64ELi64ELi8EEEvPT_NS1_25CatArrInputTensorMetadataIS5_T0_XT2_EXT3_EEENS1_16TensorSizeStrideIS8_Lj4EEEiS8_.numbered_sgpr, 17
	.set _ZN2at6native12_GLOBAL__N_135CatArrayBatchedCopy_alignedK_contigINS1_10OpaqueTypeILj2EEEjLi1ELi64ELi64ELi8EEEvPT_NS1_25CatArrInputTensorMetadataIS5_T0_XT2_EXT3_EEENS1_16TensorSizeStrideIS8_Lj4EEEiS8_.num_named_barrier, 0
	.set _ZN2at6native12_GLOBAL__N_135CatArrayBatchedCopy_alignedK_contigINS1_10OpaqueTypeILj2EEEjLi1ELi64ELi64ELi8EEEvPT_NS1_25CatArrInputTensorMetadataIS5_T0_XT2_EXT3_EEENS1_16TensorSizeStrideIS8_Lj4EEEiS8_.private_seg_size, 0
	.set _ZN2at6native12_GLOBAL__N_135CatArrayBatchedCopy_alignedK_contigINS1_10OpaqueTypeILj2EEEjLi1ELi64ELi64ELi8EEEvPT_NS1_25CatArrInputTensorMetadataIS5_T0_XT2_EXT3_EEENS1_16TensorSizeStrideIS8_Lj4EEEiS8_.uses_vcc, 1
	.set _ZN2at6native12_GLOBAL__N_135CatArrayBatchedCopy_alignedK_contigINS1_10OpaqueTypeILj2EEEjLi1ELi64ELi64ELi8EEEvPT_NS1_25CatArrInputTensorMetadataIS5_T0_XT2_EXT3_EEENS1_16TensorSizeStrideIS8_Lj4EEEiS8_.uses_flat_scratch, 0
	.set _ZN2at6native12_GLOBAL__N_135CatArrayBatchedCopy_alignedK_contigINS1_10OpaqueTypeILj2EEEjLi1ELi64ELi64ELi8EEEvPT_NS1_25CatArrInputTensorMetadataIS5_T0_XT2_EXT3_EEENS1_16TensorSizeStrideIS8_Lj4EEEiS8_.has_dyn_sized_stack, 0
	.set _ZN2at6native12_GLOBAL__N_135CatArrayBatchedCopy_alignedK_contigINS1_10OpaqueTypeILj2EEEjLi1ELi64ELi64ELi8EEEvPT_NS1_25CatArrInputTensorMetadataIS5_T0_XT2_EXT3_EEENS1_16TensorSizeStrideIS8_Lj4EEEiS8_.has_recursion, 0
	.set _ZN2at6native12_GLOBAL__N_135CatArrayBatchedCopy_alignedK_contigINS1_10OpaqueTypeILj2EEEjLi1ELi64ELi64ELi8EEEvPT_NS1_25CatArrInputTensorMetadataIS5_T0_XT2_EXT3_EEENS1_16TensorSizeStrideIS8_Lj4EEEiS8_.has_indirect_call, 0
	.section	.AMDGPU.csdata,"",@progbits
; Kernel info:
; codeLenInByte = 532
; TotalNumSgprs: 23
; NumVgprs: 17
; NumAgprs: 0
; TotalNumVgprs: 17
; ScratchSize: 0
; MemoryBound: 0
; FloatMode: 240
; IeeeMode: 1
; LDSByteSize: 0 bytes/workgroup (compile time only)
; SGPRBlocks: 2
; VGPRBlocks: 2
; NumSGPRsForWavesPerEU: 23
; NumVGPRsForWavesPerEU: 17
; AccumOffset: 20
; Occupancy: 8
; WaveLimiterHint : 1
; COMPUTE_PGM_RSRC2:SCRATCH_EN: 0
; COMPUTE_PGM_RSRC2:USER_SGPR: 2
; COMPUTE_PGM_RSRC2:TRAP_HANDLER: 0
; COMPUTE_PGM_RSRC2:TGID_X_EN: 1
; COMPUTE_PGM_RSRC2:TGID_Y_EN: 1
; COMPUTE_PGM_RSRC2:TGID_Z_EN: 0
; COMPUTE_PGM_RSRC2:TIDIG_COMP_CNT: 0
; COMPUTE_PGM_RSRC3_GFX90A:ACCUM_OFFSET: 4
; COMPUTE_PGM_RSRC3_GFX90A:TG_SPLIT: 0
	.section	.text._ZN2at6native12_GLOBAL__N_126CatArrayBatchedCopy_contigINS1_10OpaqueTypeILj2EEEjLi1ELi64ELi64EEEvPT_NS1_25CatArrInputTensorMetadataIS5_T0_XT2_EXT3_EEENS1_16TensorSizeStrideIS8_Lj4EEEiS8_,"axG",@progbits,_ZN2at6native12_GLOBAL__N_126CatArrayBatchedCopy_contigINS1_10OpaqueTypeILj2EEEjLi1ELi64ELi64EEEvPT_NS1_25CatArrInputTensorMetadataIS5_T0_XT2_EXT3_EEENS1_16TensorSizeStrideIS8_Lj4EEEiS8_,comdat
	.globl	_ZN2at6native12_GLOBAL__N_126CatArrayBatchedCopy_contigINS1_10OpaqueTypeILj2EEEjLi1ELi64ELi64EEEvPT_NS1_25CatArrInputTensorMetadataIS5_T0_XT2_EXT3_EEENS1_16TensorSizeStrideIS8_Lj4EEEiS8_ ; -- Begin function _ZN2at6native12_GLOBAL__N_126CatArrayBatchedCopy_contigINS1_10OpaqueTypeILj2EEEjLi1ELi64ELi64EEEvPT_NS1_25CatArrInputTensorMetadataIS5_T0_XT2_EXT3_EEENS1_16TensorSizeStrideIS8_Lj4EEEiS8_
	.p2align	8
	.type	_ZN2at6native12_GLOBAL__N_126CatArrayBatchedCopy_contigINS1_10OpaqueTypeILj2EEEjLi1ELi64ELi64EEEvPT_NS1_25CatArrInputTensorMetadataIS5_T0_XT2_EXT3_EEENS1_16TensorSizeStrideIS8_Lj4EEEiS8_,@function
_ZN2at6native12_GLOBAL__N_126CatArrayBatchedCopy_contigINS1_10OpaqueTypeILj2EEEjLi1ELi64ELi64EEEvPT_NS1_25CatArrInputTensorMetadataIS5_T0_XT2_EXT3_EEENS1_16TensorSizeStrideIS8_Lj4EEEiS8_: ; @_ZN2at6native12_GLOBAL__N_126CatArrayBatchedCopy_contigINS1_10OpaqueTypeILj2EEEjLi1ELi64ELi64EEEvPT_NS1_25CatArrInputTensorMetadataIS5_T0_XT2_EXT3_EEENS1_16TensorSizeStrideIS8_Lj4EEEiS8_
; %bb.0:
	s_mov_b32 s6, s3
	s_load_dword s3, s[0:1], 0xd7c
	s_add_u32 s4, s0, 0xd70
	s_mov_b32 s7, 0
	s_addc_u32 s5, s1, 0
	s_lshl_b64 s[6:7], s[6:7], 2
	s_waitcnt lgkmcnt(0)
	s_and_b32 s9, s3, 0xffff
	s_add_u32 s10, s0, s6
	s_addc_u32 s11, s1, s7
	s_load_dword s8, s[10:11], 0x408
	s_mul_i32 s2, s2, s9
	v_add_u32_e32 v0, s2, v0
	s_add_u32 s2, s10, 8
	s_addc_u32 s3, s11, 0
	s_waitcnt lgkmcnt(0)
	v_cmp_gt_u32_e32 vcc, s8, v0
	s_and_saveexec_b64 s[10:11], vcc
	s_cbranch_execz .LBB123_3
; %bb.1:
	s_add_u32 s10, s2, s6
	s_addc_u32 s11, s3, s7
	s_sub_u32 s2, 0, s6
	s_subb_u32 s3, 0, s7
	s_add_u32 s6, s10, s2
	s_load_dword s12, s[4:5], 0x0
	s_addc_u32 s7, s11, s3
	s_load_dword s13, s[6:7], 0x200
	s_load_dword s14, s[0:1], 0xd6c
	s_load_dwordx2 s[2:3], s[10:11], 0x0
	s_load_dword s15, s[0:1], 0xd58
	s_load_dwordx2 s[4:5], s[0:1], 0x0
	s_mov_b64 s[0:1], 0
	s_waitcnt lgkmcnt(0)
	s_mul_i32 s13, s13, s14
	s_mul_i32 s6, s12, s9
	v_mul_lo_u32 v1, s15, v0
	v_add_u32_e32 v2, s13, v1
	s_mul_i32 s7, s6, s15
	v_mov_b32_e32 v1, 0
.LBB123_2:                              ; =>This Inner Loop Header: Depth=1
	v_lshl_add_u64 v[4:5], v[0:1], 1, s[2:3]
	global_load_ushort v6, v[4:5], off
	v_add_u32_e32 v0, s6, v0
	v_mov_b32_e32 v3, v1
	v_cmp_le_u32_e32 vcc, s8, v0
	v_lshl_add_u64 v[4:5], v[2:3], 1, s[4:5]
	v_add_u32_e32 v2, s7, v2
	s_or_b64 s[0:1], vcc, s[0:1]
	s_waitcnt vmcnt(0)
	global_store_short v[4:5], v6, off
	s_andn2_b64 exec, exec, s[0:1]
	s_cbranch_execnz .LBB123_2
.LBB123_3:
	s_endpgm
	.section	.rodata,"a",@progbits
	.p2align	6, 0x0
	.amdhsa_kernel _ZN2at6native12_GLOBAL__N_126CatArrayBatchedCopy_contigINS1_10OpaqueTypeILj2EEEjLi1ELi64ELi64EEEvPT_NS1_25CatArrInputTensorMetadataIS5_T0_XT2_EXT3_EEENS1_16TensorSizeStrideIS8_Lj4EEEiS8_
		.amdhsa_group_segment_fixed_size 0
		.amdhsa_private_segment_fixed_size 0
		.amdhsa_kernarg_size 3696
		.amdhsa_user_sgpr_count 2
		.amdhsa_user_sgpr_dispatch_ptr 0
		.amdhsa_user_sgpr_queue_ptr 0
		.amdhsa_user_sgpr_kernarg_segment_ptr 1
		.amdhsa_user_sgpr_dispatch_id 0
		.amdhsa_user_sgpr_kernarg_preload_length 0
		.amdhsa_user_sgpr_kernarg_preload_offset 0
		.amdhsa_user_sgpr_private_segment_size 0
		.amdhsa_uses_dynamic_stack 0
		.amdhsa_enable_private_segment 0
		.amdhsa_system_sgpr_workgroup_id_x 1
		.amdhsa_system_sgpr_workgroup_id_y 1
		.amdhsa_system_sgpr_workgroup_id_z 0
		.amdhsa_system_sgpr_workgroup_info 0
		.amdhsa_system_vgpr_workitem_id 0
		.amdhsa_next_free_vgpr 7
		.amdhsa_next_free_sgpr 16
		.amdhsa_accum_offset 8
		.amdhsa_reserve_vcc 1
		.amdhsa_float_round_mode_32 0
		.amdhsa_float_round_mode_16_64 0
		.amdhsa_float_denorm_mode_32 3
		.amdhsa_float_denorm_mode_16_64 3
		.amdhsa_dx10_clamp 1
		.amdhsa_ieee_mode 1
		.amdhsa_fp16_overflow 0
		.amdhsa_tg_split 0
		.amdhsa_exception_fp_ieee_invalid_op 0
		.amdhsa_exception_fp_denorm_src 0
		.amdhsa_exception_fp_ieee_div_zero 0
		.amdhsa_exception_fp_ieee_overflow 0
		.amdhsa_exception_fp_ieee_underflow 0
		.amdhsa_exception_fp_ieee_inexact 0
		.amdhsa_exception_int_div_zero 0
	.end_amdhsa_kernel
	.section	.text._ZN2at6native12_GLOBAL__N_126CatArrayBatchedCopy_contigINS1_10OpaqueTypeILj2EEEjLi1ELi64ELi64EEEvPT_NS1_25CatArrInputTensorMetadataIS5_T0_XT2_EXT3_EEENS1_16TensorSizeStrideIS8_Lj4EEEiS8_,"axG",@progbits,_ZN2at6native12_GLOBAL__N_126CatArrayBatchedCopy_contigINS1_10OpaqueTypeILj2EEEjLi1ELi64ELi64EEEvPT_NS1_25CatArrInputTensorMetadataIS5_T0_XT2_EXT3_EEENS1_16TensorSizeStrideIS8_Lj4EEEiS8_,comdat
.Lfunc_end123:
	.size	_ZN2at6native12_GLOBAL__N_126CatArrayBatchedCopy_contigINS1_10OpaqueTypeILj2EEEjLi1ELi64ELi64EEEvPT_NS1_25CatArrInputTensorMetadataIS5_T0_XT2_EXT3_EEENS1_16TensorSizeStrideIS8_Lj4EEEiS8_, .Lfunc_end123-_ZN2at6native12_GLOBAL__N_126CatArrayBatchedCopy_contigINS1_10OpaqueTypeILj2EEEjLi1ELi64ELi64EEEvPT_NS1_25CatArrInputTensorMetadataIS5_T0_XT2_EXT3_EEENS1_16TensorSizeStrideIS8_Lj4EEEiS8_
                                        ; -- End function
	.set _ZN2at6native12_GLOBAL__N_126CatArrayBatchedCopy_contigINS1_10OpaqueTypeILj2EEEjLi1ELi64ELi64EEEvPT_NS1_25CatArrInputTensorMetadataIS5_T0_XT2_EXT3_EEENS1_16TensorSizeStrideIS8_Lj4EEEiS8_.num_vgpr, 7
	.set _ZN2at6native12_GLOBAL__N_126CatArrayBatchedCopy_contigINS1_10OpaqueTypeILj2EEEjLi1ELi64ELi64EEEvPT_NS1_25CatArrInputTensorMetadataIS5_T0_XT2_EXT3_EEENS1_16TensorSizeStrideIS8_Lj4EEEiS8_.num_agpr, 0
	.set _ZN2at6native12_GLOBAL__N_126CatArrayBatchedCopy_contigINS1_10OpaqueTypeILj2EEEjLi1ELi64ELi64EEEvPT_NS1_25CatArrInputTensorMetadataIS5_T0_XT2_EXT3_EEENS1_16TensorSizeStrideIS8_Lj4EEEiS8_.numbered_sgpr, 16
	.set _ZN2at6native12_GLOBAL__N_126CatArrayBatchedCopy_contigINS1_10OpaqueTypeILj2EEEjLi1ELi64ELi64EEEvPT_NS1_25CatArrInputTensorMetadataIS5_T0_XT2_EXT3_EEENS1_16TensorSizeStrideIS8_Lj4EEEiS8_.num_named_barrier, 0
	.set _ZN2at6native12_GLOBAL__N_126CatArrayBatchedCopy_contigINS1_10OpaqueTypeILj2EEEjLi1ELi64ELi64EEEvPT_NS1_25CatArrInputTensorMetadataIS5_T0_XT2_EXT3_EEENS1_16TensorSizeStrideIS8_Lj4EEEiS8_.private_seg_size, 0
	.set _ZN2at6native12_GLOBAL__N_126CatArrayBatchedCopy_contigINS1_10OpaqueTypeILj2EEEjLi1ELi64ELi64EEEvPT_NS1_25CatArrInputTensorMetadataIS5_T0_XT2_EXT3_EEENS1_16TensorSizeStrideIS8_Lj4EEEiS8_.uses_vcc, 1
	.set _ZN2at6native12_GLOBAL__N_126CatArrayBatchedCopy_contigINS1_10OpaqueTypeILj2EEEjLi1ELi64ELi64EEEvPT_NS1_25CatArrInputTensorMetadataIS5_T0_XT2_EXT3_EEENS1_16TensorSizeStrideIS8_Lj4EEEiS8_.uses_flat_scratch, 0
	.set _ZN2at6native12_GLOBAL__N_126CatArrayBatchedCopy_contigINS1_10OpaqueTypeILj2EEEjLi1ELi64ELi64EEEvPT_NS1_25CatArrInputTensorMetadataIS5_T0_XT2_EXT3_EEENS1_16TensorSizeStrideIS8_Lj4EEEiS8_.has_dyn_sized_stack, 0
	.set _ZN2at6native12_GLOBAL__N_126CatArrayBatchedCopy_contigINS1_10OpaqueTypeILj2EEEjLi1ELi64ELi64EEEvPT_NS1_25CatArrInputTensorMetadataIS5_T0_XT2_EXT3_EEENS1_16TensorSizeStrideIS8_Lj4EEEiS8_.has_recursion, 0
	.set _ZN2at6native12_GLOBAL__N_126CatArrayBatchedCopy_contigINS1_10OpaqueTypeILj2EEEjLi1ELi64ELi64EEEvPT_NS1_25CatArrInputTensorMetadataIS5_T0_XT2_EXT3_EEENS1_16TensorSizeStrideIS8_Lj4EEEiS8_.has_indirect_call, 0
	.section	.AMDGPU.csdata,"",@progbits
; Kernel info:
; codeLenInByte = 268
; TotalNumSgprs: 22
; NumVgprs: 7
; NumAgprs: 0
; TotalNumVgprs: 7
; ScratchSize: 0
; MemoryBound: 0
; FloatMode: 240
; IeeeMode: 1
; LDSByteSize: 0 bytes/workgroup (compile time only)
; SGPRBlocks: 2
; VGPRBlocks: 0
; NumSGPRsForWavesPerEU: 22
; NumVGPRsForWavesPerEU: 7
; AccumOffset: 8
; Occupancy: 8
; WaveLimiterHint : 1
; COMPUTE_PGM_RSRC2:SCRATCH_EN: 0
; COMPUTE_PGM_RSRC2:USER_SGPR: 2
; COMPUTE_PGM_RSRC2:TRAP_HANDLER: 0
; COMPUTE_PGM_RSRC2:TGID_X_EN: 1
; COMPUTE_PGM_RSRC2:TGID_Y_EN: 1
; COMPUTE_PGM_RSRC2:TGID_Z_EN: 0
; COMPUTE_PGM_RSRC2:TIDIG_COMP_CNT: 0
; COMPUTE_PGM_RSRC3_GFX90A:ACCUM_OFFSET: 1
; COMPUTE_PGM_RSRC3_GFX90A:TG_SPLIT: 0
	.section	.text._ZN2at6native12_GLOBAL__N_119CatArrayBatchedCopyINS1_10OpaqueTypeILj2EEEjLi1ELi64ELi64EEEvPT_NS1_25CatArrInputTensorMetadataIS5_T0_XT2_EXT3_EEENS1_16TensorSizeStrideIS8_Lj4EEEiS8_,"axG",@progbits,_ZN2at6native12_GLOBAL__N_119CatArrayBatchedCopyINS1_10OpaqueTypeILj2EEEjLi1ELi64ELi64EEEvPT_NS1_25CatArrInputTensorMetadataIS5_T0_XT2_EXT3_EEENS1_16TensorSizeStrideIS8_Lj4EEEiS8_,comdat
	.globl	_ZN2at6native12_GLOBAL__N_119CatArrayBatchedCopyINS1_10OpaqueTypeILj2EEEjLi1ELi64ELi64EEEvPT_NS1_25CatArrInputTensorMetadataIS5_T0_XT2_EXT3_EEENS1_16TensorSizeStrideIS8_Lj4EEEiS8_ ; -- Begin function _ZN2at6native12_GLOBAL__N_119CatArrayBatchedCopyINS1_10OpaqueTypeILj2EEEjLi1ELi64ELi64EEEvPT_NS1_25CatArrInputTensorMetadataIS5_T0_XT2_EXT3_EEENS1_16TensorSizeStrideIS8_Lj4EEEiS8_
	.p2align	8
	.type	_ZN2at6native12_GLOBAL__N_119CatArrayBatchedCopyINS1_10OpaqueTypeILj2EEEjLi1ELi64ELi64EEEvPT_NS1_25CatArrInputTensorMetadataIS5_T0_XT2_EXT3_EEENS1_16TensorSizeStrideIS8_Lj4EEEiS8_,@function
_ZN2at6native12_GLOBAL__N_119CatArrayBatchedCopyINS1_10OpaqueTypeILj2EEEjLi1ELi64ELi64EEEvPT_NS1_25CatArrInputTensorMetadataIS5_T0_XT2_EXT3_EEENS1_16TensorSizeStrideIS8_Lj4EEEiS8_: ; @_ZN2at6native12_GLOBAL__N_119CatArrayBatchedCopyINS1_10OpaqueTypeILj2EEEjLi1ELi64ELi64EEEvPT_NS1_25CatArrInputTensorMetadataIS5_T0_XT2_EXT3_EEENS1_16TensorSizeStrideIS8_Lj4EEEiS8_
; %bb.0:
	s_load_dword s5, s[0:1], 0xd7c
	s_mov_b32 s4, s3
	s_or_b32 s3, s0, 8
	s_add_u32 s8, s0, 0xd70
	s_addc_u32 s9, s1, 0
	s_waitcnt lgkmcnt(0)
	s_and_b32 s13, s5, 0xffff
	s_mov_b32 s5, 0
	s_lshl_b64 s[6:7], s[4:5], 2
	s_add_u32 s10, s3, s6
	s_addc_u32 s11, s1, s7
	s_load_dword s12, s[10:11], 0x400
	s_mul_i32 s2, s2, s13
	v_add_u32_e32 v4, s2, v0
	s_waitcnt lgkmcnt(0)
	v_cmp_gt_u32_e32 vcc, s12, v4
	s_and_saveexec_b64 s[14:15], vcc
	s_cbranch_execz .LBB124_3
; %bb.1:
	s_mul_i32 s14, s4, 28
	s_mul_hi_u32 s2, s4, 28
	s_add_u32 s10, s10, s14
	s_addc_u32 s11, s11, s2
	s_add_u32 s14, s3, s4
	s_addc_u32 s15, s1, 0
	v_mov_b32_e32 v1, 0
	global_load_ubyte v0, v1, s[14:15] offset:1280
	s_load_dword s5, s[8:9], 0x0
	s_load_dwordx2 s[2:3], s[0:1], 0x0
	s_load_dword s16, s[0:1], 0xd6c
	s_load_dword s17, s[10:11], 0x550
	;; [unrolled: 1-line block ×3, first 2 shown]
	s_waitcnt lgkmcnt(0)
	s_mul_i32 s8, s5, s13
	s_mul_hi_u32 s9, s4, 7
	s_mul_i32 s4, s4, 7
	s_mov_b64 s[0:1], 0
	v_mul_lo_u32 v2, s18, v4
	s_waitcnt vmcnt(0)
	v_readfirstlane_b32 s5, v0
	s_and_b32 s13, 1, s5
	s_add_u32 s10, s14, s4
	s_addc_u32 s11, s15, s9
	s_sub_u32 s4, 0, s6
	s_subb_u32 s5, 0, s7
	s_add_u32 s6, s10, s4
	s_addc_u32 s7, s11, s5
	s_load_dwordx2 s[4:5], s[10:11], 0x0
	s_load_dword s9, s[6:7], 0x200
	s_cmp_eq_u32 s13, 1
	s_cselect_b32 s6, 1, s17
	v_mul_lo_u32 v0, s6, v4
	s_mul_i32 s6, s8, s6
	s_waitcnt lgkmcnt(0)
	s_mul_i32 s9, s9, s16
	v_add_u32_e32 v2, s9, v2
	s_mul_i32 s7, s8, s18
.LBB124_2:                              ; =>This Inner Loop Header: Depth=1
	v_lshl_add_u64 v[6:7], v[0:1], 1, s[4:5]
	global_load_ushort v5, v[6:7], off
	v_add_u32_e32 v4, s8, v4
	v_mov_b32_e32 v3, v1
	v_cmp_le_u32_e32 vcc, s12, v4
	v_add_u32_e32 v0, s6, v0
	v_lshl_add_u64 v[6:7], v[2:3], 1, s[2:3]
	v_add_u32_e32 v2, s7, v2
	s_or_b64 s[0:1], vcc, s[0:1]
	s_waitcnt vmcnt(0)
	global_store_short v[6:7], v5, off
	s_andn2_b64 exec, exec, s[0:1]
	s_cbranch_execnz .LBB124_2
.LBB124_3:
	s_endpgm
	.section	.rodata,"a",@progbits
	.p2align	6, 0x0
	.amdhsa_kernel _ZN2at6native12_GLOBAL__N_119CatArrayBatchedCopyINS1_10OpaqueTypeILj2EEEjLi1ELi64ELi64EEEvPT_NS1_25CatArrInputTensorMetadataIS5_T0_XT2_EXT3_EEENS1_16TensorSizeStrideIS8_Lj4EEEiS8_
		.amdhsa_group_segment_fixed_size 0
		.amdhsa_private_segment_fixed_size 0
		.amdhsa_kernarg_size 3696
		.amdhsa_user_sgpr_count 2
		.amdhsa_user_sgpr_dispatch_ptr 0
		.amdhsa_user_sgpr_queue_ptr 0
		.amdhsa_user_sgpr_kernarg_segment_ptr 1
		.amdhsa_user_sgpr_dispatch_id 0
		.amdhsa_user_sgpr_kernarg_preload_length 0
		.amdhsa_user_sgpr_kernarg_preload_offset 0
		.amdhsa_user_sgpr_private_segment_size 0
		.amdhsa_uses_dynamic_stack 0
		.amdhsa_enable_private_segment 0
		.amdhsa_system_sgpr_workgroup_id_x 1
		.amdhsa_system_sgpr_workgroup_id_y 1
		.amdhsa_system_sgpr_workgroup_id_z 0
		.amdhsa_system_sgpr_workgroup_info 0
		.amdhsa_system_vgpr_workitem_id 0
		.amdhsa_next_free_vgpr 8
		.amdhsa_next_free_sgpr 19
		.amdhsa_accum_offset 8
		.amdhsa_reserve_vcc 1
		.amdhsa_float_round_mode_32 0
		.amdhsa_float_round_mode_16_64 0
		.amdhsa_float_denorm_mode_32 3
		.amdhsa_float_denorm_mode_16_64 3
		.amdhsa_dx10_clamp 1
		.amdhsa_ieee_mode 1
		.amdhsa_fp16_overflow 0
		.amdhsa_tg_split 0
		.amdhsa_exception_fp_ieee_invalid_op 0
		.amdhsa_exception_fp_denorm_src 0
		.amdhsa_exception_fp_ieee_div_zero 0
		.amdhsa_exception_fp_ieee_overflow 0
		.amdhsa_exception_fp_ieee_underflow 0
		.amdhsa_exception_fp_ieee_inexact 0
		.amdhsa_exception_int_div_zero 0
	.end_amdhsa_kernel
	.section	.text._ZN2at6native12_GLOBAL__N_119CatArrayBatchedCopyINS1_10OpaqueTypeILj2EEEjLi1ELi64ELi64EEEvPT_NS1_25CatArrInputTensorMetadataIS5_T0_XT2_EXT3_EEENS1_16TensorSizeStrideIS8_Lj4EEEiS8_,"axG",@progbits,_ZN2at6native12_GLOBAL__N_119CatArrayBatchedCopyINS1_10OpaqueTypeILj2EEEjLi1ELi64ELi64EEEvPT_NS1_25CatArrInputTensorMetadataIS5_T0_XT2_EXT3_EEENS1_16TensorSizeStrideIS8_Lj4EEEiS8_,comdat
.Lfunc_end124:
	.size	_ZN2at6native12_GLOBAL__N_119CatArrayBatchedCopyINS1_10OpaqueTypeILj2EEEjLi1ELi64ELi64EEEvPT_NS1_25CatArrInputTensorMetadataIS5_T0_XT2_EXT3_EEENS1_16TensorSizeStrideIS8_Lj4EEEiS8_, .Lfunc_end124-_ZN2at6native12_GLOBAL__N_119CatArrayBatchedCopyINS1_10OpaqueTypeILj2EEEjLi1ELi64ELi64EEEvPT_NS1_25CatArrInputTensorMetadataIS5_T0_XT2_EXT3_EEENS1_16TensorSizeStrideIS8_Lj4EEEiS8_
                                        ; -- End function
	.set _ZN2at6native12_GLOBAL__N_119CatArrayBatchedCopyINS1_10OpaqueTypeILj2EEEjLi1ELi64ELi64EEEvPT_NS1_25CatArrInputTensorMetadataIS5_T0_XT2_EXT3_EEENS1_16TensorSizeStrideIS8_Lj4EEEiS8_.num_vgpr, 8
	.set _ZN2at6native12_GLOBAL__N_119CatArrayBatchedCopyINS1_10OpaqueTypeILj2EEEjLi1ELi64ELi64EEEvPT_NS1_25CatArrInputTensorMetadataIS5_T0_XT2_EXT3_EEENS1_16TensorSizeStrideIS8_Lj4EEEiS8_.num_agpr, 0
	.set _ZN2at6native12_GLOBAL__N_119CatArrayBatchedCopyINS1_10OpaqueTypeILj2EEEjLi1ELi64ELi64EEEvPT_NS1_25CatArrInputTensorMetadataIS5_T0_XT2_EXT3_EEENS1_16TensorSizeStrideIS8_Lj4EEEiS8_.numbered_sgpr, 19
	.set _ZN2at6native12_GLOBAL__N_119CatArrayBatchedCopyINS1_10OpaqueTypeILj2EEEjLi1ELi64ELi64EEEvPT_NS1_25CatArrInputTensorMetadataIS5_T0_XT2_EXT3_EEENS1_16TensorSizeStrideIS8_Lj4EEEiS8_.num_named_barrier, 0
	.set _ZN2at6native12_GLOBAL__N_119CatArrayBatchedCopyINS1_10OpaqueTypeILj2EEEjLi1ELi64ELi64EEEvPT_NS1_25CatArrInputTensorMetadataIS5_T0_XT2_EXT3_EEENS1_16TensorSizeStrideIS8_Lj4EEEiS8_.private_seg_size, 0
	.set _ZN2at6native12_GLOBAL__N_119CatArrayBatchedCopyINS1_10OpaqueTypeILj2EEEjLi1ELi64ELi64EEEvPT_NS1_25CatArrInputTensorMetadataIS5_T0_XT2_EXT3_EEENS1_16TensorSizeStrideIS8_Lj4EEEiS8_.uses_vcc, 1
	.set _ZN2at6native12_GLOBAL__N_119CatArrayBatchedCopyINS1_10OpaqueTypeILj2EEEjLi1ELi64ELi64EEEvPT_NS1_25CatArrInputTensorMetadataIS5_T0_XT2_EXT3_EEENS1_16TensorSizeStrideIS8_Lj4EEEiS8_.uses_flat_scratch, 0
	.set _ZN2at6native12_GLOBAL__N_119CatArrayBatchedCopyINS1_10OpaqueTypeILj2EEEjLi1ELi64ELi64EEEvPT_NS1_25CatArrInputTensorMetadataIS5_T0_XT2_EXT3_EEENS1_16TensorSizeStrideIS8_Lj4EEEiS8_.has_dyn_sized_stack, 0
	.set _ZN2at6native12_GLOBAL__N_119CatArrayBatchedCopyINS1_10OpaqueTypeILj2EEEjLi1ELi64ELi64EEEvPT_NS1_25CatArrInputTensorMetadataIS5_T0_XT2_EXT3_EEENS1_16TensorSizeStrideIS8_Lj4EEEiS8_.has_recursion, 0
	.set _ZN2at6native12_GLOBAL__N_119CatArrayBatchedCopyINS1_10OpaqueTypeILj2EEEjLi1ELi64ELi64EEEvPT_NS1_25CatArrInputTensorMetadataIS5_T0_XT2_EXT3_EEENS1_16TensorSizeStrideIS8_Lj4EEEiS8_.has_indirect_call, 0
	.section	.AMDGPU.csdata,"",@progbits
; Kernel info:
; codeLenInByte = 352
; TotalNumSgprs: 25
; NumVgprs: 8
; NumAgprs: 0
; TotalNumVgprs: 8
; ScratchSize: 0
; MemoryBound: 0
; FloatMode: 240
; IeeeMode: 1
; LDSByteSize: 0 bytes/workgroup (compile time only)
; SGPRBlocks: 3
; VGPRBlocks: 0
; NumSGPRsForWavesPerEU: 25
; NumVGPRsForWavesPerEU: 8
; AccumOffset: 8
; Occupancy: 8
; WaveLimiterHint : 1
; COMPUTE_PGM_RSRC2:SCRATCH_EN: 0
; COMPUTE_PGM_RSRC2:USER_SGPR: 2
; COMPUTE_PGM_RSRC2:TRAP_HANDLER: 0
; COMPUTE_PGM_RSRC2:TGID_X_EN: 1
; COMPUTE_PGM_RSRC2:TGID_Y_EN: 1
; COMPUTE_PGM_RSRC2:TGID_Z_EN: 0
; COMPUTE_PGM_RSRC2:TIDIG_COMP_CNT: 0
; COMPUTE_PGM_RSRC3_GFX90A:ACCUM_OFFSET: 1
; COMPUTE_PGM_RSRC3_GFX90A:TG_SPLIT: 0
	.section	.text._ZN2at6native12_GLOBAL__N_130CatArrayBatchedCopy_vectorizedINS1_10OpaqueTypeILj2EEEjLi2ELi64ELi64ELi16ELi8EEEvPcNS1_25CatArrInputTensorMetadataIT_T0_XT2_EXT3_EEENS1_16TensorSizeStrideIS8_Lj4EEEiS8_,"axG",@progbits,_ZN2at6native12_GLOBAL__N_130CatArrayBatchedCopy_vectorizedINS1_10OpaqueTypeILj2EEEjLi2ELi64ELi64ELi16ELi8EEEvPcNS1_25CatArrInputTensorMetadataIT_T0_XT2_EXT3_EEENS1_16TensorSizeStrideIS8_Lj4EEEiS8_,comdat
	.globl	_ZN2at6native12_GLOBAL__N_130CatArrayBatchedCopy_vectorizedINS1_10OpaqueTypeILj2EEEjLi2ELi64ELi64ELi16ELi8EEEvPcNS1_25CatArrInputTensorMetadataIT_T0_XT2_EXT3_EEENS1_16TensorSizeStrideIS8_Lj4EEEiS8_ ; -- Begin function _ZN2at6native12_GLOBAL__N_130CatArrayBatchedCopy_vectorizedINS1_10OpaqueTypeILj2EEEjLi2ELi64ELi64ELi16ELi8EEEvPcNS1_25CatArrInputTensorMetadataIT_T0_XT2_EXT3_EEENS1_16TensorSizeStrideIS8_Lj4EEEiS8_
	.p2align	8
	.type	_ZN2at6native12_GLOBAL__N_130CatArrayBatchedCopy_vectorizedINS1_10OpaqueTypeILj2EEEjLi2ELi64ELi64ELi16ELi8EEEvPcNS1_25CatArrInputTensorMetadataIT_T0_XT2_EXT3_EEENS1_16TensorSizeStrideIS8_Lj4EEEiS8_,@function
_ZN2at6native12_GLOBAL__N_130CatArrayBatchedCopy_vectorizedINS1_10OpaqueTypeILj2EEEjLi2ELi64ELi64ELi16ELi8EEEvPcNS1_25CatArrInputTensorMetadataIT_T0_XT2_EXT3_EEENS1_16TensorSizeStrideIS8_Lj4EEEiS8_: ; @_ZN2at6native12_GLOBAL__N_130CatArrayBatchedCopy_vectorizedINS1_10OpaqueTypeILj2EEEjLi2ELi64ELi64ELi16ELi8EEEvPcNS1_25CatArrInputTensorMetadataIT_T0_XT2_EXT3_EEENS1_16TensorSizeStrideIS8_Lj4EEEiS8_
; %bb.0:
	s_mov_b32 s6, s3
	s_load_dword s3, s[0:1], 0xd7c
	s_add_u32 s4, s0, 0xd70
	s_mov_b32 s7, 0
	s_addc_u32 s5, s1, 0
	s_lshl_b64 s[8:9], s[6:7], 2
	s_waitcnt lgkmcnt(0)
	s_and_b32 s11, s3, 0xffff
	s_add_u32 s12, s0, s8
	s_addc_u32 s13, s1, s9
	s_load_dword s6, s[12:13], 0x408
	s_mul_i32 s2, s2, s11
	v_add_u32_e32 v0, s2, v0
	s_add_u32 s2, s12, 8
	s_addc_u32 s3, s13, 0
	s_waitcnt lgkmcnt(0)
	s_lshr_b32 s10, s6, 3
	v_cmp_gt_u32_e32 vcc, s10, v0
	s_and_saveexec_b64 s[12:13], vcc
	s_cbranch_execz .LBB125_3
; %bb.1:
	s_add_u32 s14, s2, s8
	s_addc_u32 s15, s3, s9
	s_sub_u32 s2, 0, s8
	s_load_dwordx2 s[12:13], s[0:1], 0xd68
	s_subb_u32 s3, 0, s9
	s_add_u32 s8, s14, s2
	s_addc_u32 s9, s15, s3
	s_load_dword s6, s[8:9], 0x200
	s_load_dword s16, s[8:9], 0x300
	s_load_dwordx2 s[2:3], s[0:1], 0xd58
	s_load_dword s17, s[0:1], 0xd4c
	s_waitcnt lgkmcnt(0)
	s_mul_i32 s6, s6, s13
	s_lshr_b32 s6, s6, 3
	s_mul_i32 s16, s16, s13
	s_lshr_b32 s8, s16, 3
	s_lshl_b64 s[6:7], s[6:7], 4
	s_cmp_eq_u32 s12, 1
	s_cselect_b32 s8, s8, s17
	v_cvt_f32_u32_e32 v1, s8
	s_load_dword s9, s[4:5], 0x0
	s_load_dwordx2 s[12:13], s[0:1], 0x0
	s_mov_b64 s[4:5], 0
	s_load_dwordx2 s[0:1], s[14:15], 0x0
	v_rcp_iflag_f32_e32 v1, v1
	s_waitcnt lgkmcnt(0)
	s_mul_i32 s9, s9, s11
	s_add_u32 s6, s12, s6
	s_addc_u32 s7, s13, s7
	v_mul_f32_e32 v1, 0x4f7ffffe, v1
	v_cvt_u32_f32_e32 v1, v1
	s_sub_i32 s11, 0, s8
	v_mul_lo_u32 v2, s11, v1
	v_mul_hi_u32 v2, v1, v2
	v_add_u32_e32 v2, v1, v2
	v_mov_b32_e32 v1, 0
.LBB125_2:                              ; =>This Inner Loop Header: Depth=1
	v_lshl_add_u64 v[4:5], v[0:1], 4, s[0:1]
	global_load_dwordx4 v[4:7], v[4:5], off
	v_mul_hi_u32 v3, v2, v0
	v_mul_lo_u32 v8, s8, v3
	v_not_b32_e32 v9, v3
	v_sub_u32_e32 v11, v0, v8
	v_add_u32_e32 v10, 1, v3
	v_mad_u64_u32 v[8:9], s[12:13], s8, v9, v[0:1]
	v_cmp_le_u32_e32 vcc, s8, v11
	s_nop 1
	v_cndmask_b32_e32 v3, v3, v10, vcc
	v_cndmask_b32_e32 v8, v11, v8, vcc
	v_add_u32_e32 v9, 1, v3
	v_cmp_le_u32_e32 vcc, s8, v8
	s_nop 1
	v_cndmask_b32_e32 v3, v3, v9, vcc
	v_mad_u64_u32 v[8:9], s[12:13], s11, v3, v[0:1]
	v_mul_lo_u32 v10, v3, s2
	v_add_u32_e32 v0, s9, v0
	v_mad_u64_u32 v[8:9], s[12:13], v8, s3, v[10:11]
	v_cmp_le_u32_e32 vcc, s10, v0
	v_mov_b32_e32 v9, v1
	s_or_b64 s[4:5], vcc, s[4:5]
	v_lshl_add_u64 v[8:9], v[8:9], 4, s[6:7]
	s_waitcnt vmcnt(0)
	global_store_dwordx4 v[8:9], v[4:7], off
	s_andn2_b64 exec, exec, s[4:5]
	s_cbranch_execnz .LBB125_2
.LBB125_3:
	s_endpgm
	.section	.rodata,"a",@progbits
	.p2align	6, 0x0
	.amdhsa_kernel _ZN2at6native12_GLOBAL__N_130CatArrayBatchedCopy_vectorizedINS1_10OpaqueTypeILj2EEEjLi2ELi64ELi64ELi16ELi8EEEvPcNS1_25CatArrInputTensorMetadataIT_T0_XT2_EXT3_EEENS1_16TensorSizeStrideIS8_Lj4EEEiS8_
		.amdhsa_group_segment_fixed_size 0
		.amdhsa_private_segment_fixed_size 0
		.amdhsa_kernarg_size 3696
		.amdhsa_user_sgpr_count 2
		.amdhsa_user_sgpr_dispatch_ptr 0
		.amdhsa_user_sgpr_queue_ptr 0
		.amdhsa_user_sgpr_kernarg_segment_ptr 1
		.amdhsa_user_sgpr_dispatch_id 0
		.amdhsa_user_sgpr_kernarg_preload_length 0
		.amdhsa_user_sgpr_kernarg_preload_offset 0
		.amdhsa_user_sgpr_private_segment_size 0
		.amdhsa_uses_dynamic_stack 0
		.amdhsa_enable_private_segment 0
		.amdhsa_system_sgpr_workgroup_id_x 1
		.amdhsa_system_sgpr_workgroup_id_y 1
		.amdhsa_system_sgpr_workgroup_id_z 0
		.amdhsa_system_sgpr_workgroup_info 0
		.amdhsa_system_vgpr_workitem_id 0
		.amdhsa_next_free_vgpr 12
		.amdhsa_next_free_sgpr 18
		.amdhsa_accum_offset 12
		.amdhsa_reserve_vcc 1
		.amdhsa_float_round_mode_32 0
		.amdhsa_float_round_mode_16_64 0
		.amdhsa_float_denorm_mode_32 3
		.amdhsa_float_denorm_mode_16_64 3
		.amdhsa_dx10_clamp 1
		.amdhsa_ieee_mode 1
		.amdhsa_fp16_overflow 0
		.amdhsa_tg_split 0
		.amdhsa_exception_fp_ieee_invalid_op 0
		.amdhsa_exception_fp_denorm_src 0
		.amdhsa_exception_fp_ieee_div_zero 0
		.amdhsa_exception_fp_ieee_overflow 0
		.amdhsa_exception_fp_ieee_underflow 0
		.amdhsa_exception_fp_ieee_inexact 0
		.amdhsa_exception_int_div_zero 0
	.end_amdhsa_kernel
	.section	.text._ZN2at6native12_GLOBAL__N_130CatArrayBatchedCopy_vectorizedINS1_10OpaqueTypeILj2EEEjLi2ELi64ELi64ELi16ELi8EEEvPcNS1_25CatArrInputTensorMetadataIT_T0_XT2_EXT3_EEENS1_16TensorSizeStrideIS8_Lj4EEEiS8_,"axG",@progbits,_ZN2at6native12_GLOBAL__N_130CatArrayBatchedCopy_vectorizedINS1_10OpaqueTypeILj2EEEjLi2ELi64ELi64ELi16ELi8EEEvPcNS1_25CatArrInputTensorMetadataIT_T0_XT2_EXT3_EEENS1_16TensorSizeStrideIS8_Lj4EEEiS8_,comdat
.Lfunc_end125:
	.size	_ZN2at6native12_GLOBAL__N_130CatArrayBatchedCopy_vectorizedINS1_10OpaqueTypeILj2EEEjLi2ELi64ELi64ELi16ELi8EEEvPcNS1_25CatArrInputTensorMetadataIT_T0_XT2_EXT3_EEENS1_16TensorSizeStrideIS8_Lj4EEEiS8_, .Lfunc_end125-_ZN2at6native12_GLOBAL__N_130CatArrayBatchedCopy_vectorizedINS1_10OpaqueTypeILj2EEEjLi2ELi64ELi64ELi16ELi8EEEvPcNS1_25CatArrInputTensorMetadataIT_T0_XT2_EXT3_EEENS1_16TensorSizeStrideIS8_Lj4EEEiS8_
                                        ; -- End function
	.set _ZN2at6native12_GLOBAL__N_130CatArrayBatchedCopy_vectorizedINS1_10OpaqueTypeILj2EEEjLi2ELi64ELi64ELi16ELi8EEEvPcNS1_25CatArrInputTensorMetadataIT_T0_XT2_EXT3_EEENS1_16TensorSizeStrideIS8_Lj4EEEiS8_.num_vgpr, 12
	.set _ZN2at6native12_GLOBAL__N_130CatArrayBatchedCopy_vectorizedINS1_10OpaqueTypeILj2EEEjLi2ELi64ELi64ELi16ELi8EEEvPcNS1_25CatArrInputTensorMetadataIT_T0_XT2_EXT3_EEENS1_16TensorSizeStrideIS8_Lj4EEEiS8_.num_agpr, 0
	.set _ZN2at6native12_GLOBAL__N_130CatArrayBatchedCopy_vectorizedINS1_10OpaqueTypeILj2EEEjLi2ELi64ELi64ELi16ELi8EEEvPcNS1_25CatArrInputTensorMetadataIT_T0_XT2_EXT3_EEENS1_16TensorSizeStrideIS8_Lj4EEEiS8_.numbered_sgpr, 18
	.set _ZN2at6native12_GLOBAL__N_130CatArrayBatchedCopy_vectorizedINS1_10OpaqueTypeILj2EEEjLi2ELi64ELi64ELi16ELi8EEEvPcNS1_25CatArrInputTensorMetadataIT_T0_XT2_EXT3_EEENS1_16TensorSizeStrideIS8_Lj4EEEiS8_.num_named_barrier, 0
	.set _ZN2at6native12_GLOBAL__N_130CatArrayBatchedCopy_vectorizedINS1_10OpaqueTypeILj2EEEjLi2ELi64ELi64ELi16ELi8EEEvPcNS1_25CatArrInputTensorMetadataIT_T0_XT2_EXT3_EEENS1_16TensorSizeStrideIS8_Lj4EEEiS8_.private_seg_size, 0
	.set _ZN2at6native12_GLOBAL__N_130CatArrayBatchedCopy_vectorizedINS1_10OpaqueTypeILj2EEEjLi2ELi64ELi64ELi16ELi8EEEvPcNS1_25CatArrInputTensorMetadataIT_T0_XT2_EXT3_EEENS1_16TensorSizeStrideIS8_Lj4EEEiS8_.uses_vcc, 1
	.set _ZN2at6native12_GLOBAL__N_130CatArrayBatchedCopy_vectorizedINS1_10OpaqueTypeILj2EEEjLi2ELi64ELi64ELi16ELi8EEEvPcNS1_25CatArrInputTensorMetadataIT_T0_XT2_EXT3_EEENS1_16TensorSizeStrideIS8_Lj4EEEiS8_.uses_flat_scratch, 0
	.set _ZN2at6native12_GLOBAL__N_130CatArrayBatchedCopy_vectorizedINS1_10OpaqueTypeILj2EEEjLi2ELi64ELi64ELi16ELi8EEEvPcNS1_25CatArrInputTensorMetadataIT_T0_XT2_EXT3_EEENS1_16TensorSizeStrideIS8_Lj4EEEiS8_.has_dyn_sized_stack, 0
	.set _ZN2at6native12_GLOBAL__N_130CatArrayBatchedCopy_vectorizedINS1_10OpaqueTypeILj2EEEjLi2ELi64ELi64ELi16ELi8EEEvPcNS1_25CatArrInputTensorMetadataIT_T0_XT2_EXT3_EEENS1_16TensorSizeStrideIS8_Lj4EEEiS8_.has_recursion, 0
	.set _ZN2at6native12_GLOBAL__N_130CatArrayBatchedCopy_vectorizedINS1_10OpaqueTypeILj2EEEjLi2ELi64ELi64ELi16ELi8EEEvPcNS1_25CatArrInputTensorMetadataIT_T0_XT2_EXT3_EEENS1_16TensorSizeStrideIS8_Lj4EEEiS8_.has_indirect_call, 0
	.section	.AMDGPU.csdata,"",@progbits
; Kernel info:
; codeLenInByte = 440
; TotalNumSgprs: 24
; NumVgprs: 12
; NumAgprs: 0
; TotalNumVgprs: 12
; ScratchSize: 0
; MemoryBound: 0
; FloatMode: 240
; IeeeMode: 1
; LDSByteSize: 0 bytes/workgroup (compile time only)
; SGPRBlocks: 2
; VGPRBlocks: 1
; NumSGPRsForWavesPerEU: 24
; NumVGPRsForWavesPerEU: 12
; AccumOffset: 12
; Occupancy: 8
; WaveLimiterHint : 1
; COMPUTE_PGM_RSRC2:SCRATCH_EN: 0
; COMPUTE_PGM_RSRC2:USER_SGPR: 2
; COMPUTE_PGM_RSRC2:TRAP_HANDLER: 0
; COMPUTE_PGM_RSRC2:TGID_X_EN: 1
; COMPUTE_PGM_RSRC2:TGID_Y_EN: 1
; COMPUTE_PGM_RSRC2:TGID_Z_EN: 0
; COMPUTE_PGM_RSRC2:TIDIG_COMP_CNT: 0
; COMPUTE_PGM_RSRC3_GFX90A:ACCUM_OFFSET: 2
; COMPUTE_PGM_RSRC3_GFX90A:TG_SPLIT: 0
	.section	.text._ZN2at6native12_GLOBAL__N_135CatArrayBatchedCopy_alignedK_contigINS1_10OpaqueTypeILj2EEEjLi2ELi64ELi64ELi16EEEvPT_NS1_25CatArrInputTensorMetadataIS5_T0_XT2_EXT3_EEENS1_16TensorSizeStrideIS8_Lj4EEEiS8_,"axG",@progbits,_ZN2at6native12_GLOBAL__N_135CatArrayBatchedCopy_alignedK_contigINS1_10OpaqueTypeILj2EEEjLi2ELi64ELi64ELi16EEEvPT_NS1_25CatArrInputTensorMetadataIS5_T0_XT2_EXT3_EEENS1_16TensorSizeStrideIS8_Lj4EEEiS8_,comdat
	.globl	_ZN2at6native12_GLOBAL__N_135CatArrayBatchedCopy_alignedK_contigINS1_10OpaqueTypeILj2EEEjLi2ELi64ELi64ELi16EEEvPT_NS1_25CatArrInputTensorMetadataIS5_T0_XT2_EXT3_EEENS1_16TensorSizeStrideIS8_Lj4EEEiS8_ ; -- Begin function _ZN2at6native12_GLOBAL__N_135CatArrayBatchedCopy_alignedK_contigINS1_10OpaqueTypeILj2EEEjLi2ELi64ELi64ELi16EEEvPT_NS1_25CatArrInputTensorMetadataIS5_T0_XT2_EXT3_EEENS1_16TensorSizeStrideIS8_Lj4EEEiS8_
	.p2align	8
	.type	_ZN2at6native12_GLOBAL__N_135CatArrayBatchedCopy_alignedK_contigINS1_10OpaqueTypeILj2EEEjLi2ELi64ELi64ELi16EEEvPT_NS1_25CatArrInputTensorMetadataIS5_T0_XT2_EXT3_EEENS1_16TensorSizeStrideIS8_Lj4EEEiS8_,@function
_ZN2at6native12_GLOBAL__N_135CatArrayBatchedCopy_alignedK_contigINS1_10OpaqueTypeILj2EEEjLi2ELi64ELi64ELi16EEEvPT_NS1_25CatArrInputTensorMetadataIS5_T0_XT2_EXT3_EEENS1_16TensorSizeStrideIS8_Lj4EEEiS8_: ; @_ZN2at6native12_GLOBAL__N_135CatArrayBatchedCopy_alignedK_contigINS1_10OpaqueTypeILj2EEEjLi2ELi64ELi64ELi16EEEvPT_NS1_25CatArrInputTensorMetadataIS5_T0_XT2_EXT3_EEENS1_16TensorSizeStrideIS8_Lj4EEEiS8_
; %bb.0:
	s_mov_b32 s6, s3
	s_load_dword s3, s[0:1], 0xd7c
	s_add_u32 s4, s0, 0xd70
	s_mov_b32 s7, 0
	s_addc_u32 s5, s1, 0
	s_lshl_b64 s[6:7], s[6:7], 2
	s_waitcnt lgkmcnt(0)
	s_and_b32 s3, s3, 0xffff
	s_add_u32 s8, s0, s6
	s_addc_u32 s9, s1, s7
	s_load_dword s24, s[8:9], 0x408
	s_mul_i32 s2, s2, s3
	v_add_lshl_u32 v0, s2, v0, 3
	s_add_u32 s2, s8, 8
	s_addc_u32 s8, s9, 0
	s_waitcnt lgkmcnt(0)
	v_cmp_gt_u32_e32 vcc, s24, v0
	s_and_saveexec_b64 s[10:11], vcc
	s_cbranch_execz .LBB126_8
; %bb.1:
	s_add_u32 s10, s2, s6
	s_addc_u32 s11, s8, s7
	s_sub_u32 s2, 0, s6
	s_subb_u32 s7, 0, s7
	s_add_u32 s6, s10, s2
	s_addc_u32 s7, s11, s7
	s_load_dword s2, s[6:7], 0x200
	s_load_dwordx2 s[12:13], s[0:1], 0x0
	s_load_dwordx2 s[18:19], s[0:1], 0xd68
	s_load_dword s25, s[0:1], 0xd4c
	s_load_dwordx2 s[14:15], s[0:1], 0xd58
	s_load_dwordx2 s[16:17], s[10:11], 0x0
	s_load_dword s26, s[6:7], 0x300
	v_add_u32_e32 v1, 8, v0
	s_mov_b64 s[20:21], 0
	s_waitcnt lgkmcnt(0)
	s_mul_i32 s19, s2, s19
	v_cmp_ge_u32_e32 vcc, s24, v1
	s_and_saveexec_b64 s[22:23], vcc
	s_cbranch_execz .LBB126_5
; %bb.2:
	s_load_dword s0, s[4:5], 0x0
	v_mov_b32_e32 v1, 0
	v_add_u32_e32 v18, 7, v0
	v_add_u32_e32 v19, 6, v0
	;; [unrolled: 1-line block ×3, first 2 shown]
	s_waitcnt lgkmcnt(0)
	s_mul_i32 s0, s0, s3
	s_lshl_b32 s27, s0, 3
	s_cmp_eq_u32 s18, 1
	s_cselect_b32 s28, s26, s25
	v_cvt_f32_u32_e32 v2, s28
	s_sub_i32 s29, 0, s28
	v_add_u32_e32 v21, 4, v0
	v_add_u32_e32 v22, 3, v0
	v_rcp_iflag_f32_e32 v2, v2
	v_add_u32_e32 v23, 2, v0
	v_add_u32_e32 v25, 1, v0
	v_mul_f32_e32 v2, 0x4f7ffffe, v2
	v_cvt_u32_f32_e32 v2, v2
	v_mul_lo_u32 v3, s29, v2
	v_mul_hi_u32 v3, v2, v3
	v_add_u32_e32 v24, v2, v3
.LBB126_3:                              ; =>This Inner Loop Header: Depth=1
	v_mul_hi_u32 v16, v24, v0
	v_not_b32_e32 v30, v16
	v_mad_u64_u32 v[28:29], s[0:1], s29, v16, v[0:1]
	v_mul_hi_u32 v38, v24, v25
	v_add_u32_e32 v12, 1, v0
	v_mov_b32_e32 v13, v1
	v_add_u32_e32 v29, 1, v16
	v_cmp_le_u32_e32 vcc, s28, v28
	v_mad_u64_u32 v[30:31], s[0:1], s28, v30, v[0:1]
	s_nop 0
	v_cndmask_b32_e32 v16, v16, v29, vcc
	v_cndmask_b32_e32 v45, v28, v30, vcc
	v_not_b32_e32 v30, v38
	v_mad_u64_u32 v[28:29], s[0:1], s29, v38, v[12:13]
	v_mul_hi_u32 v37, v24, v23
	v_add_u32_e32 v2, 2, v0
	v_mov_b32_e32 v3, v1
	v_mul_hi_u32 v46, v12, v24
	v_mad_u64_u32 v[30:31], s[0:1], s28, v30, v[12:13]
	v_cmp_le_u32_e32 vcc, s28, v28
	v_add_u32_e32 v12, 1, v46
	v_mul_hi_u32 v31, v2, v24
	v_cndmask_b32_e32 v38, v28, v30, vcc
	v_mad_u64_u32 v[28:29], s[0:1], s29, v37, v[2:3]
	v_not_b32_e32 v44, v37
	v_cndmask_b32_e32 v12, v46, v12, vcc
	v_add_u32_e32 v29, 1, v31
	v_cmp_le_u32_e32 vcc, s28, v28
	v_mul_hi_u32 v36, v24, v22
	v_add_u32_e32 v4, 3, v0
	v_mov_b32_e32 v5, v1
	v_cndmask_b32_e32 v46, v31, v29, vcc
	v_mad_u64_u32 v[30:31], s[0:1], s28, v44, v[2:3]
	v_not_b32_e32 v43, v36
	v_mul_hi_u32 v37, v4, v24
	v_cndmask_b32_e32 v44, v28, v30, vcc
	v_mad_u64_u32 v[28:29], s[0:1], s29, v36, v[4:5]
	v_mul_hi_u32 v35, v24, v21
	v_add_u32_e32 v6, 4, v0
	v_mov_b32_e32 v7, v1
	v_add_u32_e32 v29, 1, v37
	v_cmp_le_u32_e32 vcc, s28, v28
	v_mad_u64_u32 v[30:31], s[0:1], s28, v43, v[4:5]
	v_not_b32_e32 v42, v35
	v_mul_hi_u32 v36, v6, v24
	v_cndmask_b32_e32 v37, v37, v29, vcc
	v_cndmask_b32_e32 v43, v28, v30, vcc
	v_mad_u64_u32 v[28:29], s[0:1], s29, v35, v[6:7]
	v_mul_hi_u32 v34, v24, v20
	v_add_u32_e32 v8, 5, v0
	v_mov_b32_e32 v9, v1
	v_add_u32_e32 v29, 1, v36
	v_cmp_le_u32_e32 vcc, s28, v28
	v_mad_u64_u32 v[30:31], s[0:1], s28, v42, v[6:7]
	v_not_b32_e32 v41, v34
	v_mul_hi_u32 v35, v8, v24
	v_cndmask_b32_e32 v36, v36, v29, vcc
	;; [unrolled: 11-line block ×4, first 2 shown]
	v_cndmask_b32_e32 v40, v28, v30, vcc
	v_mad_u64_u32 v[28:29], s[0:1], s29, v32, v[14:15]
	v_lshl_add_u64 v[26:27], v[0:1], 1, s[16:17]
	v_add_u32_e32 v29, 1, v33
	v_mad_u64_u32 v[30:31], s[0:1], s28, v39, v[14:15]
	v_cmp_le_u32_e32 vcc, s28, v28
	v_add_u32_e32 v31, 1, v16
	v_cmp_le_u32_e64 s[0:1], s28, v44
	v_cndmask_b32_e32 v32, v33, v29, vcc
	v_cndmask_b32_e32 v30, v28, v30, vcc
	global_load_dwordx4 v[26:29], v[26:27], off
	v_cmp_le_u32_e32 vcc, s28, v45
	v_add_u32_e32 v33, 1, v12
	v_add_u32_e32 v39, 1, v37
	v_cndmask_b32_e32 v16, v16, v31, vcc
	v_cmp_le_u32_e32 vcc, s28, v38
	v_add_u32_e32 v38, 1, v46
	v_cmp_le_u32_e64 s[2:3], s28, v43
	v_add_u32_e32 v43, 1, v36
	v_cmp_le_u32_e64 s[4:5], s28, v42
	v_cmp_le_u32_e64 s[10:11], s28, v30
	v_mad_u64_u32 v[30:31], s[30:31], s29, v16, v[0:1]
	v_cndmask_b32_e32 v12, v12, v33, vcc
	v_add_u32_e32 v42, 1, v35
	v_cmp_le_u32_e64 s[6:7], s28, v41
	v_add_u32_e32 v41, 1, v34
	v_cmp_le_u32_e64 s[8:9], s28, v40
	v_add_u32_e32 v40, 1, v32
	v_cndmask_b32_e64 v38, v46, v38, s[0:1]
	v_cndmask_b32_e64 v37, v37, v39, s[2:3]
	;; [unrolled: 1-line block ×3, first 2 shown]
	v_mul_lo_u32 v45, v30, s15
	v_mad_u64_u32 v[30:31], s[0:1], s29, v12, v[0:1]
	v_cndmask_b32_e64 v42, v35, v42, s[6:7]
	v_cndmask_b32_e64 v43, v34, v41, s[8:9]
	;; [unrolled: 1-line block ×3, first 2 shown]
	v_mul_lo_u32 v31, v12, s14
	v_mad_u64_u32 v[32:33], s[0:1], s29, v38, v[2:3]
	v_mad_u64_u32 v[34:35], s[0:1], s29, v37, v[4:5]
	v_mul_lo_u32 v12, v37, s14
	v_mad_u64_u32 v[36:37], s[0:1], s29, v39, v[6:7]
	v_add_u32_e32 v0, s27, v0
	v_mul_lo_u32 v16, v16, s14
	v_mul_lo_u32 v2, v38, s14
	;; [unrolled: 1-line block ×3, first 2 shown]
	v_mad_u64_u32 v[38:39], s[0:1], s29, v42, v[8:9]
	v_mul_lo_u32 v35, v42, s14
	v_mad_u64_u32 v[40:41], s[0:1], s29, v43, v[10:11]
	v_mul_lo_u32 v37, v43, s14
	v_mad_u64_u32 v[42:43], s[0:1], s29, v44, v[14:15]
	v_mul_lo_u32 v6, s15, v30
	v_mul_lo_u32 v14, v36, s15
	v_add_u32_e32 v36, 8, v0
	v_mul_lo_u32 v39, v44, s14
	v_mul_lo_u32 v8, v32, s15
	;; [unrolled: 1-line block ×6, first 2 shown]
	v_add3_u32 v4, v45, v16, s19
	v_add_u32_e32 v38, s15, v6
	v_cmp_lt_u32_e32 vcc, s24, v36
	v_mov_b32_e32 v17, v1
	v_add_u32_e32 v18, s27, v18
	v_add_u32_e32 v19, s27, v19
	;; [unrolled: 1-line block ×7, first 2 shown]
	v_lshl_add_u64 v[4:5], v[4:5], 1, s[12:13]
	v_add3_u32 v6, v8, v2, s19
	v_add3_u32 v8, v10, v12, s19
	;; [unrolled: 1-line block ×7, first 2 shown]
	s_or_b64 s[20:21], vcc, s[20:21]
	v_lshl_add_u64 v[6:7], v[6:7], 1, s[12:13]
	v_lshl_add_u64 v[8:9], v[8:9], 1, s[12:13]
	;; [unrolled: 1-line block ×7, first 2 shown]
	s_waitcnt vmcnt(0)
	global_store_short v[4:5], v26, off
	global_store_short_d16_hi v[2:3], v26, off
	global_store_short v[6:7], v27, off
	global_store_short_d16_hi v[8:9], v27, off
	;; [unrolled: 2-line block ×4, first 2 shown]
	s_andn2_b64 exec, exec, s[20:21]
	s_cbranch_execnz .LBB126_3
; %bb.4:
	s_or_b64 exec, exec, s[20:21]
.LBB126_5:
	s_or_b64 exec, exec, s[22:23]
	v_cmp_gt_u32_e32 vcc, s24, v0
	s_and_b64 exec, exec, vcc
	s_cbranch_execz .LBB126_8
; %bb.6:
	s_cmp_eq_u32 s18, 1
	s_cselect_b32 s2, s26, s25
	v_cvt_f32_u32_e32 v1, s2
	v_mov_b32_e32 v3, 0
	s_sub_i32 s3, 0, s2
	v_mov_b32_e32 v5, v3
	v_rcp_iflag_f32_e32 v1, v1
	s_nop 0
	v_mul_f32_e32 v1, 0x4f7ffffe, v1
	v_cvt_u32_f32_e32 v2, v1
	v_mov_b32_e32 v1, v3
	v_lshl_add_u64 v[6:7], v[0:1], 1, s[16:17]
	v_mul_lo_u32 v1, s3, v2
	v_mul_hi_u32 v1, v2, v1
	v_add_u32_e32 v4, v2, v1
	v_mad_u64_u32 v[8:9], s[0:1], v0, v4, 0
	s_mov_b64 s[0:1], 0
.LBB126_7:                              ; =>This Inner Loop Header: Depth=1
	global_load_ushort v1, v[6:7], off
	v_mul_lo_u32 v2, s2, v9
	v_not_b32_e32 v10, v9
	v_sub_u32_e32 v2, v0, v2
	v_add_u32_e32 v12, 1, v9
	v_cmp_le_u32_e32 vcc, s2, v2
	v_lshl_add_u64 v[6:7], v[6:7], 0, 2
	s_waitcnt vmcnt(0)
	v_mad_u64_u32 v[10:11], s[4:5], s2, v10, v[0:1]
	v_cndmask_b32_e32 v11, v9, v12, vcc
	v_cndmask_b32_e32 v2, v2, v10, vcc
	v_add_u32_e32 v10, 1, v11
	v_cmp_le_u32_e32 vcc, s2, v2
	v_lshl_add_u64 v[8:9], v[8:9], 0, v[4:5]
	s_nop 0
	v_cndmask_b32_e32 v2, v11, v10, vcc
	v_mad_u64_u32 v[10:11], s[4:5], s3, v2, v[0:1]
	v_mul_lo_u32 v2, v2, s14
	v_add_u32_e32 v0, 1, v0
	v_mul_lo_u32 v10, v10, s15
	v_cmp_le_u32_e32 vcc, s24, v0
	v_add3_u32 v2, v10, v2, s19
	s_or_b64 s[0:1], vcc, s[0:1]
	v_lshl_add_u64 v[10:11], v[2:3], 1, s[12:13]
	global_store_short v[10:11], v1, off
	s_andn2_b64 exec, exec, s[0:1]
	s_cbranch_execnz .LBB126_7
.LBB126_8:
	s_endpgm
	.section	.rodata,"a",@progbits
	.p2align	6, 0x0
	.amdhsa_kernel _ZN2at6native12_GLOBAL__N_135CatArrayBatchedCopy_alignedK_contigINS1_10OpaqueTypeILj2EEEjLi2ELi64ELi64ELi16EEEvPT_NS1_25CatArrInputTensorMetadataIS5_T0_XT2_EXT3_EEENS1_16TensorSizeStrideIS8_Lj4EEEiS8_
		.amdhsa_group_segment_fixed_size 0
		.amdhsa_private_segment_fixed_size 0
		.amdhsa_kernarg_size 3696
		.amdhsa_user_sgpr_count 2
		.amdhsa_user_sgpr_dispatch_ptr 0
		.amdhsa_user_sgpr_queue_ptr 0
		.amdhsa_user_sgpr_kernarg_segment_ptr 1
		.amdhsa_user_sgpr_dispatch_id 0
		.amdhsa_user_sgpr_kernarg_preload_length 0
		.amdhsa_user_sgpr_kernarg_preload_offset 0
		.amdhsa_user_sgpr_private_segment_size 0
		.amdhsa_uses_dynamic_stack 0
		.amdhsa_enable_private_segment 0
		.amdhsa_system_sgpr_workgroup_id_x 1
		.amdhsa_system_sgpr_workgroup_id_y 1
		.amdhsa_system_sgpr_workgroup_id_z 0
		.amdhsa_system_sgpr_workgroup_info 0
		.amdhsa_system_vgpr_workitem_id 0
		.amdhsa_next_free_vgpr 47
		.amdhsa_next_free_sgpr 32
		.amdhsa_accum_offset 48
		.amdhsa_reserve_vcc 1
		.amdhsa_float_round_mode_32 0
		.amdhsa_float_round_mode_16_64 0
		.amdhsa_float_denorm_mode_32 3
		.amdhsa_float_denorm_mode_16_64 3
		.amdhsa_dx10_clamp 1
		.amdhsa_ieee_mode 1
		.amdhsa_fp16_overflow 0
		.amdhsa_tg_split 0
		.amdhsa_exception_fp_ieee_invalid_op 0
		.amdhsa_exception_fp_denorm_src 0
		.amdhsa_exception_fp_ieee_div_zero 0
		.amdhsa_exception_fp_ieee_overflow 0
		.amdhsa_exception_fp_ieee_underflow 0
		.amdhsa_exception_fp_ieee_inexact 0
		.amdhsa_exception_int_div_zero 0
	.end_amdhsa_kernel
	.section	.text._ZN2at6native12_GLOBAL__N_135CatArrayBatchedCopy_alignedK_contigINS1_10OpaqueTypeILj2EEEjLi2ELi64ELi64ELi16EEEvPT_NS1_25CatArrInputTensorMetadataIS5_T0_XT2_EXT3_EEENS1_16TensorSizeStrideIS8_Lj4EEEiS8_,"axG",@progbits,_ZN2at6native12_GLOBAL__N_135CatArrayBatchedCopy_alignedK_contigINS1_10OpaqueTypeILj2EEEjLi2ELi64ELi64ELi16EEEvPT_NS1_25CatArrInputTensorMetadataIS5_T0_XT2_EXT3_EEENS1_16TensorSizeStrideIS8_Lj4EEEiS8_,comdat
.Lfunc_end126:
	.size	_ZN2at6native12_GLOBAL__N_135CatArrayBatchedCopy_alignedK_contigINS1_10OpaqueTypeILj2EEEjLi2ELi64ELi64ELi16EEEvPT_NS1_25CatArrInputTensorMetadataIS5_T0_XT2_EXT3_EEENS1_16TensorSizeStrideIS8_Lj4EEEiS8_, .Lfunc_end126-_ZN2at6native12_GLOBAL__N_135CatArrayBatchedCopy_alignedK_contigINS1_10OpaqueTypeILj2EEEjLi2ELi64ELi64ELi16EEEvPT_NS1_25CatArrInputTensorMetadataIS5_T0_XT2_EXT3_EEENS1_16TensorSizeStrideIS8_Lj4EEEiS8_
                                        ; -- End function
	.set _ZN2at6native12_GLOBAL__N_135CatArrayBatchedCopy_alignedK_contigINS1_10OpaqueTypeILj2EEEjLi2ELi64ELi64ELi16EEEvPT_NS1_25CatArrInputTensorMetadataIS5_T0_XT2_EXT3_EEENS1_16TensorSizeStrideIS8_Lj4EEEiS8_.num_vgpr, 47
	.set _ZN2at6native12_GLOBAL__N_135CatArrayBatchedCopy_alignedK_contigINS1_10OpaqueTypeILj2EEEjLi2ELi64ELi64ELi16EEEvPT_NS1_25CatArrInputTensorMetadataIS5_T0_XT2_EXT3_EEENS1_16TensorSizeStrideIS8_Lj4EEEiS8_.num_agpr, 0
	.set _ZN2at6native12_GLOBAL__N_135CatArrayBatchedCopy_alignedK_contigINS1_10OpaqueTypeILj2EEEjLi2ELi64ELi64ELi16EEEvPT_NS1_25CatArrInputTensorMetadataIS5_T0_XT2_EXT3_EEENS1_16TensorSizeStrideIS8_Lj4EEEiS8_.numbered_sgpr, 32
	.set _ZN2at6native12_GLOBAL__N_135CatArrayBatchedCopy_alignedK_contigINS1_10OpaqueTypeILj2EEEjLi2ELi64ELi64ELi16EEEvPT_NS1_25CatArrInputTensorMetadataIS5_T0_XT2_EXT3_EEENS1_16TensorSizeStrideIS8_Lj4EEEiS8_.num_named_barrier, 0
	.set _ZN2at6native12_GLOBAL__N_135CatArrayBatchedCopy_alignedK_contigINS1_10OpaqueTypeILj2EEEjLi2ELi64ELi64ELi16EEEvPT_NS1_25CatArrInputTensorMetadataIS5_T0_XT2_EXT3_EEENS1_16TensorSizeStrideIS8_Lj4EEEiS8_.private_seg_size, 0
	.set _ZN2at6native12_GLOBAL__N_135CatArrayBatchedCopy_alignedK_contigINS1_10OpaqueTypeILj2EEEjLi2ELi64ELi64ELi16EEEvPT_NS1_25CatArrInputTensorMetadataIS5_T0_XT2_EXT3_EEENS1_16TensorSizeStrideIS8_Lj4EEEiS8_.uses_vcc, 1
	.set _ZN2at6native12_GLOBAL__N_135CatArrayBatchedCopy_alignedK_contigINS1_10OpaqueTypeILj2EEEjLi2ELi64ELi64ELi16EEEvPT_NS1_25CatArrInputTensorMetadataIS5_T0_XT2_EXT3_EEENS1_16TensorSizeStrideIS8_Lj4EEEiS8_.uses_flat_scratch, 0
	.set _ZN2at6native12_GLOBAL__N_135CatArrayBatchedCopy_alignedK_contigINS1_10OpaqueTypeILj2EEEjLi2ELi64ELi64ELi16EEEvPT_NS1_25CatArrInputTensorMetadataIS5_T0_XT2_EXT3_EEENS1_16TensorSizeStrideIS8_Lj4EEEiS8_.has_dyn_sized_stack, 0
	.set _ZN2at6native12_GLOBAL__N_135CatArrayBatchedCopy_alignedK_contigINS1_10OpaqueTypeILj2EEEjLi2ELi64ELi64ELi16EEEvPT_NS1_25CatArrInputTensorMetadataIS5_T0_XT2_EXT3_EEENS1_16TensorSizeStrideIS8_Lj4EEEiS8_.has_recursion, 0
	.set _ZN2at6native12_GLOBAL__N_135CatArrayBatchedCopy_alignedK_contigINS1_10OpaqueTypeILj2EEEjLi2ELi64ELi64ELi16EEEvPT_NS1_25CatArrInputTensorMetadataIS5_T0_XT2_EXT3_EEENS1_16TensorSizeStrideIS8_Lj4EEEiS8_.has_indirect_call, 0
	.section	.AMDGPU.csdata,"",@progbits
; Kernel info:
; codeLenInByte = 1648
; TotalNumSgprs: 38
; NumVgprs: 47
; NumAgprs: 0
; TotalNumVgprs: 47
; ScratchSize: 0
; MemoryBound: 0
; FloatMode: 240
; IeeeMode: 1
; LDSByteSize: 0 bytes/workgroup (compile time only)
; SGPRBlocks: 4
; VGPRBlocks: 5
; NumSGPRsForWavesPerEU: 38
; NumVGPRsForWavesPerEU: 47
; AccumOffset: 48
; Occupancy: 8
; WaveLimiterHint : 1
; COMPUTE_PGM_RSRC2:SCRATCH_EN: 0
; COMPUTE_PGM_RSRC2:USER_SGPR: 2
; COMPUTE_PGM_RSRC2:TRAP_HANDLER: 0
; COMPUTE_PGM_RSRC2:TGID_X_EN: 1
; COMPUTE_PGM_RSRC2:TGID_Y_EN: 1
; COMPUTE_PGM_RSRC2:TGID_Z_EN: 0
; COMPUTE_PGM_RSRC2:TIDIG_COMP_CNT: 0
; COMPUTE_PGM_RSRC3_GFX90A:ACCUM_OFFSET: 11
; COMPUTE_PGM_RSRC3_GFX90A:TG_SPLIT: 0
	.section	.text._ZN2at6native12_GLOBAL__N_135CatArrayBatchedCopy_alignedK_contigINS1_10OpaqueTypeILj2EEEjLi2ELi64ELi64ELi8EEEvPT_NS1_25CatArrInputTensorMetadataIS5_T0_XT2_EXT3_EEENS1_16TensorSizeStrideIS8_Lj4EEEiS8_,"axG",@progbits,_ZN2at6native12_GLOBAL__N_135CatArrayBatchedCopy_alignedK_contigINS1_10OpaqueTypeILj2EEEjLi2ELi64ELi64ELi8EEEvPT_NS1_25CatArrInputTensorMetadataIS5_T0_XT2_EXT3_EEENS1_16TensorSizeStrideIS8_Lj4EEEiS8_,comdat
	.globl	_ZN2at6native12_GLOBAL__N_135CatArrayBatchedCopy_alignedK_contigINS1_10OpaqueTypeILj2EEEjLi2ELi64ELi64ELi8EEEvPT_NS1_25CatArrInputTensorMetadataIS5_T0_XT2_EXT3_EEENS1_16TensorSizeStrideIS8_Lj4EEEiS8_ ; -- Begin function _ZN2at6native12_GLOBAL__N_135CatArrayBatchedCopy_alignedK_contigINS1_10OpaqueTypeILj2EEEjLi2ELi64ELi64ELi8EEEvPT_NS1_25CatArrInputTensorMetadataIS5_T0_XT2_EXT3_EEENS1_16TensorSizeStrideIS8_Lj4EEEiS8_
	.p2align	8
	.type	_ZN2at6native12_GLOBAL__N_135CatArrayBatchedCopy_alignedK_contigINS1_10OpaqueTypeILj2EEEjLi2ELi64ELi64ELi8EEEvPT_NS1_25CatArrInputTensorMetadataIS5_T0_XT2_EXT3_EEENS1_16TensorSizeStrideIS8_Lj4EEEiS8_,@function
_ZN2at6native12_GLOBAL__N_135CatArrayBatchedCopy_alignedK_contigINS1_10OpaqueTypeILj2EEEjLi2ELi64ELi64ELi8EEEvPT_NS1_25CatArrInputTensorMetadataIS5_T0_XT2_EXT3_EEENS1_16TensorSizeStrideIS8_Lj4EEEiS8_: ; @_ZN2at6native12_GLOBAL__N_135CatArrayBatchedCopy_alignedK_contigINS1_10OpaqueTypeILj2EEEjLi2ELi64ELi64ELi8EEEvPT_NS1_25CatArrInputTensorMetadataIS5_T0_XT2_EXT3_EEENS1_16TensorSizeStrideIS8_Lj4EEEiS8_
; %bb.0:
	s_mov_b32 s6, s3
	s_load_dword s3, s[0:1], 0xd7c
	s_add_u32 s4, s0, 0xd70
	s_mov_b32 s7, 0
	s_addc_u32 s5, s1, 0
	s_lshl_b64 s[6:7], s[6:7], 2
	s_waitcnt lgkmcnt(0)
	s_and_b32 s3, s3, 0xffff
	s_add_u32 s8, s0, s6
	s_addc_u32 s9, s1, s7
	s_load_dword s18, s[8:9], 0x408
	s_mul_i32 s2, s2, s3
	v_add_lshl_u32 v0, s2, v0, 2
	s_add_u32 s2, s8, 8
	s_addc_u32 s8, s9, 0
	s_waitcnt lgkmcnt(0)
	v_cmp_gt_u32_e32 vcc, s18, v0
	s_and_saveexec_b64 s[10:11], vcc
	s_cbranch_execz .LBB127_8
; %bb.1:
	s_add_u32 s14, s2, s6
	s_addc_u32 s15, s8, s7
	s_sub_u32 s2, 0, s6
	s_subb_u32 s6, 0, s7
	s_add_u32 s16, s14, s2
	s_addc_u32 s17, s15, s6
	s_load_dword s2, s[16:17], 0x200
	s_load_dwordx2 s[6:7], s[0:1], 0x0
	s_load_dwordx2 s[12:13], s[0:1], 0xd68
	s_load_dword s19, s[0:1], 0xd4c
	s_load_dwordx2 s[8:9], s[0:1], 0xd58
	s_load_dwordx2 s[10:11], s[14:15], 0x0
	s_load_dword s20, s[16:17], 0x300
	v_add_u32_e32 v1, 4, v0
	s_mov_b64 s[14:15], 0
	s_waitcnt lgkmcnt(0)
	s_mul_i32 s13, s2, s13
	v_cmp_ge_u32_e32 vcc, s18, v1
	s_and_saveexec_b64 s[16:17], vcc
	s_cbranch_execz .LBB127_5
; %bb.2:
	s_load_dword s0, s[4:5], 0x0
	v_add_u32_e32 v3, 2, v0
	s_waitcnt lgkmcnt(0)
	s_mul_i32 s0, s0, s3
	s_lshl_b32 s21, s0, 2
	s_cmp_eq_u32 s12, 1
	s_cselect_b32 s22, s20, s19
	v_cvt_f32_u32_e32 v1, s22
	s_sub_i32 s23, 0, s22
	v_rcp_iflag_f32_e32 v2, v1
	v_mov_b32_e32 v1, 0
	v_mul_f32_e32 v2, 0x4f7ffffe, v2
	v_cvt_u32_f32_e32 v4, v2
	v_add_u32_e32 v2, 3, v0
	v_mul_lo_u32 v5, s23, v4
	v_mul_hi_u32 v5, v4, v5
	v_add_u32_e32 v4, v4, v5
	v_add_u32_e32 v5, 1, v0
.LBB127_3:                              ; =>This Inner Loop Header: Depth=1
	v_lshl_add_u64 v[12:13], v[0:1], 1, s[10:11]
	global_load_dwordx2 v[12:13], v[12:13], off
	v_mul_hi_u32 v14, v4, v0
	v_mul_hi_u32 v22, v4, v2
	;; [unrolled: 1-line block ×4, first 2 shown]
	v_add_u32_e32 v6, 1, v0
	v_add_u32_e32 v8, 2, v0
	;; [unrolled: 1-line block ×3, first 2 shown]
	v_mov_b32_e32 v7, v1
	v_mov_b32_e32 v9, v1
	;; [unrolled: 1-line block ×3, first 2 shown]
	v_not_b32_e32 v24, v14
	v_mad_u64_u32 v[16:17], s[0:1], s23, v14, v[0:1]
	v_not_b32_e32 v30, v22
	v_not_b32_e32 v28, v20
	;; [unrolled: 1-line block ×3, first 2 shown]
	v_add_u32_e32 v17, 1, v14
	v_mul_hi_u32 v32, v6, v4
	v_mad_u64_u32 v[18:19], s[0:1], s23, v18, v[6:7]
	v_mad_u64_u32 v[20:21], s[0:1], s23, v20, v[8:9]
	;; [unrolled: 1-line block ×3, first 2 shown]
	v_cmp_le_u32_e32 vcc, s22, v16
	v_mad_u64_u32 v[24:25], s[0:1], s22, v24, v[0:1]
	v_mul_hi_u32 v19, v8, v4
	v_mul_hi_u32 v21, v10, v4
	v_cndmask_b32_e32 v14, v14, v17, vcc
	v_add_u32_e32 v17, 1, v32
	v_cmp_le_u32_e64 s[0:1], s22, v18
	v_mad_u64_u32 v[26:27], s[2:3], s22, v26, v[6:7]
	v_mad_u64_u32 v[28:29], s[4:5], s22, v28, v[8:9]
	v_cndmask_b32_e32 v16, v16, v24, vcc
	v_add_u32_e32 v6, 1, v19
	v_cmp_le_u32_e64 s[2:3], s22, v20
	v_add_u32_e32 v23, 1, v21
	v_cmp_le_u32_e64 s[4:5], s22, v22
	v_mad_u64_u32 v[30:31], s[24:25], s22, v30, v[10:11]
	v_add_u32_e32 v24, 1, v14
	v_cndmask_b32_e64 v25, v32, v17, s[0:1]
	v_cndmask_b32_e64 v17, v18, v26, s[0:1]
	v_cmp_le_u32_e32 vcc, s22, v16
	v_cndmask_b32_e64 v6, v19, v6, s[2:3]
	v_cndmask_b32_e64 v18, v20, v28, s[2:3]
	;; [unrolled: 1-line block ×4, first 2 shown]
	v_cndmask_b32_e32 v14, v14, v24, vcc
	v_add_u32_e32 v21, 1, v25
	v_cmp_le_u32_e32 vcc, s22, v17
	v_add_u32_e32 v22, 1, v6
	v_cmp_le_u32_e64 s[0:1], s22, v18
	v_add_u32_e32 v18, 1, v19
	v_cmp_le_u32_e64 s[2:3], s22, v20
	v_mad_u64_u32 v[16:17], s[4:5], s23, v14, v[0:1]
	v_cndmask_b32_e32 v20, v25, v21, vcc
	v_cndmask_b32_e64 v6, v6, v22, s[0:1]
	v_cndmask_b32_e64 v22, v19, v18, s[2:3]
	v_mul_lo_u32 v23, v16, s9
	v_mad_u64_u32 v[16:17], s[0:1], s23, v20, v[0:1]
	v_mul_lo_u32 v17, v20, s8
	v_mad_u64_u32 v[18:19], s[0:1], s23, v6, v[8:9]
	v_mad_u64_u32 v[20:21], s[0:1], s23, v22, v[10:11]
	v_add_u32_e32 v0, s21, v0
	v_mul_lo_u32 v14, v14, s8
	v_mul_lo_u32 v10, s9, v16
	v_mul_lo_u32 v16, v18, s9
	v_mul_lo_u32 v18, v20, s9
	v_add_u32_e32 v20, 4, v0
	v_mul_lo_u32 v8, v6, s8
	v_mul_lo_u32 v19, v22, s8
	v_add3_u32 v6, v23, v14, s13
	v_add_u32_e32 v21, s9, v10
	v_cmp_lt_u32_e32 vcc, s18, v20
	v_mov_b32_e32 v15, v1
	v_add_u32_e32 v2, s21, v2
	v_add_u32_e32 v3, s21, v3
	;; [unrolled: 1-line block ×3, first 2 shown]
	v_lshl_add_u64 v[6:7], v[6:7], 1, s[6:7]
	v_add3_u32 v10, v16, v8, s13
	v_add3_u32 v14, v18, v19, s13
	;; [unrolled: 1-line block ×3, first 2 shown]
	s_or_b64 s[14:15], vcc, s[14:15]
	v_lshl_add_u64 v[10:11], v[10:11], 1, s[6:7]
	v_lshl_add_u64 v[14:15], v[14:15], 1, s[6:7]
	;; [unrolled: 1-line block ×3, first 2 shown]
	s_waitcnt vmcnt(0)
	global_store_short v[6:7], v12, off
	global_store_short_d16_hi v[8:9], v12, off
	global_store_short v[10:11], v13, off
	global_store_short_d16_hi v[14:15], v13, off
	s_andn2_b64 exec, exec, s[14:15]
	s_cbranch_execnz .LBB127_3
; %bb.4:
	s_or_b64 exec, exec, s[14:15]
.LBB127_5:
	s_or_b64 exec, exec, s[16:17]
	v_cmp_gt_u32_e32 vcc, s18, v0
	s_and_b64 exec, exec, vcc
	s_cbranch_execz .LBB127_8
; %bb.6:
	s_cmp_eq_u32 s12, 1
	s_cselect_b32 s2, s20, s19
	v_cvt_f32_u32_e32 v1, s2
	v_mov_b32_e32 v3, 0
	s_sub_i32 s3, 0, s2
	v_mov_b32_e32 v5, v3
	v_rcp_iflag_f32_e32 v1, v1
	s_nop 0
	v_mul_f32_e32 v1, 0x4f7ffffe, v1
	v_cvt_u32_f32_e32 v2, v1
	v_mov_b32_e32 v1, v3
	v_lshl_add_u64 v[6:7], v[0:1], 1, s[10:11]
	v_mul_lo_u32 v1, s3, v2
	v_mul_hi_u32 v1, v2, v1
	v_add_u32_e32 v4, v2, v1
	v_mad_u64_u32 v[8:9], s[0:1], v0, v4, 0
	s_mov_b64 s[0:1], 0
.LBB127_7:                              ; =>This Inner Loop Header: Depth=1
	global_load_ushort v1, v[6:7], off
	v_mul_lo_u32 v2, s2, v9
	v_not_b32_e32 v10, v9
	v_sub_u32_e32 v2, v0, v2
	v_add_u32_e32 v12, 1, v9
	v_cmp_le_u32_e32 vcc, s2, v2
	v_lshl_add_u64 v[6:7], v[6:7], 0, 2
	s_waitcnt vmcnt(0)
	v_mad_u64_u32 v[10:11], s[4:5], s2, v10, v[0:1]
	v_cndmask_b32_e32 v11, v9, v12, vcc
	v_cndmask_b32_e32 v2, v2, v10, vcc
	v_add_u32_e32 v10, 1, v11
	v_cmp_le_u32_e32 vcc, s2, v2
	v_lshl_add_u64 v[8:9], v[8:9], 0, v[4:5]
	s_nop 0
	v_cndmask_b32_e32 v2, v11, v10, vcc
	v_mad_u64_u32 v[10:11], s[4:5], s3, v2, v[0:1]
	v_mul_lo_u32 v2, v2, s8
	v_add_u32_e32 v0, 1, v0
	v_mul_lo_u32 v10, v10, s9
	v_cmp_le_u32_e32 vcc, s18, v0
	v_add3_u32 v2, v10, v2, s13
	s_or_b64 s[0:1], vcc, s[0:1]
	v_lshl_add_u64 v[10:11], v[2:3], 1, s[6:7]
	global_store_short v[10:11], v1, off
	s_andn2_b64 exec, exec, s[0:1]
	s_cbranch_execnz .LBB127_7
.LBB127_8:
	s_endpgm
	.section	.rodata,"a",@progbits
	.p2align	6, 0x0
	.amdhsa_kernel _ZN2at6native12_GLOBAL__N_135CatArrayBatchedCopy_alignedK_contigINS1_10OpaqueTypeILj2EEEjLi2ELi64ELi64ELi8EEEvPT_NS1_25CatArrInputTensorMetadataIS5_T0_XT2_EXT3_EEENS1_16TensorSizeStrideIS8_Lj4EEEiS8_
		.amdhsa_group_segment_fixed_size 0
		.amdhsa_private_segment_fixed_size 0
		.amdhsa_kernarg_size 3696
		.amdhsa_user_sgpr_count 2
		.amdhsa_user_sgpr_dispatch_ptr 0
		.amdhsa_user_sgpr_queue_ptr 0
		.amdhsa_user_sgpr_kernarg_segment_ptr 1
		.amdhsa_user_sgpr_dispatch_id 0
		.amdhsa_user_sgpr_kernarg_preload_length 0
		.amdhsa_user_sgpr_kernarg_preload_offset 0
		.amdhsa_user_sgpr_private_segment_size 0
		.amdhsa_uses_dynamic_stack 0
		.amdhsa_enable_private_segment 0
		.amdhsa_system_sgpr_workgroup_id_x 1
		.amdhsa_system_sgpr_workgroup_id_y 1
		.amdhsa_system_sgpr_workgroup_id_z 0
		.amdhsa_system_sgpr_workgroup_info 0
		.amdhsa_system_vgpr_workitem_id 0
		.amdhsa_next_free_vgpr 33
		.amdhsa_next_free_sgpr 26
		.amdhsa_accum_offset 36
		.amdhsa_reserve_vcc 1
		.amdhsa_float_round_mode_32 0
		.amdhsa_float_round_mode_16_64 0
		.amdhsa_float_denorm_mode_32 3
		.amdhsa_float_denorm_mode_16_64 3
		.amdhsa_dx10_clamp 1
		.amdhsa_ieee_mode 1
		.amdhsa_fp16_overflow 0
		.amdhsa_tg_split 0
		.amdhsa_exception_fp_ieee_invalid_op 0
		.amdhsa_exception_fp_denorm_src 0
		.amdhsa_exception_fp_ieee_div_zero 0
		.amdhsa_exception_fp_ieee_overflow 0
		.amdhsa_exception_fp_ieee_underflow 0
		.amdhsa_exception_fp_ieee_inexact 0
		.amdhsa_exception_int_div_zero 0
	.end_amdhsa_kernel
	.section	.text._ZN2at6native12_GLOBAL__N_135CatArrayBatchedCopy_alignedK_contigINS1_10OpaqueTypeILj2EEEjLi2ELi64ELi64ELi8EEEvPT_NS1_25CatArrInputTensorMetadataIS5_T0_XT2_EXT3_EEENS1_16TensorSizeStrideIS8_Lj4EEEiS8_,"axG",@progbits,_ZN2at6native12_GLOBAL__N_135CatArrayBatchedCopy_alignedK_contigINS1_10OpaqueTypeILj2EEEjLi2ELi64ELi64ELi8EEEvPT_NS1_25CatArrInputTensorMetadataIS5_T0_XT2_EXT3_EEENS1_16TensorSizeStrideIS8_Lj4EEEiS8_,comdat
.Lfunc_end127:
	.size	_ZN2at6native12_GLOBAL__N_135CatArrayBatchedCopy_alignedK_contigINS1_10OpaqueTypeILj2EEEjLi2ELi64ELi64ELi8EEEvPT_NS1_25CatArrInputTensorMetadataIS5_T0_XT2_EXT3_EEENS1_16TensorSizeStrideIS8_Lj4EEEiS8_, .Lfunc_end127-_ZN2at6native12_GLOBAL__N_135CatArrayBatchedCopy_alignedK_contigINS1_10OpaqueTypeILj2EEEjLi2ELi64ELi64ELi8EEEvPT_NS1_25CatArrInputTensorMetadataIS5_T0_XT2_EXT3_EEENS1_16TensorSizeStrideIS8_Lj4EEEiS8_
                                        ; -- End function
	.set _ZN2at6native12_GLOBAL__N_135CatArrayBatchedCopy_alignedK_contigINS1_10OpaqueTypeILj2EEEjLi2ELi64ELi64ELi8EEEvPT_NS1_25CatArrInputTensorMetadataIS5_T0_XT2_EXT3_EEENS1_16TensorSizeStrideIS8_Lj4EEEiS8_.num_vgpr, 33
	.set _ZN2at6native12_GLOBAL__N_135CatArrayBatchedCopy_alignedK_contigINS1_10OpaqueTypeILj2EEEjLi2ELi64ELi64ELi8EEEvPT_NS1_25CatArrInputTensorMetadataIS5_T0_XT2_EXT3_EEENS1_16TensorSizeStrideIS8_Lj4EEEiS8_.num_agpr, 0
	.set _ZN2at6native12_GLOBAL__N_135CatArrayBatchedCopy_alignedK_contigINS1_10OpaqueTypeILj2EEEjLi2ELi64ELi64ELi8EEEvPT_NS1_25CatArrInputTensorMetadataIS5_T0_XT2_EXT3_EEENS1_16TensorSizeStrideIS8_Lj4EEEiS8_.numbered_sgpr, 26
	.set _ZN2at6native12_GLOBAL__N_135CatArrayBatchedCopy_alignedK_contigINS1_10OpaqueTypeILj2EEEjLi2ELi64ELi64ELi8EEEvPT_NS1_25CatArrInputTensorMetadataIS5_T0_XT2_EXT3_EEENS1_16TensorSizeStrideIS8_Lj4EEEiS8_.num_named_barrier, 0
	.set _ZN2at6native12_GLOBAL__N_135CatArrayBatchedCopy_alignedK_contigINS1_10OpaqueTypeILj2EEEjLi2ELi64ELi64ELi8EEEvPT_NS1_25CatArrInputTensorMetadataIS5_T0_XT2_EXT3_EEENS1_16TensorSizeStrideIS8_Lj4EEEiS8_.private_seg_size, 0
	.set _ZN2at6native12_GLOBAL__N_135CatArrayBatchedCopy_alignedK_contigINS1_10OpaqueTypeILj2EEEjLi2ELi64ELi64ELi8EEEvPT_NS1_25CatArrInputTensorMetadataIS5_T0_XT2_EXT3_EEENS1_16TensorSizeStrideIS8_Lj4EEEiS8_.uses_vcc, 1
	.set _ZN2at6native12_GLOBAL__N_135CatArrayBatchedCopy_alignedK_contigINS1_10OpaqueTypeILj2EEEjLi2ELi64ELi64ELi8EEEvPT_NS1_25CatArrInputTensorMetadataIS5_T0_XT2_EXT3_EEENS1_16TensorSizeStrideIS8_Lj4EEEiS8_.uses_flat_scratch, 0
	.set _ZN2at6native12_GLOBAL__N_135CatArrayBatchedCopy_alignedK_contigINS1_10OpaqueTypeILj2EEEjLi2ELi64ELi64ELi8EEEvPT_NS1_25CatArrInputTensorMetadataIS5_T0_XT2_EXT3_EEENS1_16TensorSizeStrideIS8_Lj4EEEiS8_.has_dyn_sized_stack, 0
	.set _ZN2at6native12_GLOBAL__N_135CatArrayBatchedCopy_alignedK_contigINS1_10OpaqueTypeILj2EEEjLi2ELi64ELi64ELi8EEEvPT_NS1_25CatArrInputTensorMetadataIS5_T0_XT2_EXT3_EEENS1_16TensorSizeStrideIS8_Lj4EEEiS8_.has_recursion, 0
	.set _ZN2at6native12_GLOBAL__N_135CatArrayBatchedCopy_alignedK_contigINS1_10OpaqueTypeILj2EEEjLi2ELi64ELi64ELi8EEEvPT_NS1_25CatArrInputTensorMetadataIS5_T0_XT2_EXT3_EEENS1_16TensorSizeStrideIS8_Lj4EEEiS8_.has_indirect_call, 0
	.section	.AMDGPU.csdata,"",@progbits
; Kernel info:
; codeLenInByte = 1136
; TotalNumSgprs: 32
; NumVgprs: 33
; NumAgprs: 0
; TotalNumVgprs: 33
; ScratchSize: 0
; MemoryBound: 0
; FloatMode: 240
; IeeeMode: 1
; LDSByteSize: 0 bytes/workgroup (compile time only)
; SGPRBlocks: 3
; VGPRBlocks: 4
; NumSGPRsForWavesPerEU: 32
; NumVGPRsForWavesPerEU: 33
; AccumOffset: 36
; Occupancy: 8
; WaveLimiterHint : 1
; COMPUTE_PGM_RSRC2:SCRATCH_EN: 0
; COMPUTE_PGM_RSRC2:USER_SGPR: 2
; COMPUTE_PGM_RSRC2:TRAP_HANDLER: 0
; COMPUTE_PGM_RSRC2:TGID_X_EN: 1
; COMPUTE_PGM_RSRC2:TGID_Y_EN: 1
; COMPUTE_PGM_RSRC2:TGID_Z_EN: 0
; COMPUTE_PGM_RSRC2:TIDIG_COMP_CNT: 0
; COMPUTE_PGM_RSRC3_GFX90A:ACCUM_OFFSET: 8
; COMPUTE_PGM_RSRC3_GFX90A:TG_SPLIT: 0
	.section	.text._ZN2at6native12_GLOBAL__N_126CatArrayBatchedCopy_contigINS1_10OpaqueTypeILj2EEEjLi2ELi64ELi64EEEvPT_NS1_25CatArrInputTensorMetadataIS5_T0_XT2_EXT3_EEENS1_16TensorSizeStrideIS8_Lj4EEEiS8_,"axG",@progbits,_ZN2at6native12_GLOBAL__N_126CatArrayBatchedCopy_contigINS1_10OpaqueTypeILj2EEEjLi2ELi64ELi64EEEvPT_NS1_25CatArrInputTensorMetadataIS5_T0_XT2_EXT3_EEENS1_16TensorSizeStrideIS8_Lj4EEEiS8_,comdat
	.globl	_ZN2at6native12_GLOBAL__N_126CatArrayBatchedCopy_contigINS1_10OpaqueTypeILj2EEEjLi2ELi64ELi64EEEvPT_NS1_25CatArrInputTensorMetadataIS5_T0_XT2_EXT3_EEENS1_16TensorSizeStrideIS8_Lj4EEEiS8_ ; -- Begin function _ZN2at6native12_GLOBAL__N_126CatArrayBatchedCopy_contigINS1_10OpaqueTypeILj2EEEjLi2ELi64ELi64EEEvPT_NS1_25CatArrInputTensorMetadataIS5_T0_XT2_EXT3_EEENS1_16TensorSizeStrideIS8_Lj4EEEiS8_
	.p2align	8
	.type	_ZN2at6native12_GLOBAL__N_126CatArrayBatchedCopy_contigINS1_10OpaqueTypeILj2EEEjLi2ELi64ELi64EEEvPT_NS1_25CatArrInputTensorMetadataIS5_T0_XT2_EXT3_EEENS1_16TensorSizeStrideIS8_Lj4EEEiS8_,@function
_ZN2at6native12_GLOBAL__N_126CatArrayBatchedCopy_contigINS1_10OpaqueTypeILj2EEEjLi2ELi64ELi64EEEvPT_NS1_25CatArrInputTensorMetadataIS5_T0_XT2_EXT3_EEENS1_16TensorSizeStrideIS8_Lj4EEEiS8_: ; @_ZN2at6native12_GLOBAL__N_126CatArrayBatchedCopy_contigINS1_10OpaqueTypeILj2EEEjLi2ELi64ELi64EEEvPT_NS1_25CatArrInputTensorMetadataIS5_T0_XT2_EXT3_EEENS1_16TensorSizeStrideIS8_Lj4EEEiS8_
; %bb.0:
	s_mov_b32 s4, s3
	s_load_dword s3, s[0:1], 0xd7c
	s_add_u32 s6, s0, 0xd70
	s_mov_b32 s5, 0
	s_addc_u32 s7, s1, 0
	s_lshl_b64 s[4:5], s[4:5], 2
	s_waitcnt lgkmcnt(0)
	s_and_b32 s10, s3, 0xffff
	s_add_u32 s12, s0, s4
	s_addc_u32 s13, s1, s5
	s_load_dword s8, s[12:13], 0x408
	s_mul_i32 s2, s2, s10
	v_add_u32_e32 v0, s2, v0
	s_add_u32 s2, s12, 8
	s_addc_u32 s3, s13, 0
	s_waitcnt lgkmcnt(0)
	v_cmp_gt_u32_e32 vcc, s8, v0
	s_and_saveexec_b64 s[12:13], vcc
	s_cbranch_execz .LBB128_3
; %bb.1:
	s_add_u32 s12, s2, s4
	s_addc_u32 s13, s3, s5
	s_sub_u32 s2, 0, s4
	s_subb_u32 s3, 0, s5
	s_add_u32 s14, s12, s2
	s_addc_u32 s15, s13, s3
	s_load_dword s4, s[14:15], 0x300
	s_load_dwordx2 s[16:17], s[0:1], 0xd68
	s_load_dword s5, s[0:1], 0xd4c
	s_load_dwordx2 s[2:3], s[0:1], 0xd58
	s_waitcnt lgkmcnt(0)
	s_cmp_eq_u32 s16, 1
	s_cselect_b32 s9, s4, s5
	v_cvt_f32_u32_e32 v1, s9
	s_load_dwordx2 s[4:5], s[0:1], 0x0
	s_load_dword s11, s[6:7], 0x0
	s_nop 0
	s_load_dwordx2 s[0:1], s[12:13], 0x0
	s_load_dword s16, s[14:15], 0x200
	s_sub_i32 s12, 0, s9
	v_rcp_iflag_f32_e32 v1, v1
	s_mov_b64 s[6:7], 0
	s_waitcnt lgkmcnt(0)
	s_mul_i32 s10, s11, s10
	s_mul_i32 s11, s16, s17
	v_mul_f32_e32 v1, 0x4f7ffffe, v1
	v_cvt_u32_f32_e32 v1, v1
	v_mul_lo_u32 v2, s12, v1
	v_mul_hi_u32 v2, v1, v2
	v_add_u32_e32 v2, v1, v2
	v_mov_b32_e32 v1, 0
.LBB128_2:                              ; =>This Inner Loop Header: Depth=1
	v_lshl_add_u64 v[4:5], v[0:1], 1, s[0:1]
	global_load_ushort v3, v[4:5], off
	v_mul_hi_u32 v4, v2, v0
	v_mul_lo_u32 v6, s9, v4
	v_not_b32_e32 v7, v4
	v_sub_u32_e32 v9, v0, v6
	v_add_u32_e32 v8, 1, v4
	v_mad_u64_u32 v[6:7], s[14:15], s9, v7, v[0:1]
	v_cmp_le_u32_e32 vcc, s9, v9
	v_mov_b32_e32 v5, v1
	s_nop 0
	v_cndmask_b32_e32 v4, v4, v8, vcc
	v_cndmask_b32_e32 v6, v9, v6, vcc
	v_add_u32_e32 v7, 1, v4
	v_cmp_le_u32_e32 vcc, s9, v6
	s_nop 1
	v_cndmask_b32_e32 v4, v4, v7, vcc
	v_mad_u64_u32 v[6:7], s[14:15], s12, v4, v[0:1]
	v_mul_lo_u32 v4, v4, s2
	v_add_u32_e32 v0, s10, v0
	v_mul_lo_u32 v6, v6, s3
	v_cmp_le_u32_e32 vcc, s8, v0
	v_add3_u32 v4, v4, s11, v6
	s_or_b64 s[6:7], vcc, s[6:7]
	v_lshl_add_u64 v[4:5], v[4:5], 1, s[4:5]
	s_waitcnt vmcnt(0)
	global_store_short v[4:5], v3, off
	s_andn2_b64 exec, exec, s[6:7]
	s_cbranch_execnz .LBB128_2
.LBB128_3:
	s_endpgm
	.section	.rodata,"a",@progbits
	.p2align	6, 0x0
	.amdhsa_kernel _ZN2at6native12_GLOBAL__N_126CatArrayBatchedCopy_contigINS1_10OpaqueTypeILj2EEEjLi2ELi64ELi64EEEvPT_NS1_25CatArrInputTensorMetadataIS5_T0_XT2_EXT3_EEENS1_16TensorSizeStrideIS8_Lj4EEEiS8_
		.amdhsa_group_segment_fixed_size 0
		.amdhsa_private_segment_fixed_size 0
		.amdhsa_kernarg_size 3696
		.amdhsa_user_sgpr_count 2
		.amdhsa_user_sgpr_dispatch_ptr 0
		.amdhsa_user_sgpr_queue_ptr 0
		.amdhsa_user_sgpr_kernarg_segment_ptr 1
		.amdhsa_user_sgpr_dispatch_id 0
		.amdhsa_user_sgpr_kernarg_preload_length 0
		.amdhsa_user_sgpr_kernarg_preload_offset 0
		.amdhsa_user_sgpr_private_segment_size 0
		.amdhsa_uses_dynamic_stack 0
		.amdhsa_enable_private_segment 0
		.amdhsa_system_sgpr_workgroup_id_x 1
		.amdhsa_system_sgpr_workgroup_id_y 1
		.amdhsa_system_sgpr_workgroup_id_z 0
		.amdhsa_system_sgpr_workgroup_info 0
		.amdhsa_system_vgpr_workitem_id 0
		.amdhsa_next_free_vgpr 10
		.amdhsa_next_free_sgpr 18
		.amdhsa_accum_offset 12
		.amdhsa_reserve_vcc 1
		.amdhsa_float_round_mode_32 0
		.amdhsa_float_round_mode_16_64 0
		.amdhsa_float_denorm_mode_32 3
		.amdhsa_float_denorm_mode_16_64 3
		.amdhsa_dx10_clamp 1
		.amdhsa_ieee_mode 1
		.amdhsa_fp16_overflow 0
		.amdhsa_tg_split 0
		.amdhsa_exception_fp_ieee_invalid_op 0
		.amdhsa_exception_fp_denorm_src 0
		.amdhsa_exception_fp_ieee_div_zero 0
		.amdhsa_exception_fp_ieee_overflow 0
		.amdhsa_exception_fp_ieee_underflow 0
		.amdhsa_exception_fp_ieee_inexact 0
		.amdhsa_exception_int_div_zero 0
	.end_amdhsa_kernel
	.section	.text._ZN2at6native12_GLOBAL__N_126CatArrayBatchedCopy_contigINS1_10OpaqueTypeILj2EEEjLi2ELi64ELi64EEEvPT_NS1_25CatArrInputTensorMetadataIS5_T0_XT2_EXT3_EEENS1_16TensorSizeStrideIS8_Lj4EEEiS8_,"axG",@progbits,_ZN2at6native12_GLOBAL__N_126CatArrayBatchedCopy_contigINS1_10OpaqueTypeILj2EEEjLi2ELi64ELi64EEEvPT_NS1_25CatArrInputTensorMetadataIS5_T0_XT2_EXT3_EEENS1_16TensorSizeStrideIS8_Lj4EEEiS8_,comdat
.Lfunc_end128:
	.size	_ZN2at6native12_GLOBAL__N_126CatArrayBatchedCopy_contigINS1_10OpaqueTypeILj2EEEjLi2ELi64ELi64EEEvPT_NS1_25CatArrInputTensorMetadataIS5_T0_XT2_EXT3_EEENS1_16TensorSizeStrideIS8_Lj4EEEiS8_, .Lfunc_end128-_ZN2at6native12_GLOBAL__N_126CatArrayBatchedCopy_contigINS1_10OpaqueTypeILj2EEEjLi2ELi64ELi64EEEvPT_NS1_25CatArrInputTensorMetadataIS5_T0_XT2_EXT3_EEENS1_16TensorSizeStrideIS8_Lj4EEEiS8_
                                        ; -- End function
	.set _ZN2at6native12_GLOBAL__N_126CatArrayBatchedCopy_contigINS1_10OpaqueTypeILj2EEEjLi2ELi64ELi64EEEvPT_NS1_25CatArrInputTensorMetadataIS5_T0_XT2_EXT3_EEENS1_16TensorSizeStrideIS8_Lj4EEEiS8_.num_vgpr, 10
	.set _ZN2at6native12_GLOBAL__N_126CatArrayBatchedCopy_contigINS1_10OpaqueTypeILj2EEEjLi2ELi64ELi64EEEvPT_NS1_25CatArrInputTensorMetadataIS5_T0_XT2_EXT3_EEENS1_16TensorSizeStrideIS8_Lj4EEEiS8_.num_agpr, 0
	.set _ZN2at6native12_GLOBAL__N_126CatArrayBatchedCopy_contigINS1_10OpaqueTypeILj2EEEjLi2ELi64ELi64EEEvPT_NS1_25CatArrInputTensorMetadataIS5_T0_XT2_EXT3_EEENS1_16TensorSizeStrideIS8_Lj4EEEiS8_.numbered_sgpr, 18
	.set _ZN2at6native12_GLOBAL__N_126CatArrayBatchedCopy_contigINS1_10OpaqueTypeILj2EEEjLi2ELi64ELi64EEEvPT_NS1_25CatArrInputTensorMetadataIS5_T0_XT2_EXT3_EEENS1_16TensorSizeStrideIS8_Lj4EEEiS8_.num_named_barrier, 0
	.set _ZN2at6native12_GLOBAL__N_126CatArrayBatchedCopy_contigINS1_10OpaqueTypeILj2EEEjLi2ELi64ELi64EEEvPT_NS1_25CatArrInputTensorMetadataIS5_T0_XT2_EXT3_EEENS1_16TensorSizeStrideIS8_Lj4EEEiS8_.private_seg_size, 0
	.set _ZN2at6native12_GLOBAL__N_126CatArrayBatchedCopy_contigINS1_10OpaqueTypeILj2EEEjLi2ELi64ELi64EEEvPT_NS1_25CatArrInputTensorMetadataIS5_T0_XT2_EXT3_EEENS1_16TensorSizeStrideIS8_Lj4EEEiS8_.uses_vcc, 1
	.set _ZN2at6native12_GLOBAL__N_126CatArrayBatchedCopy_contigINS1_10OpaqueTypeILj2EEEjLi2ELi64ELi64EEEvPT_NS1_25CatArrInputTensorMetadataIS5_T0_XT2_EXT3_EEENS1_16TensorSizeStrideIS8_Lj4EEEiS8_.uses_flat_scratch, 0
	.set _ZN2at6native12_GLOBAL__N_126CatArrayBatchedCopy_contigINS1_10OpaqueTypeILj2EEEjLi2ELi64ELi64EEEvPT_NS1_25CatArrInputTensorMetadataIS5_T0_XT2_EXT3_EEENS1_16TensorSizeStrideIS8_Lj4EEEiS8_.has_dyn_sized_stack, 0
	.set _ZN2at6native12_GLOBAL__N_126CatArrayBatchedCopy_contigINS1_10OpaqueTypeILj2EEEjLi2ELi64ELi64EEEvPT_NS1_25CatArrInputTensorMetadataIS5_T0_XT2_EXT3_EEENS1_16TensorSizeStrideIS8_Lj4EEEiS8_.has_recursion, 0
	.set _ZN2at6native12_GLOBAL__N_126CatArrayBatchedCopy_contigINS1_10OpaqueTypeILj2EEEjLi2ELi64ELi64EEEvPT_NS1_25CatArrInputTensorMetadataIS5_T0_XT2_EXT3_EEENS1_16TensorSizeStrideIS8_Lj4EEEiS8_.has_indirect_call, 0
	.section	.AMDGPU.csdata,"",@progbits
; Kernel info:
; codeLenInByte = 424
; TotalNumSgprs: 24
; NumVgprs: 10
; NumAgprs: 0
; TotalNumVgprs: 10
; ScratchSize: 0
; MemoryBound: 0
; FloatMode: 240
; IeeeMode: 1
; LDSByteSize: 0 bytes/workgroup (compile time only)
; SGPRBlocks: 2
; VGPRBlocks: 1
; NumSGPRsForWavesPerEU: 24
; NumVGPRsForWavesPerEU: 10
; AccumOffset: 12
; Occupancy: 8
; WaveLimiterHint : 1
; COMPUTE_PGM_RSRC2:SCRATCH_EN: 0
; COMPUTE_PGM_RSRC2:USER_SGPR: 2
; COMPUTE_PGM_RSRC2:TRAP_HANDLER: 0
; COMPUTE_PGM_RSRC2:TGID_X_EN: 1
; COMPUTE_PGM_RSRC2:TGID_Y_EN: 1
; COMPUTE_PGM_RSRC2:TGID_Z_EN: 0
; COMPUTE_PGM_RSRC2:TIDIG_COMP_CNT: 0
; COMPUTE_PGM_RSRC3_GFX90A:ACCUM_OFFSET: 2
; COMPUTE_PGM_RSRC3_GFX90A:TG_SPLIT: 0
	.section	.text._ZN2at6native12_GLOBAL__N_119CatArrayBatchedCopyINS1_10OpaqueTypeILj2EEEjLi2ELi64ELi64EEEvPT_NS1_25CatArrInputTensorMetadataIS5_T0_XT2_EXT3_EEENS1_16TensorSizeStrideIS8_Lj4EEEiS8_,"axG",@progbits,_ZN2at6native12_GLOBAL__N_119CatArrayBatchedCopyINS1_10OpaqueTypeILj2EEEjLi2ELi64ELi64EEEvPT_NS1_25CatArrInputTensorMetadataIS5_T0_XT2_EXT3_EEENS1_16TensorSizeStrideIS8_Lj4EEEiS8_,comdat
	.globl	_ZN2at6native12_GLOBAL__N_119CatArrayBatchedCopyINS1_10OpaqueTypeILj2EEEjLi2ELi64ELi64EEEvPT_NS1_25CatArrInputTensorMetadataIS5_T0_XT2_EXT3_EEENS1_16TensorSizeStrideIS8_Lj4EEEiS8_ ; -- Begin function _ZN2at6native12_GLOBAL__N_119CatArrayBatchedCopyINS1_10OpaqueTypeILj2EEEjLi2ELi64ELi64EEEvPT_NS1_25CatArrInputTensorMetadataIS5_T0_XT2_EXT3_EEENS1_16TensorSizeStrideIS8_Lj4EEEiS8_
	.p2align	8
	.type	_ZN2at6native12_GLOBAL__N_119CatArrayBatchedCopyINS1_10OpaqueTypeILj2EEEjLi2ELi64ELi64EEEvPT_NS1_25CatArrInputTensorMetadataIS5_T0_XT2_EXT3_EEENS1_16TensorSizeStrideIS8_Lj4EEEiS8_,@function
_ZN2at6native12_GLOBAL__N_119CatArrayBatchedCopyINS1_10OpaqueTypeILj2EEEjLi2ELi64ELi64EEEvPT_NS1_25CatArrInputTensorMetadataIS5_T0_XT2_EXT3_EEENS1_16TensorSizeStrideIS8_Lj4EEEiS8_: ; @_ZN2at6native12_GLOBAL__N_119CatArrayBatchedCopyINS1_10OpaqueTypeILj2EEEjLi2ELi64ELi64EEEvPT_NS1_25CatArrInputTensorMetadataIS5_T0_XT2_EXT3_EEENS1_16TensorSizeStrideIS8_Lj4EEEiS8_
; %bb.0:
	s_load_dword s4, s[0:1], 0xd7c
	s_mov_b32 s6, s3
	s_or_b32 s3, s0, 8
	s_add_u32 s10, s0, 0xd70
	s_mov_b32 s7, 0
	s_addc_u32 s11, s1, 0
	s_waitcnt lgkmcnt(0)
	s_and_b32 s15, s4, 0xffff
	s_lshl_b64 s[8:9], s[6:7], 2
	s_add_u32 s4, s3, s8
	s_addc_u32 s5, s1, s9
	s_load_dword s12, s[4:5], 0x400
	s_mul_i32 s2, s2, s15
	v_add_u32_e32 v0, s2, v0
	s_waitcnt lgkmcnt(0)
	v_cmp_gt_u32_e32 vcc, s12, v0
	s_and_saveexec_b64 s[16:17], vcc
	s_cbranch_execz .LBB129_5
; %bb.1:
	s_mul_i32 s13, s6, 28
	s_mul_hi_u32 s2, s6, 28
	s_add_u32 s16, s4, s13
	s_addc_u32 s17, s5, s2
	s_add_u32 s18, s3, s6
	s_addc_u32 s19, s1, 0
	v_mov_b32_e32 v1, 0
	global_load_ubyte v2, v1, s[18:19] offset:1280
	s_load_dwordx2 s[2:3], s[0:1], 0x0
	s_load_dwordx2 s[20:21], s[0:1], 0xd68
	;; [unrolled: 1-line block ×3, first 2 shown]
	s_load_dword s13, s[0:1], 0xd4c
	s_load_dword s22, s[10:11], 0x0
	s_mul_hi_u32 s7, s6, 7
	s_mul_i32 s6, s6, 7
	s_waitcnt lgkmcnt(0)
	s_mul_i32 s15, s22, s15
	s_waitcnt vmcnt(0)
	v_and_b32_e32 v2, 1, v2
	v_cmp_eq_u32_e32 vcc, 1, v2
	s_xor_b64 s[0:1], vcc, -1
	s_add_u32 s10, s18, s6
	s_addc_u32 s11, s19, s7
	s_sub_u32 s6, 0, s8
	s_subb_u32 s7, 0, s9
	s_add_u32 s18, s10, s6
	s_addc_u32 s19, s11, s7
	s_load_dword s14, s[18:19], 0x300
	s_load_dword s23, s[16:17], 0x544
	s_load_dwordx2 s[6:7], s[16:17], 0x550
	s_load_dwordx2 s[8:9], s[10:11], 0x0
	s_load_dword s24, s[18:19], 0x200
	s_cmp_eq_u32 s20, 1
	s_waitcnt lgkmcnt(0)
	s_cselect_b32 s13, s14, s13
	s_cselect_b32 s14, s14, s23
	v_cvt_f32_u32_e32 v2, s13
	v_cvt_f32_u32_e32 v3, s14
	s_sub_i32 s17, 0, s13
	s_sub_i32 s18, 0, s14
	v_rcp_iflag_f32_e32 v2, v2
	v_rcp_iflag_f32_e32 v3, v3
	v_cndmask_b32_e64 v6, 0, 1, s[0:1]
	s_mov_b64 s[10:11], 0
	v_mul_f32_e32 v2, 0x4f7ffffe, v2
	v_mul_f32_e32 v3, 0x4f7ffffe, v3
	v_cvt_u32_f32_e32 v2, v2
	v_cvt_u32_f32_e32 v3, v3
	s_mul_i32 s16, s24, s21
	v_cmp_ne_u32_e64 s[0:1], 1, v6
	v_mul_lo_u32 v4, s17, v2
	v_mul_lo_u32 v5, s18, v3
	v_mul_hi_u32 v4, v2, v4
	v_mul_hi_u32 v5, v3, v5
	v_add_u32_e32 v4, v2, v4
	v_add_u32_e32 v5, v3, v5
	s_branch .LBB129_3
.LBB129_2:                              ;   in Loop: Header=BB129_3 Depth=1
	v_lshl_add_u64 v[2:3], v[2:3], 1, s[8:9]
	global_load_ushort v8, v[2:3], off
	v_mul_hi_u32 v6, v4, v0
	v_mad_u64_u32 v[2:3], s[20:21], s17, v6, v[0:1]
	v_not_b32_e32 v7, v6
	v_add_u32_e32 v3, 1, v6
	v_cmp_le_u32_e32 vcc, s13, v2
	s_nop 1
	v_cndmask_b32_e32 v3, v6, v3, vcc
	v_mad_u64_u32 v[6:7], s[20:21], s13, v7, v[0:1]
	v_cndmask_b32_e32 v2, v2, v6, vcc
	v_add_u32_e32 v6, 1, v3
	v_cmp_le_u32_e32 vcc, s13, v2
	s_nop 1
	v_cndmask_b32_e32 v6, v3, v6, vcc
	v_mad_u64_u32 v[2:3], s[20:21], s17, v6, v[0:1]
	v_mul_lo_u32 v2, v2, s5
	v_mul_lo_u32 v3, v6, s4
	v_add_u32_e32 v0, s15, v0
	v_add3_u32 v2, v2, v3, s16
	v_mov_b32_e32 v3, v1
	v_cmp_le_u32_e32 vcc, s12, v0
	v_lshl_add_u64 v[2:3], v[2:3], 1, s[2:3]
	s_or_b64 s[10:11], vcc, s[10:11]
	s_waitcnt vmcnt(0)
	global_store_short v[2:3], v8, off
	s_andn2_b64 exec, exec, s[10:11]
	s_cbranch_execz .LBB129_5
.LBB129_3:                              ; =>This Inner Loop Header: Depth=1
	s_and_b64 vcc, exec, s[0:1]
	v_mov_b64_e32 v[2:3], v[0:1]
	s_cbranch_vccnz .LBB129_2
; %bb.4:                                ;   in Loop: Header=BB129_3 Depth=1
	v_mul_hi_u32 v6, v5, v0
	v_mad_u64_u32 v[2:3], s[20:21], s18, v6, v[0:1]
	v_not_b32_e32 v7, v6
	v_add_u32_e32 v3, 1, v6
	v_cmp_le_u32_e32 vcc, s14, v2
	s_nop 1
	v_cndmask_b32_e32 v3, v6, v3, vcc
	v_mad_u64_u32 v[6:7], s[20:21], s14, v7, v[0:1]
	v_cndmask_b32_e32 v2, v2, v6, vcc
	v_add_u32_e32 v6, 1, v3
	v_cmp_le_u32_e32 vcc, s14, v2
	s_nop 1
	v_cndmask_b32_e32 v6, v3, v6, vcc
	v_mad_u64_u32 v[2:3], s[20:21], s18, v6, v[0:1]
	v_mul_lo_u32 v6, v6, s6
	v_mad_u64_u32 v[2:3], s[20:21], v2, s7, v[6:7]
	v_mov_b32_e32 v3, v1
	s_branch .LBB129_2
.LBB129_5:
	s_endpgm
	.section	.rodata,"a",@progbits
	.p2align	6, 0x0
	.amdhsa_kernel _ZN2at6native12_GLOBAL__N_119CatArrayBatchedCopyINS1_10OpaqueTypeILj2EEEjLi2ELi64ELi64EEEvPT_NS1_25CatArrInputTensorMetadataIS5_T0_XT2_EXT3_EEENS1_16TensorSizeStrideIS8_Lj4EEEiS8_
		.amdhsa_group_segment_fixed_size 0
		.amdhsa_private_segment_fixed_size 0
		.amdhsa_kernarg_size 3696
		.amdhsa_user_sgpr_count 2
		.amdhsa_user_sgpr_dispatch_ptr 0
		.amdhsa_user_sgpr_queue_ptr 0
		.amdhsa_user_sgpr_kernarg_segment_ptr 1
		.amdhsa_user_sgpr_dispatch_id 0
		.amdhsa_user_sgpr_kernarg_preload_length 0
		.amdhsa_user_sgpr_kernarg_preload_offset 0
		.amdhsa_user_sgpr_private_segment_size 0
		.amdhsa_uses_dynamic_stack 0
		.amdhsa_enable_private_segment 0
		.amdhsa_system_sgpr_workgroup_id_x 1
		.amdhsa_system_sgpr_workgroup_id_y 1
		.amdhsa_system_sgpr_workgroup_id_z 0
		.amdhsa_system_sgpr_workgroup_info 0
		.amdhsa_system_vgpr_workitem_id 0
		.amdhsa_next_free_vgpr 9
		.amdhsa_next_free_sgpr 25
		.amdhsa_accum_offset 12
		.amdhsa_reserve_vcc 1
		.amdhsa_float_round_mode_32 0
		.amdhsa_float_round_mode_16_64 0
		.amdhsa_float_denorm_mode_32 3
		.amdhsa_float_denorm_mode_16_64 3
		.amdhsa_dx10_clamp 1
		.amdhsa_ieee_mode 1
		.amdhsa_fp16_overflow 0
		.amdhsa_tg_split 0
		.amdhsa_exception_fp_ieee_invalid_op 0
		.amdhsa_exception_fp_denorm_src 0
		.amdhsa_exception_fp_ieee_div_zero 0
		.amdhsa_exception_fp_ieee_overflow 0
		.amdhsa_exception_fp_ieee_underflow 0
		.amdhsa_exception_fp_ieee_inexact 0
		.amdhsa_exception_int_div_zero 0
	.end_amdhsa_kernel
	.section	.text._ZN2at6native12_GLOBAL__N_119CatArrayBatchedCopyINS1_10OpaqueTypeILj2EEEjLi2ELi64ELi64EEEvPT_NS1_25CatArrInputTensorMetadataIS5_T0_XT2_EXT3_EEENS1_16TensorSizeStrideIS8_Lj4EEEiS8_,"axG",@progbits,_ZN2at6native12_GLOBAL__N_119CatArrayBatchedCopyINS1_10OpaqueTypeILj2EEEjLi2ELi64ELi64EEEvPT_NS1_25CatArrInputTensorMetadataIS5_T0_XT2_EXT3_EEENS1_16TensorSizeStrideIS8_Lj4EEEiS8_,comdat
.Lfunc_end129:
	.size	_ZN2at6native12_GLOBAL__N_119CatArrayBatchedCopyINS1_10OpaqueTypeILj2EEEjLi2ELi64ELi64EEEvPT_NS1_25CatArrInputTensorMetadataIS5_T0_XT2_EXT3_EEENS1_16TensorSizeStrideIS8_Lj4EEEiS8_, .Lfunc_end129-_ZN2at6native12_GLOBAL__N_119CatArrayBatchedCopyINS1_10OpaqueTypeILj2EEEjLi2ELi64ELi64EEEvPT_NS1_25CatArrInputTensorMetadataIS5_T0_XT2_EXT3_EEENS1_16TensorSizeStrideIS8_Lj4EEEiS8_
                                        ; -- End function
	.set _ZN2at6native12_GLOBAL__N_119CatArrayBatchedCopyINS1_10OpaqueTypeILj2EEEjLi2ELi64ELi64EEEvPT_NS1_25CatArrInputTensorMetadataIS5_T0_XT2_EXT3_EEENS1_16TensorSizeStrideIS8_Lj4EEEiS8_.num_vgpr, 9
	.set _ZN2at6native12_GLOBAL__N_119CatArrayBatchedCopyINS1_10OpaqueTypeILj2EEEjLi2ELi64ELi64EEEvPT_NS1_25CatArrInputTensorMetadataIS5_T0_XT2_EXT3_EEENS1_16TensorSizeStrideIS8_Lj4EEEiS8_.num_agpr, 0
	.set _ZN2at6native12_GLOBAL__N_119CatArrayBatchedCopyINS1_10OpaqueTypeILj2EEEjLi2ELi64ELi64EEEvPT_NS1_25CatArrInputTensorMetadataIS5_T0_XT2_EXT3_EEENS1_16TensorSizeStrideIS8_Lj4EEEiS8_.numbered_sgpr, 25
	.set _ZN2at6native12_GLOBAL__N_119CatArrayBatchedCopyINS1_10OpaqueTypeILj2EEEjLi2ELi64ELi64EEEvPT_NS1_25CatArrInputTensorMetadataIS5_T0_XT2_EXT3_EEENS1_16TensorSizeStrideIS8_Lj4EEEiS8_.num_named_barrier, 0
	.set _ZN2at6native12_GLOBAL__N_119CatArrayBatchedCopyINS1_10OpaqueTypeILj2EEEjLi2ELi64ELi64EEEvPT_NS1_25CatArrInputTensorMetadataIS5_T0_XT2_EXT3_EEENS1_16TensorSizeStrideIS8_Lj4EEEiS8_.private_seg_size, 0
	.set _ZN2at6native12_GLOBAL__N_119CatArrayBatchedCopyINS1_10OpaqueTypeILj2EEEjLi2ELi64ELi64EEEvPT_NS1_25CatArrInputTensorMetadataIS5_T0_XT2_EXT3_EEENS1_16TensorSizeStrideIS8_Lj4EEEiS8_.uses_vcc, 1
	.set _ZN2at6native12_GLOBAL__N_119CatArrayBatchedCopyINS1_10OpaqueTypeILj2EEEjLi2ELi64ELi64EEEvPT_NS1_25CatArrInputTensorMetadataIS5_T0_XT2_EXT3_EEENS1_16TensorSizeStrideIS8_Lj4EEEiS8_.uses_flat_scratch, 0
	.set _ZN2at6native12_GLOBAL__N_119CatArrayBatchedCopyINS1_10OpaqueTypeILj2EEEjLi2ELi64ELi64EEEvPT_NS1_25CatArrInputTensorMetadataIS5_T0_XT2_EXT3_EEENS1_16TensorSizeStrideIS8_Lj4EEEiS8_.has_dyn_sized_stack, 0
	.set _ZN2at6native12_GLOBAL__N_119CatArrayBatchedCopyINS1_10OpaqueTypeILj2EEEjLi2ELi64ELi64EEEvPT_NS1_25CatArrInputTensorMetadataIS5_T0_XT2_EXT3_EEENS1_16TensorSizeStrideIS8_Lj4EEEiS8_.has_recursion, 0
	.set _ZN2at6native12_GLOBAL__N_119CatArrayBatchedCopyINS1_10OpaqueTypeILj2EEEjLi2ELi64ELi64EEEvPT_NS1_25CatArrInputTensorMetadataIS5_T0_XT2_EXT3_EEENS1_16TensorSizeStrideIS8_Lj4EEEiS8_.has_indirect_call, 0
	.section	.AMDGPU.csdata,"",@progbits
; Kernel info:
; codeLenInByte = 660
; TotalNumSgprs: 31
; NumVgprs: 9
; NumAgprs: 0
; TotalNumVgprs: 9
; ScratchSize: 0
; MemoryBound: 0
; FloatMode: 240
; IeeeMode: 1
; LDSByteSize: 0 bytes/workgroup (compile time only)
; SGPRBlocks: 3
; VGPRBlocks: 1
; NumSGPRsForWavesPerEU: 31
; NumVGPRsForWavesPerEU: 9
; AccumOffset: 12
; Occupancy: 8
; WaveLimiterHint : 1
; COMPUTE_PGM_RSRC2:SCRATCH_EN: 0
; COMPUTE_PGM_RSRC2:USER_SGPR: 2
; COMPUTE_PGM_RSRC2:TRAP_HANDLER: 0
; COMPUTE_PGM_RSRC2:TGID_X_EN: 1
; COMPUTE_PGM_RSRC2:TGID_Y_EN: 1
; COMPUTE_PGM_RSRC2:TGID_Z_EN: 0
; COMPUTE_PGM_RSRC2:TIDIG_COMP_CNT: 0
; COMPUTE_PGM_RSRC3_GFX90A:ACCUM_OFFSET: 2
; COMPUTE_PGM_RSRC3_GFX90A:TG_SPLIT: 0
	.section	.text._ZN2at6native12_GLOBAL__N_130CatArrayBatchedCopy_vectorizedINS1_10OpaqueTypeILj2EEEjLi3ELi64ELi64ELi16ELi8EEEvPcNS1_25CatArrInputTensorMetadataIT_T0_XT2_EXT3_EEENS1_16TensorSizeStrideIS8_Lj4EEEiS8_,"axG",@progbits,_ZN2at6native12_GLOBAL__N_130CatArrayBatchedCopy_vectorizedINS1_10OpaqueTypeILj2EEEjLi3ELi64ELi64ELi16ELi8EEEvPcNS1_25CatArrInputTensorMetadataIT_T0_XT2_EXT3_EEENS1_16TensorSizeStrideIS8_Lj4EEEiS8_,comdat
	.globl	_ZN2at6native12_GLOBAL__N_130CatArrayBatchedCopy_vectorizedINS1_10OpaqueTypeILj2EEEjLi3ELi64ELi64ELi16ELi8EEEvPcNS1_25CatArrInputTensorMetadataIT_T0_XT2_EXT3_EEENS1_16TensorSizeStrideIS8_Lj4EEEiS8_ ; -- Begin function _ZN2at6native12_GLOBAL__N_130CatArrayBatchedCopy_vectorizedINS1_10OpaqueTypeILj2EEEjLi3ELi64ELi64ELi16ELi8EEEvPcNS1_25CatArrInputTensorMetadataIT_T0_XT2_EXT3_EEENS1_16TensorSizeStrideIS8_Lj4EEEiS8_
	.p2align	8
	.type	_ZN2at6native12_GLOBAL__N_130CatArrayBatchedCopy_vectorizedINS1_10OpaqueTypeILj2EEEjLi3ELi64ELi64ELi16ELi8EEEvPcNS1_25CatArrInputTensorMetadataIT_T0_XT2_EXT3_EEENS1_16TensorSizeStrideIS8_Lj4EEEiS8_,@function
_ZN2at6native12_GLOBAL__N_130CatArrayBatchedCopy_vectorizedINS1_10OpaqueTypeILj2EEEjLi3ELi64ELi64ELi16ELi8EEEvPcNS1_25CatArrInputTensorMetadataIT_T0_XT2_EXT3_EEENS1_16TensorSizeStrideIS8_Lj4EEEiS8_: ; @_ZN2at6native12_GLOBAL__N_130CatArrayBatchedCopy_vectorizedINS1_10OpaqueTypeILj2EEEjLi3ELi64ELi64ELi16ELi8EEEvPcNS1_25CatArrInputTensorMetadataIT_T0_XT2_EXT3_EEENS1_16TensorSizeStrideIS8_Lj4EEEiS8_
; %bb.0:
	s_mov_b32 s8, s3
	s_load_dword s3, s[0:1], 0xd7c
	s_add_u32 s10, s0, 0xd70
	s_mov_b32 s9, 0
	s_addc_u32 s11, s1, 0
	s_lshl_b64 s[12:13], s[8:9], 2
	s_waitcnt lgkmcnt(0)
	s_and_b32 s15, s3, 0xffff
	s_add_u32 s4, s0, s12
	s_addc_u32 s5, s1, s13
	s_load_dword s6, s[4:5], 0x408
	s_mul_i32 s2, s2, s15
	v_add_u32_e32 v0, s2, v0
	s_add_u32 s2, s4, 8
	s_addc_u32 s3, s5, 0
	s_waitcnt lgkmcnt(0)
	s_lshr_b32 s14, s6, 3
	v_cmp_gt_u32_e32 vcc, s14, v0
	s_and_saveexec_b64 s[4:5], vcc
	s_cbranch_execz .LBB130_3
; %bb.1:
	s_add_u32 s18, s2, s12
	s_addc_u32 s19, s3, s13
	s_load_dwordx2 s[16:17], s[0:1], 0xd68
	s_load_dwordx4 s[4:7], s[0:1], 0xd58
	s_sub_u32 s2, 0, s12
	s_subb_u32 s3, 0, s13
	s_add_u32 s12, s18, s2
	s_addc_u32 s13, s19, s3
	s_load_dwordx2 s[2:3], s[18:19], 0x0
	s_waitcnt lgkmcnt(0)
	s_load_dword s7, s[12:13], 0x200
	s_load_dword s24, s[12:13], 0x300
	s_load_dwordx2 s[20:21], s[0:1], 0x0
	s_load_dwordx2 s[22:23], s[0:1], 0xd4c
	s_load_dword s25, s[10:11], 0x0
	s_waitcnt lgkmcnt(0)
	s_mul_i32 s7, s7, s17
	s_lshr_b32 s8, s7, 3
	s_mul_i32 s24, s24, s17
	s_lshr_b32 s11, s24, 3
	s_lshl_b64 s[8:9], s[8:9], 4
	s_cmp_eq_u32 s16, 2
	s_cselect_b32 s7, s11, s23
	v_cvt_f32_u32_e32 v1, s7
	s_cmp_eq_u32 s16, 1
	s_cselect_b32 s11, s11, s22
	v_cvt_f32_u32_e32 v2, s11
	v_rcp_iflag_f32_e32 v1, v1
	s_add_u32 s8, s20, s8
	s_addc_u32 s9, s21, s9
	v_rcp_iflag_f32_e32 v2, v2
	v_mul_f32_e32 v1, 0x4f7ffffe, v1
	v_cvt_u32_f32_e32 v1, v1
	s_sub_i32 s12, 0, s7
	v_mul_f32_e32 v2, 0x4f7ffffe, v2
	v_cvt_u32_f32_e32 v4, v2
	v_mul_lo_u32 v3, s12, v1
	v_mul_hi_u32 v3, v1, v3
	s_sub_i32 s13, 0, s11
	v_add_u32_e32 v2, v1, v3
	v_mul_lo_u32 v3, s13, v4
	v_mul_hi_u32 v3, v4, v3
	s_mov_b64 s[0:1], 0
	s_mul_i32 s10, s25, s15
	v_mov_b32_e32 v1, 0
	v_add_u32_e32 v3, v4, v3
.LBB130_2:                              ; =>This Inner Loop Header: Depth=1
	v_lshl_add_u64 v[4:5], v[0:1], 4, s[2:3]
	global_load_dwordx4 v[4:7], v[4:5], off
	v_mul_hi_u32 v8, v2, v0
	v_mul_lo_u32 v10, s7, v8
	v_not_b32_e32 v11, v8
	v_sub_u32_e32 v13, v0, v10
	v_add_u32_e32 v12, 1, v8
	v_mad_u64_u32 v[10:11], s[16:17], s7, v11, v[0:1]
	v_cmp_le_u32_e32 vcc, s7, v13
	v_mov_b32_e32 v9, v1
	s_nop 0
	v_cndmask_b32_e32 v8, v8, v12, vcc
	v_cndmask_b32_e32 v10, v13, v10, vcc
	v_add_u32_e32 v11, 1, v8
	v_cmp_le_u32_e32 vcc, s7, v10
	s_nop 1
	v_cndmask_b32_e32 v8, v8, v11, vcc
	v_mad_u64_u32 v[10:11], s[16:17], s12, v8, v[0:1]
	v_mul_hi_u32 v11, v8, v3
	v_add_u32_e32 v0, s10, v0
	v_mul_lo_u32 v12, v11, s11
	v_cmp_le_u32_e32 vcc, s14, v0
	v_sub_u32_e32 v12, v8, v12
	v_add_u32_e32 v13, 1, v11
	s_or_b64 s[0:1], vcc, s[0:1]
	v_cmp_le_u32_e32 vcc, s11, v12
	v_mul_lo_u32 v10, v10, s6
	s_nop 0
	v_cndmask_b32_e32 v11, v11, v13, vcc
	v_subrev_u32_e32 v13, s11, v12
	v_cndmask_b32_e32 v12, v12, v13, vcc
	v_add_u32_e32 v13, 1, v11
	v_cmp_le_u32_e32 vcc, s11, v12
	s_nop 1
	v_cndmask_b32_e32 v11, v11, v13, vcc
	v_mul_lo_u32 v12, v11, s11
	v_sub_u32_e32 v8, v8, v12
	v_mul_lo_u32 v11, v11, s4
	v_mul_lo_u32 v8, v8, s5
	v_add3_u32 v8, v10, v11, v8
	v_lshl_add_u64 v[8:9], v[8:9], 4, s[8:9]
	s_waitcnt vmcnt(0)
	global_store_dwordx4 v[8:9], v[4:7], off
	s_andn2_b64 exec, exec, s[0:1]
	s_cbranch_execnz .LBB130_2
.LBB130_3:
	s_endpgm
	.section	.rodata,"a",@progbits
	.p2align	6, 0x0
	.amdhsa_kernel _ZN2at6native12_GLOBAL__N_130CatArrayBatchedCopy_vectorizedINS1_10OpaqueTypeILj2EEEjLi3ELi64ELi64ELi16ELi8EEEvPcNS1_25CatArrInputTensorMetadataIT_T0_XT2_EXT3_EEENS1_16TensorSizeStrideIS8_Lj4EEEiS8_
		.amdhsa_group_segment_fixed_size 0
		.amdhsa_private_segment_fixed_size 0
		.amdhsa_kernarg_size 3696
		.amdhsa_user_sgpr_count 2
		.amdhsa_user_sgpr_dispatch_ptr 0
		.amdhsa_user_sgpr_queue_ptr 0
		.amdhsa_user_sgpr_kernarg_segment_ptr 1
		.amdhsa_user_sgpr_dispatch_id 0
		.amdhsa_user_sgpr_kernarg_preload_length 0
		.amdhsa_user_sgpr_kernarg_preload_offset 0
		.amdhsa_user_sgpr_private_segment_size 0
		.amdhsa_uses_dynamic_stack 0
		.amdhsa_enable_private_segment 0
		.amdhsa_system_sgpr_workgroup_id_x 1
		.amdhsa_system_sgpr_workgroup_id_y 1
		.amdhsa_system_sgpr_workgroup_id_z 0
		.amdhsa_system_sgpr_workgroup_info 0
		.amdhsa_system_vgpr_workitem_id 0
		.amdhsa_next_free_vgpr 14
		.amdhsa_next_free_sgpr 26
		.amdhsa_accum_offset 16
		.amdhsa_reserve_vcc 1
		.amdhsa_float_round_mode_32 0
		.amdhsa_float_round_mode_16_64 0
		.amdhsa_float_denorm_mode_32 3
		.amdhsa_float_denorm_mode_16_64 3
		.amdhsa_dx10_clamp 1
		.amdhsa_ieee_mode 1
		.amdhsa_fp16_overflow 0
		.amdhsa_tg_split 0
		.amdhsa_exception_fp_ieee_invalid_op 0
		.amdhsa_exception_fp_denorm_src 0
		.amdhsa_exception_fp_ieee_div_zero 0
		.amdhsa_exception_fp_ieee_overflow 0
		.amdhsa_exception_fp_ieee_underflow 0
		.amdhsa_exception_fp_ieee_inexact 0
		.amdhsa_exception_int_div_zero 0
	.end_amdhsa_kernel
	.section	.text._ZN2at6native12_GLOBAL__N_130CatArrayBatchedCopy_vectorizedINS1_10OpaqueTypeILj2EEEjLi3ELi64ELi64ELi16ELi8EEEvPcNS1_25CatArrInputTensorMetadataIT_T0_XT2_EXT3_EEENS1_16TensorSizeStrideIS8_Lj4EEEiS8_,"axG",@progbits,_ZN2at6native12_GLOBAL__N_130CatArrayBatchedCopy_vectorizedINS1_10OpaqueTypeILj2EEEjLi3ELi64ELi64ELi16ELi8EEEvPcNS1_25CatArrInputTensorMetadataIT_T0_XT2_EXT3_EEENS1_16TensorSizeStrideIS8_Lj4EEEiS8_,comdat
.Lfunc_end130:
	.size	_ZN2at6native12_GLOBAL__N_130CatArrayBatchedCopy_vectorizedINS1_10OpaqueTypeILj2EEEjLi3ELi64ELi64ELi16ELi8EEEvPcNS1_25CatArrInputTensorMetadataIT_T0_XT2_EXT3_EEENS1_16TensorSizeStrideIS8_Lj4EEEiS8_, .Lfunc_end130-_ZN2at6native12_GLOBAL__N_130CatArrayBatchedCopy_vectorizedINS1_10OpaqueTypeILj2EEEjLi3ELi64ELi64ELi16ELi8EEEvPcNS1_25CatArrInputTensorMetadataIT_T0_XT2_EXT3_EEENS1_16TensorSizeStrideIS8_Lj4EEEiS8_
                                        ; -- End function
	.set _ZN2at6native12_GLOBAL__N_130CatArrayBatchedCopy_vectorizedINS1_10OpaqueTypeILj2EEEjLi3ELi64ELi64ELi16ELi8EEEvPcNS1_25CatArrInputTensorMetadataIT_T0_XT2_EXT3_EEENS1_16TensorSizeStrideIS8_Lj4EEEiS8_.num_vgpr, 14
	.set _ZN2at6native12_GLOBAL__N_130CatArrayBatchedCopy_vectorizedINS1_10OpaqueTypeILj2EEEjLi3ELi64ELi64ELi16ELi8EEEvPcNS1_25CatArrInputTensorMetadataIT_T0_XT2_EXT3_EEENS1_16TensorSizeStrideIS8_Lj4EEEiS8_.num_agpr, 0
	.set _ZN2at6native12_GLOBAL__N_130CatArrayBatchedCopy_vectorizedINS1_10OpaqueTypeILj2EEEjLi3ELi64ELi64ELi16ELi8EEEvPcNS1_25CatArrInputTensorMetadataIT_T0_XT2_EXT3_EEENS1_16TensorSizeStrideIS8_Lj4EEEiS8_.numbered_sgpr, 26
	.set _ZN2at6native12_GLOBAL__N_130CatArrayBatchedCopy_vectorizedINS1_10OpaqueTypeILj2EEEjLi3ELi64ELi64ELi16ELi8EEEvPcNS1_25CatArrInputTensorMetadataIT_T0_XT2_EXT3_EEENS1_16TensorSizeStrideIS8_Lj4EEEiS8_.num_named_barrier, 0
	.set _ZN2at6native12_GLOBAL__N_130CatArrayBatchedCopy_vectorizedINS1_10OpaqueTypeILj2EEEjLi3ELi64ELi64ELi16ELi8EEEvPcNS1_25CatArrInputTensorMetadataIT_T0_XT2_EXT3_EEENS1_16TensorSizeStrideIS8_Lj4EEEiS8_.private_seg_size, 0
	.set _ZN2at6native12_GLOBAL__N_130CatArrayBatchedCopy_vectorizedINS1_10OpaqueTypeILj2EEEjLi3ELi64ELi64ELi16ELi8EEEvPcNS1_25CatArrInputTensorMetadataIT_T0_XT2_EXT3_EEENS1_16TensorSizeStrideIS8_Lj4EEEiS8_.uses_vcc, 1
	.set _ZN2at6native12_GLOBAL__N_130CatArrayBatchedCopy_vectorizedINS1_10OpaqueTypeILj2EEEjLi3ELi64ELi64ELi16ELi8EEEvPcNS1_25CatArrInputTensorMetadataIT_T0_XT2_EXT3_EEENS1_16TensorSizeStrideIS8_Lj4EEEiS8_.uses_flat_scratch, 0
	.set _ZN2at6native12_GLOBAL__N_130CatArrayBatchedCopy_vectorizedINS1_10OpaqueTypeILj2EEEjLi3ELi64ELi64ELi16ELi8EEEvPcNS1_25CatArrInputTensorMetadataIT_T0_XT2_EXT3_EEENS1_16TensorSizeStrideIS8_Lj4EEEiS8_.has_dyn_sized_stack, 0
	.set _ZN2at6native12_GLOBAL__N_130CatArrayBatchedCopy_vectorizedINS1_10OpaqueTypeILj2EEEjLi3ELi64ELi64ELi16ELi8EEEvPcNS1_25CatArrInputTensorMetadataIT_T0_XT2_EXT3_EEENS1_16TensorSizeStrideIS8_Lj4EEEiS8_.has_recursion, 0
	.set _ZN2at6native12_GLOBAL__N_130CatArrayBatchedCopy_vectorizedINS1_10OpaqueTypeILj2EEEjLi3ELi64ELi64ELi16ELi8EEEvPcNS1_25CatArrInputTensorMetadataIT_T0_XT2_EXT3_EEENS1_16TensorSizeStrideIS8_Lj4EEEiS8_.has_indirect_call, 0
	.section	.AMDGPU.csdata,"",@progbits
; Kernel info:
; codeLenInByte = 580
; TotalNumSgprs: 32
; NumVgprs: 14
; NumAgprs: 0
; TotalNumVgprs: 14
; ScratchSize: 0
; MemoryBound: 0
; FloatMode: 240
; IeeeMode: 1
; LDSByteSize: 0 bytes/workgroup (compile time only)
; SGPRBlocks: 3
; VGPRBlocks: 1
; NumSGPRsForWavesPerEU: 32
; NumVGPRsForWavesPerEU: 14
; AccumOffset: 16
; Occupancy: 8
; WaveLimiterHint : 1
; COMPUTE_PGM_RSRC2:SCRATCH_EN: 0
; COMPUTE_PGM_RSRC2:USER_SGPR: 2
; COMPUTE_PGM_RSRC2:TRAP_HANDLER: 0
; COMPUTE_PGM_RSRC2:TGID_X_EN: 1
; COMPUTE_PGM_RSRC2:TGID_Y_EN: 1
; COMPUTE_PGM_RSRC2:TGID_Z_EN: 0
; COMPUTE_PGM_RSRC2:TIDIG_COMP_CNT: 0
; COMPUTE_PGM_RSRC3_GFX90A:ACCUM_OFFSET: 3
; COMPUTE_PGM_RSRC3_GFX90A:TG_SPLIT: 0
	.section	.text._ZN2at6native12_GLOBAL__N_135CatArrayBatchedCopy_alignedK_contigINS1_10OpaqueTypeILj2EEEjLi3ELi64ELi64ELi16EEEvPT_NS1_25CatArrInputTensorMetadataIS5_T0_XT2_EXT3_EEENS1_16TensorSizeStrideIS8_Lj4EEEiS8_,"axG",@progbits,_ZN2at6native12_GLOBAL__N_135CatArrayBatchedCopy_alignedK_contigINS1_10OpaqueTypeILj2EEEjLi3ELi64ELi64ELi16EEEvPT_NS1_25CatArrInputTensorMetadataIS5_T0_XT2_EXT3_EEENS1_16TensorSizeStrideIS8_Lj4EEEiS8_,comdat
	.globl	_ZN2at6native12_GLOBAL__N_135CatArrayBatchedCopy_alignedK_contigINS1_10OpaqueTypeILj2EEEjLi3ELi64ELi64ELi16EEEvPT_NS1_25CatArrInputTensorMetadataIS5_T0_XT2_EXT3_EEENS1_16TensorSizeStrideIS8_Lj4EEEiS8_ ; -- Begin function _ZN2at6native12_GLOBAL__N_135CatArrayBatchedCopy_alignedK_contigINS1_10OpaqueTypeILj2EEEjLi3ELi64ELi64ELi16EEEvPT_NS1_25CatArrInputTensorMetadataIS5_T0_XT2_EXT3_EEENS1_16TensorSizeStrideIS8_Lj4EEEiS8_
	.p2align	8
	.type	_ZN2at6native12_GLOBAL__N_135CatArrayBatchedCopy_alignedK_contigINS1_10OpaqueTypeILj2EEEjLi3ELi64ELi64ELi16EEEvPT_NS1_25CatArrInputTensorMetadataIS5_T0_XT2_EXT3_EEENS1_16TensorSizeStrideIS8_Lj4EEEiS8_,@function
_ZN2at6native12_GLOBAL__N_135CatArrayBatchedCopy_alignedK_contigINS1_10OpaqueTypeILj2EEEjLi3ELi64ELi64ELi16EEEvPT_NS1_25CatArrInputTensorMetadataIS5_T0_XT2_EXT3_EEENS1_16TensorSizeStrideIS8_Lj4EEEiS8_: ; @_ZN2at6native12_GLOBAL__N_135CatArrayBatchedCopy_alignedK_contigINS1_10OpaqueTypeILj2EEEjLi3ELi64ELi64ELi16EEEvPT_NS1_25CatArrInputTensorMetadataIS5_T0_XT2_EXT3_EEENS1_16TensorSizeStrideIS8_Lj4EEEiS8_
; %bb.0:
	s_mov_b32 s6, s3
	s_load_dword s3, s[0:1], 0xd7c
	s_add_u32 s4, s0, 0xd70
	s_mov_b32 s7, 0
	s_addc_u32 s5, s1, 0
	s_lshl_b64 s[6:7], s[6:7], 2
	s_waitcnt lgkmcnt(0)
	s_and_b32 s3, s3, 0xffff
	s_add_u32 s8, s0, s6
	s_addc_u32 s9, s1, s7
	s_load_dword s33, s[8:9], 0x408
	s_mul_i32 s2, s2, s3
	v_add_lshl_u32 v0, s2, v0, 3
	s_add_u32 s2, s8, 8
	s_addc_u32 s8, s9, 0
	s_waitcnt lgkmcnt(0)
	v_cmp_gt_u32_e32 vcc, s33, v0
	s_and_saveexec_b64 s[10:11], vcc
	s_cbranch_execz .LBB131_8
; %bb.1:
	s_add_u32 s10, s2, s6
	s_addc_u32 s11, s8, s7
	s_sub_u32 s2, 0, s6
	s_load_dwordx2 s[24:25], s[0:1], 0xd68
	s_load_dwordx4 s[16:19], s[0:1], 0xd58
	s_subb_u32 s7, 0, s7
	s_add_u32 s6, s10, s2
	s_addc_u32 s7, s11, s7
	s_waitcnt lgkmcnt(0)
	s_load_dword s19, s[6:7], 0x200
	s_load_dwordx2 s[20:21], s[0:1], 0x0
	s_load_dwordx2 s[26:27], s[0:1], 0xd4c
	;; [unrolled: 1-line block ×3, first 2 shown]
	s_load_dword s34, s[6:7], 0x300
	v_add_u32_e32 v1, 8, v0
	s_mov_b64 s[28:29], 0
	s_waitcnt lgkmcnt(0)
	s_mul_i32 s19, s19, s25
	v_cmp_ge_u32_e32 vcc, s33, v1
	s_and_saveexec_b64 s[30:31], vcc
	s_cbranch_execz .LBB131_5
; %bb.2:
	s_load_dword s0, s[4:5], 0x0
	v_mov_b32_e32 v1, 0
	v_add_u32_e32 v9, 7, v0
	v_add_u32_e32 v11, 6, v0
	;; [unrolled: 1-line block ×3, first 2 shown]
	s_waitcnt lgkmcnt(0)
	s_mul_i32 s0, s0, s3
	s_lshl_b32 s25, s0, 3
	s_cmp_eq_u32 s24, 2
	s_cselect_b32 s35, s34, s27
	s_cmp_eq_u32 s24, 1
	v_cvt_f32_u32_e32 v2, s35
	s_cselect_b32 s36, s34, s26
	v_cvt_f32_u32_e32 v3, s36
	s_sub_i32 s37, 0, s35
	v_rcp_iflag_f32_e32 v2, v2
	s_sub_i32 s0, 0, s36
	v_rcp_iflag_f32_e32 v3, v3
	v_add_u32_e32 v20, 4, v0
	v_mul_f32_e32 v2, 0x4f7ffffe, v2
	v_cvt_u32_f32_e32 v2, v2
	v_mul_f32_e32 v3, 0x4f7ffffe, v3
	v_cvt_u32_f32_e32 v3, v3
	v_add_u32_e32 v21, 3, v0
	v_mul_lo_u32 v4, s37, v2
	v_mul_hi_u32 v4, v2, v4
	v_mul_lo_u32 v5, s0, v3
	v_add_u32_e32 v13, v2, v4
	v_mul_hi_u32 v2, v3, v5
	v_add_u32_e32 v18, v3, v2
	v_add_u32_e32 v22, 2, v0
	;; [unrolled: 1-line block ×3, first 2 shown]
.LBB131_3:                              ; =>This Inner Loop Header: Depth=1
	v_mul_hi_u32 v25, v13, v0
	v_mul_hi_u32 v15, v13, v9
	;; [unrolled: 1-line block ×4, first 2 shown]
	v_add_u32_e32 v14, 1, v0
	v_add_u32_e32 v6, 4, v0
	v_mov_b32_e32 v7, v1
	v_not_b32_e32 v38, v25
	v_mad_u64_u32 v[32:33], s[0:1], s37, v25, v[0:1]
	v_not_b32_e32 v46, v30
	v_add_u32_e32 v33, 1, v25
	v_mul_hi_u32 v47, v14, v13
	v_mad_u64_u32 v[30:31], s[0:1], s37, v30, v[14:15]
	v_mad_u64_u32 v[36:37], s[0:1], s37, v27, v[6:7]
	v_cmp_le_u32_e32 vcc, s35, v32
	v_mad_u64_u32 v[38:39], s[0:1], s35, v38, v[0:1]
	v_mul_hi_u32 v24, v13, v11
	v_mul_hi_u32 v29, v13, v22
	v_add_u32_e32 v2, 2, v0
	v_add_u32_e32 v10, 6, v0
	;; [unrolled: 1-line block ×3, first 2 shown]
	v_mov_b32_e32 v3, v1
	v_cndmask_b32_e32 v37, v25, v33, vcc
	v_cndmask_b32_e32 v38, v32, v38, vcc
	v_mad_u64_u32 v[32:33], s[0:1], s35, v46, v[14:15]
	v_add_u32_e32 v14, 1, v47
	v_cmp_le_u32_e32 vcc, s35, v30
	v_not_b32_e32 v40, v15
	v_not_b32_e32 v41, v24
	v_mul_hi_u32 v31, v2, v13
	v_mad_u64_u32 v[34:35], s[0:1], s37, v29, v[2:3]
	v_cndmask_b32_e32 v46, v47, v14, vcc
	v_mad_u64_u32 v[24:25], s[0:1], s37, v24, v[10:11]
	v_mad_u64_u32 v[14:15], s[0:1], s37, v15, v[12:13]
	v_mul_hi_u32 v28, v13, v21
	v_not_b32_e32 v45, v29
	v_cndmask_b32_e32 v25, v30, v32, vcc
	v_add_u32_e32 v15, 1, v31
	v_cmp_le_u32_e32 vcc, s35, v34
	v_add_u32_e32 v4, 3, v0
	v_mov_b32_e32 v5, v1
	v_not_b32_e32 v44, v28
	v_cndmask_b32_e32 v49, v31, v15, vcc
	v_mad_u64_u32 v[30:31], s[0:1], s35, v45, v[2:3]
	v_mul_hi_u32 v26, v13, v19
	v_mul_hi_u32 v35, v4, v13
	v_mad_u64_u32 v[28:29], s[0:1], s37, v28, v[4:5]
	v_mul_hi_u32 v48, v6, v13
	v_cndmask_b32_e32 v15, v34, v30, vcc
	v_mad_u64_u32 v[30:31], s[0:1], s35, v44, v[4:5]
	v_add_u32_e32 v8, 5, v0
	v_not_b32_e32 v42, v26
	v_not_b32_e32 v43, v27
	v_add_u32_e32 v29, 1, v35
	v_add_u32_e32 v31, 1, v48
	v_cmp_le_u32_e32 vcc, s35, v28
	v_cmp_le_u32_e64 s[2:3], s35, v36
	v_mul_hi_u32 v39, v8, v13
	v_mad_u64_u32 v[26:27], s[0:1], s37, v26, v[8:9]
	v_cndmask_b32_e32 v34, v35, v29, vcc
	v_mad_u64_u32 v[32:33], s[0:1], s35, v43, v[6:7]
	v_cndmask_b32_e32 v35, v28, v30, vcc
	v_mad_u64_u32 v[28:29], s[0:1], s35, v42, v[8:9]
	v_cndmask_b32_e64 v42, v48, v31, s[2:3]
	v_mad_u64_u32 v[30:31], s[4:5], s35, v41, v[10:11]
	v_mul_hi_u32 v27, v10, v13
	v_add_u32_e32 v43, 1, v39
	v_cmp_le_u32_e32 vcc, s35, v26
	v_cndmask_b32_e64 v31, v36, v32, s[2:3]
	v_mad_u64_u32 v[32:33], s[4:5], s35, v40, v[12:13]
	v_add_u32_e32 v29, 1, v27
	v_cmp_le_u32_e64 s[0:1], s35, v24
	v_cmp_le_u32_e64 s[2:3], s35, v14
	v_add_u32_e32 v33, 1, v37
	v_cndmask_b32_e32 v39, v39, v43, vcc
	v_cndmask_b32_e32 v26, v26, v28, vcc
	v_cmp_le_u32_e32 vcc, s35, v38
	v_mul_hi_u32 v47, v12, v13
	v_cndmask_b32_e64 v27, v27, v29, s[0:1]
	v_cndmask_b32_e64 v24, v24, v30, s[0:1]
	;; [unrolled: 1-line block ×3, first 2 shown]
	v_cndmask_b32_e32 v30, v37, v33, vcc
	v_add_u32_e32 v29, 1, v46
	v_cmp_le_u32_e32 vcc, s35, v25
	v_add_u32_e32 v25, 1, v49
	v_cmp_le_u32_e64 s[0:1], s35, v15
	v_add_u32_e32 v36, 1, v47
	v_cmp_le_u32_e64 s[4:5], s35, v31
	;; [unrolled: 2-line block ×3, first 2 shown]
	v_cmp_le_u32_e64 s[10:11], s35, v14
	v_mad_u64_u32 v[14:15], s[12:13], s37, v30, v[0:1]
	v_cndmask_b32_e32 v43, v46, v29, vcc
	v_cndmask_b32_e64 v46, v49, v25, s[0:1]
	v_cndmask_b32_e64 v28, v47, v36, s[2:3]
	v_add_u32_e32 v32, 1, v34
	v_cmp_le_u32_e64 s[2:3], s35, v35
	v_add_u32_e32 v26, 1, v27
	v_cmp_le_u32_e64 s[8:9], s35, v24
	v_mul_hi_u32 v15, v30, v18
	v_cndmask_b32_e64 v49, v39, v31, s[6:7]
	v_mul_hi_u32 v31, v46, v18
	v_add_u32_e32 v24, 1, v28
	v_cndmask_b32_e64 v47, v34, v32, s[2:3]
	v_cndmask_b32_e64 v26, v27, v26, s[8:9]
	v_mul_lo_u32 v27, v15, s36
	v_mul_lo_u32 v38, v31, s36
	v_cndmask_b32_e64 v28, v28, v24, s[10:11]
	v_mad_u64_u32 v[24:25], s[0:1], s37, v43, v[0:1]
	v_mul_hi_u32 v32, v47, v18
	v_sub_u32_e32 v27, v30, v27
	v_sub_u32_e32 v38, v46, v38
	v_lshl_add_u64 v[16:17], v[0:1], 1, s[22:23]
	v_add_u32_e32 v29, 1, v15
	v_mul_hi_u32 v35, v26, v18
	v_add_u32_e32 v0, s25, v0
	v_add_u32_e32 v39, 1, v31
	v_mul_lo_u32 v40, v32, s36
	v_cmp_le_u32_e64 s[0:1], s36, v27
	v_cmp_le_u32_e64 s[2:3], s36, v38
	v_add_u32_e32 v33, 1, v42
	v_cndmask_b32_e64 v15, v15, v29, s[0:1]
	v_add_u32_e32 v29, 8, v0
	v_cndmask_b32_e64 v31, v31, v39, s[2:3]
	v_mul_lo_u32 v39, v35, s36
	v_sub_u32_e32 v40, v47, v40
	v_cndmask_b32_e64 v48, v42, v33, s[4:5]
	v_mul_hi_u32 v25, v43, v18
	v_add_u32_e32 v41, 1, v32
	v_cmp_lt_u32_e32 vcc, s33, v29
	v_subrev_u32_e32 v29, s36, v27
	v_cmp_le_u32_e64 s[4:5], s36, v40
	v_sub_u32_e32 v39, v26, v39
	v_mul_lo_u32 v42, s18, v24
	v_mul_lo_u32 v24, v25, s36
	v_cndmask_b32_e64 v27, v27, v29, s[0:1]
	v_cndmask_b32_e64 v32, v32, v41, s[4:5]
	v_add_u32_e32 v41, 1, v35
	v_cmp_le_u32_e64 s[10:11], s36, v39
	v_mul_hi_u32 v33, v48, v18
	v_sub_u32_e32 v24, v43, v24
	v_cndmask_b32_e64 v35, v35, v41, s[10:11]
	v_add_u32_e32 v41, 1, v15
	v_cmp_le_u32_e64 s[14:15], s36, v27
	v_mul_hi_u32 v34, v49, v18
	v_mul_lo_u32 v44, v33, s36
	v_cmp_le_u32_e64 s[0:1], s36, v24
	v_cndmask_b32_e64 v50, v15, v41, s[14:15]
	v_subrev_u32_e32 v15, s36, v24
	v_mul_lo_u32 v29, v34, s36
	v_sub_u32_e32 v44, v48, v44
	v_cndmask_b32_e64 v15, v24, v15, s[0:1]
	v_subrev_u32_e32 v24, s36, v38
	v_subrev_u32_e32 v27, s36, v40
	v_mul_hi_u32 v36, v28, v18
	v_add_u32_e32 v45, 1, v33
	v_cmp_le_u32_e64 s[6:7], s36, v44
	v_sub_u32_e32 v29, v49, v29
	v_cndmask_b32_e64 v24, v38, v24, s[2:3]
	v_cndmask_b32_e64 v38, v40, v27, s[4:5]
	v_subrev_u32_e32 v27, s36, v44
	v_cndmask_b32_e64 v33, v33, v45, s[6:7]
	v_mul_lo_u32 v45, v36, s36
	v_cmp_le_u32_e64 s[8:9], s36, v29
	v_cndmask_b32_e64 v40, v44, v27, s[6:7]
	v_subrev_u32_e32 v27, s36, v29
	v_add_u32_e32 v37, 1, v25
	v_sub_u32_e32 v45, v28, v45
	v_cndmask_b32_e64 v41, v29, v27, s[8:9]
	v_subrev_u32_e32 v27, s36, v39
	v_cndmask_b32_e64 v37, v25, v37, s[0:1]
	v_cmp_le_u32_e64 s[12:13], s36, v45
	v_cndmask_b32_e64 v39, v39, v27, s[10:11]
	v_subrev_u32_e32 v27, s36, v45
	v_cndmask_b32_e64 v44, v45, v27, s[12:13]
	v_add_u32_e32 v27, 1, v37
	v_cmp_le_u32_e64 s[0:1], s36, v15
	v_add_u32_e32 v15, 1, v31
	v_add_u32_e32 v25, 1, v34
	v_cndmask_b32_e64 v45, v37, v27, s[0:1]
	v_cmp_le_u32_e64 s[0:1], s36, v24
	v_cndmask_b32_e64 v34, v34, v25, s[8:9]
	v_add_u32_e32 v24, 1, v33
	v_cndmask_b32_e64 v51, v31, v15, s[0:1]
	v_add_u32_e32 v15, 1, v32
	v_cmp_le_u32_e64 s[0:1], s36, v38
	v_add_u32_e32 v25, 1, v36
	v_cndmask_b32_e64 v36, v36, v25, s[12:13]
	v_cndmask_b32_e64 v52, v32, v15, s[0:1]
	v_cmp_le_u32_e64 s[0:1], s36, v40
	v_add_u32_e32 v15, 1, v34
	v_mov_b32_e32 v25, v1
	v_cndmask_b32_e64 v53, v33, v24, s[0:1]
	v_cmp_le_u32_e64 s[0:1], s36, v41
	v_add_u32_e32 v24, 1, v35
	v_add_u32_e32 v11, s25, v11
	v_cndmask_b32_e64 v54, v34, v15, s[0:1]
	v_cmp_le_u32_e64 s[0:1], s36, v39
	v_add_u32_e32 v15, 1, v36
	v_mov_b32_e32 v27, v1
	v_cndmask_b32_e64 v55, v35, v24, s[0:1]
	v_cmp_le_u32_e64 s[0:1], s36, v44
	v_mul_lo_u32 v24, v50, s16
	v_mov_b32_e32 v29, v1
	v_cndmask_b32_e64 v56, v36, v15, s[0:1]
	v_mad_u64_u32 v[32:33], s[0:1], v14, s18, v[24:25]
	global_load_dwordx4 v[14:17], v[16:17], off
	v_mad_u64_u32 v[34:35], s[0:1], s37, v46, v[2:3]
	v_mul_lo_u32 v2, v50, s36
	v_mad_u64_u32 v[38:39], s[0:1], s37, v48, v[6:7]
	v_sub_u32_e32 v6, v30, v2
	v_mul_lo_u32 v2, v45, s36
	v_mad_u64_u32 v[40:41], s[0:1], s37, v49, v[8:9]
	v_sub_u32_e32 v8, v43, v2
	v_mul_lo_u32 v2, v51, s16
	v_mad_u64_u32 v[36:37], s[0:1], s37, v47, v[4:5]
	v_mad_u64_u32 v[34:35], s[0:1], v34, s18, v[2:3]
	v_mul_lo_u32 v2, v52, s16
	v_mad_u64_u32 v[36:37], s[0:1], v36, s18, v[2:3]
	v_mul_lo_u32 v2, v53, s16
	;; [unrolled: 2-line block ×3, first 2 shown]
	v_mul_lo_u32 v4, v45, s16
	v_mad_u64_u32 v[40:41], s[0:1], v40, s18, v[2:3]
	v_mul_lo_u32 v2, v51, s36
	v_add3_u32 v24, v42, s18, v4
	v_mad_u64_u32 v[42:43], s[0:1], s37, v26, v[10:11]
	v_mad_u64_u32 v[44:45], s[0:1], s37, v28, v[12:13]
	v_mul_lo_u32 v4, v52, s36
	v_mul_lo_u32 v10, v53, s36
	v_mul_lo_u32 v12, v54, s36
	v_sub_u32_e32 v30, v46, v2
	v_mul_lo_u32 v35, v55, s36
	v_mul_lo_u32 v2, v55, s16
	;; [unrolled: 1-line block ×3, first 2 shown]
	v_sub_u32_e32 v37, v47, v4
	v_sub_u32_e32 v10, v48, v10
	;; [unrolled: 1-line block ×3, first 2 shown]
	v_mul_lo_u32 v4, v56, s16
	v_mul_lo_u32 v6, v6, s17
	v_sub_u32_e32 v26, v26, v35
	v_mad_u64_u32 v[42:43], s[0:1], v42, s18, v[2:3]
	v_sub_u32_e32 v2, v28, v39
	v_mad_u64_u32 v[44:45], s[0:1], v44, s18, v[4:5]
	v_mul_lo_u32 v8, v8, s17
	v_mul_lo_u32 v28, v30, s17
	;; [unrolled: 1-line block ×7, first 2 shown]
	v_add3_u32 v4, v32, v6, s19
	v_mov_b32_e32 v31, v1
	v_mov_b32_e32 v33, v1
	v_add_u32_e32 v9, s25, v9
	v_add_u32_e32 v19, s25, v19
	;; [unrolled: 1-line block ×6, first 2 shown]
	s_or_b64 s[28:29], vcc, s[28:29]
	v_lshl_add_u64 v[4:5], v[4:5], 1, s[20:21]
	v_add3_u32 v2, v24, v8, s19
	v_add3_u32 v6, v34, v28, s19
	;; [unrolled: 1-line block ×7, first 2 shown]
	v_lshl_add_u64 v[2:3], v[2:3], 1, s[20:21]
	v_lshl_add_u64 v[6:7], v[6:7], 1, s[20:21]
	;; [unrolled: 1-line block ×7, first 2 shown]
	s_waitcnt vmcnt(0)
	global_store_short v[4:5], v14, off
	global_store_short_d16_hi v[2:3], v14, off
	global_store_short v[6:7], v15, off
	global_store_short_d16_hi v[24:25], v15, off
	;; [unrolled: 2-line block ×4, first 2 shown]
	s_andn2_b64 exec, exec, s[28:29]
	s_cbranch_execnz .LBB131_3
; %bb.4:
	s_or_b64 exec, exec, s[28:29]
.LBB131_5:
	s_or_b64 exec, exec, s[30:31]
	v_cmp_gt_u32_e32 vcc, s33, v0
	s_and_b64 exec, exec, vcc
	s_cbranch_execz .LBB131_8
; %bb.6:
	s_cmp_eq_u32 s24, 2
	s_cselect_b32 s4, s34, s27
	v_cvt_f32_u32_e32 v1, s4
	s_cmp_eq_u32 s24, 1
	s_cselect_b32 s5, s34, s26
	v_cvt_f32_u32_e32 v2, s5
	v_rcp_iflag_f32_e32 v1, v1
	s_sub_i32 s0, 0, s4
	v_mov_b32_e32 v3, 0
	v_rcp_iflag_f32_e32 v2, v2
	v_mul_f32_e32 v1, 0x4f7ffffe, v1
	v_cvt_u32_f32_e32 v1, v1
	v_mov_b32_e32 v5, v3
	v_mul_f32_e32 v2, 0x4f7ffffe, v2
	v_cvt_u32_f32_e32 v2, v2
	v_mul_lo_u32 v4, s0, v1
	v_mul_hi_u32 v4, v1, v4
	s_sub_i32 s0, 0, s5
	v_add_u32_e32 v4, v1, v4
	v_mul_lo_u32 v1, s0, v2
	v_mul_hi_u32 v1, v2, v1
	v_add_u32_e32 v10, v2, v1
	v_mov_b32_e32 v1, v3
	v_mad_u64_u32 v[6:7], s[0:1], v0, v4, 0
	v_lshl_add_u64 v[8:9], v[0:1], 1, s[22:23]
	s_mov_b64 s[2:3], 0
.LBB131_7:                              ; =>This Inner Loop Header: Depth=1
	global_load_ushort v1, v[8:9], off
	v_mul_lo_u32 v2, s4, v7
	v_not_b32_e32 v11, v7
	v_sub_u32_e32 v2, v0, v2
	v_add_u32_e32 v14, 1, v7
	v_cmp_le_u32_e32 vcc, s4, v2
	v_lshl_add_u64 v[8:9], v[8:9], 0, 2
	s_waitcnt vmcnt(0)
	v_mad_u64_u32 v[12:13], s[0:1], s4, v11, v[0:1]
	v_cndmask_b32_e32 v11, v7, v14, vcc
	v_cndmask_b32_e32 v2, v2, v12, vcc
	v_add_u32_e32 v12, 1, v11
	v_cmp_le_u32_e32 vcc, s4, v2
	v_lshl_add_u64 v[6:7], v[6:7], 0, v[4:5]
	s_nop 0
	v_cndmask_b32_e32 v11, v11, v12, vcc
	v_mul_hi_u32 v2, v11, v10
	v_mul_lo_u32 v13, v2, s5
	v_sub_u32_e32 v13, v11, v13
	v_mul_lo_u32 v12, v11, s4
	v_add_u32_e32 v14, 1, v2
	v_cmp_le_u32_e64 s[0:1], s5, v13
	v_sub_u32_e32 v12, v0, v12
	v_add_u32_e32 v0, 1, v0
	v_cndmask_b32_e64 v2, v2, v14, s[0:1]
	v_subrev_u32_e32 v14, s5, v13
	v_cmp_le_u32_e32 vcc, s33, v0
	v_cndmask_b32_e64 v13, v13, v14, s[0:1]
	s_or_b64 s[2:3], vcc, s[2:3]
	v_add_u32_e32 v14, 1, v2
	v_cmp_le_u32_e32 vcc, s5, v13
	s_nop 1
	v_cndmask_b32_e32 v2, v2, v14, vcc
	v_mul_lo_u32 v13, v2, s5
	v_mul_lo_u32 v2, v2, s16
	v_sub_u32_e32 v11, v11, v13
	v_mad_u64_u32 v[12:13], s[0:1], v12, s18, v[2:3]
	v_mul_lo_u32 v2, v11, s17
	v_add3_u32 v2, v12, v2, s19
	v_lshl_add_u64 v[12:13], v[2:3], 1, s[20:21]
	global_store_short v[12:13], v1, off
	s_andn2_b64 exec, exec, s[2:3]
	s_cbranch_execnz .LBB131_7
.LBB131_8:
	s_endpgm
	.section	.rodata,"a",@progbits
	.p2align	6, 0x0
	.amdhsa_kernel _ZN2at6native12_GLOBAL__N_135CatArrayBatchedCopy_alignedK_contigINS1_10OpaqueTypeILj2EEEjLi3ELi64ELi64ELi16EEEvPT_NS1_25CatArrInputTensorMetadataIS5_T0_XT2_EXT3_EEENS1_16TensorSizeStrideIS8_Lj4EEEiS8_
		.amdhsa_group_segment_fixed_size 0
		.amdhsa_private_segment_fixed_size 0
		.amdhsa_kernarg_size 3696
		.amdhsa_user_sgpr_count 2
		.amdhsa_user_sgpr_dispatch_ptr 0
		.amdhsa_user_sgpr_queue_ptr 0
		.amdhsa_user_sgpr_kernarg_segment_ptr 1
		.amdhsa_user_sgpr_dispatch_id 0
		.amdhsa_user_sgpr_kernarg_preload_length 0
		.amdhsa_user_sgpr_kernarg_preload_offset 0
		.amdhsa_user_sgpr_private_segment_size 0
		.amdhsa_uses_dynamic_stack 0
		.amdhsa_enable_private_segment 0
		.amdhsa_system_sgpr_workgroup_id_x 1
		.amdhsa_system_sgpr_workgroup_id_y 1
		.amdhsa_system_sgpr_workgroup_id_z 0
		.amdhsa_system_sgpr_workgroup_info 0
		.amdhsa_system_vgpr_workitem_id 0
		.amdhsa_next_free_vgpr 57
		.amdhsa_next_free_sgpr 38
		.amdhsa_accum_offset 60
		.amdhsa_reserve_vcc 1
		.amdhsa_float_round_mode_32 0
		.amdhsa_float_round_mode_16_64 0
		.amdhsa_float_denorm_mode_32 3
		.amdhsa_float_denorm_mode_16_64 3
		.amdhsa_dx10_clamp 1
		.amdhsa_ieee_mode 1
		.amdhsa_fp16_overflow 0
		.amdhsa_tg_split 0
		.amdhsa_exception_fp_ieee_invalid_op 0
		.amdhsa_exception_fp_denorm_src 0
		.amdhsa_exception_fp_ieee_div_zero 0
		.amdhsa_exception_fp_ieee_overflow 0
		.amdhsa_exception_fp_ieee_underflow 0
		.amdhsa_exception_fp_ieee_inexact 0
		.amdhsa_exception_int_div_zero 0
	.end_amdhsa_kernel
	.section	.text._ZN2at6native12_GLOBAL__N_135CatArrayBatchedCopy_alignedK_contigINS1_10OpaqueTypeILj2EEEjLi3ELi64ELi64ELi16EEEvPT_NS1_25CatArrInputTensorMetadataIS5_T0_XT2_EXT3_EEENS1_16TensorSizeStrideIS8_Lj4EEEiS8_,"axG",@progbits,_ZN2at6native12_GLOBAL__N_135CatArrayBatchedCopy_alignedK_contigINS1_10OpaqueTypeILj2EEEjLi3ELi64ELi64ELi16EEEvPT_NS1_25CatArrInputTensorMetadataIS5_T0_XT2_EXT3_EEENS1_16TensorSizeStrideIS8_Lj4EEEiS8_,comdat
.Lfunc_end131:
	.size	_ZN2at6native12_GLOBAL__N_135CatArrayBatchedCopy_alignedK_contigINS1_10OpaqueTypeILj2EEEjLi3ELi64ELi64ELi16EEEvPT_NS1_25CatArrInputTensorMetadataIS5_T0_XT2_EXT3_EEENS1_16TensorSizeStrideIS8_Lj4EEEiS8_, .Lfunc_end131-_ZN2at6native12_GLOBAL__N_135CatArrayBatchedCopy_alignedK_contigINS1_10OpaqueTypeILj2EEEjLi3ELi64ELi64ELi16EEEvPT_NS1_25CatArrInputTensorMetadataIS5_T0_XT2_EXT3_EEENS1_16TensorSizeStrideIS8_Lj4EEEiS8_
                                        ; -- End function
	.set _ZN2at6native12_GLOBAL__N_135CatArrayBatchedCopy_alignedK_contigINS1_10OpaqueTypeILj2EEEjLi3ELi64ELi64ELi16EEEvPT_NS1_25CatArrInputTensorMetadataIS5_T0_XT2_EXT3_EEENS1_16TensorSizeStrideIS8_Lj4EEEiS8_.num_vgpr, 57
	.set _ZN2at6native12_GLOBAL__N_135CatArrayBatchedCopy_alignedK_contigINS1_10OpaqueTypeILj2EEEjLi3ELi64ELi64ELi16EEEvPT_NS1_25CatArrInputTensorMetadataIS5_T0_XT2_EXT3_EEENS1_16TensorSizeStrideIS8_Lj4EEEiS8_.num_agpr, 0
	.set _ZN2at6native12_GLOBAL__N_135CatArrayBatchedCopy_alignedK_contigINS1_10OpaqueTypeILj2EEEjLi3ELi64ELi64ELi16EEEvPT_NS1_25CatArrInputTensorMetadataIS5_T0_XT2_EXT3_EEENS1_16TensorSizeStrideIS8_Lj4EEEiS8_.numbered_sgpr, 38
	.set _ZN2at6native12_GLOBAL__N_135CatArrayBatchedCopy_alignedK_contigINS1_10OpaqueTypeILj2EEEjLi3ELi64ELi64ELi16EEEvPT_NS1_25CatArrInputTensorMetadataIS5_T0_XT2_EXT3_EEENS1_16TensorSizeStrideIS8_Lj4EEEiS8_.num_named_barrier, 0
	.set _ZN2at6native12_GLOBAL__N_135CatArrayBatchedCopy_alignedK_contigINS1_10OpaqueTypeILj2EEEjLi3ELi64ELi64ELi16EEEvPT_NS1_25CatArrInputTensorMetadataIS5_T0_XT2_EXT3_EEENS1_16TensorSizeStrideIS8_Lj4EEEiS8_.private_seg_size, 0
	.set _ZN2at6native12_GLOBAL__N_135CatArrayBatchedCopy_alignedK_contigINS1_10OpaqueTypeILj2EEEjLi3ELi64ELi64ELi16EEEvPT_NS1_25CatArrInputTensorMetadataIS5_T0_XT2_EXT3_EEENS1_16TensorSizeStrideIS8_Lj4EEEiS8_.uses_vcc, 1
	.set _ZN2at6native12_GLOBAL__N_135CatArrayBatchedCopy_alignedK_contigINS1_10OpaqueTypeILj2EEEjLi3ELi64ELi64ELi16EEEvPT_NS1_25CatArrInputTensorMetadataIS5_T0_XT2_EXT3_EEENS1_16TensorSizeStrideIS8_Lj4EEEiS8_.uses_flat_scratch, 0
	.set _ZN2at6native12_GLOBAL__N_135CatArrayBatchedCopy_alignedK_contigINS1_10OpaqueTypeILj2EEEjLi3ELi64ELi64ELi16EEEvPT_NS1_25CatArrInputTensorMetadataIS5_T0_XT2_EXT3_EEENS1_16TensorSizeStrideIS8_Lj4EEEiS8_.has_dyn_sized_stack, 0
	.set _ZN2at6native12_GLOBAL__N_135CatArrayBatchedCopy_alignedK_contigINS1_10OpaqueTypeILj2EEEjLi3ELi64ELi64ELi16EEEvPT_NS1_25CatArrInputTensorMetadataIS5_T0_XT2_EXT3_EEENS1_16TensorSizeStrideIS8_Lj4EEEiS8_.has_recursion, 0
	.set _ZN2at6native12_GLOBAL__N_135CatArrayBatchedCopy_alignedK_contigINS1_10OpaqueTypeILj2EEEjLi3ELi64ELi64ELi16EEEvPT_NS1_25CatArrInputTensorMetadataIS5_T0_XT2_EXT3_EEENS1_16TensorSizeStrideIS8_Lj4EEEiS8_.has_indirect_call, 0
	.section	.AMDGPU.csdata,"",@progbits
; Kernel info:
; codeLenInByte = 2616
; TotalNumSgprs: 44
; NumVgprs: 57
; NumAgprs: 0
; TotalNumVgprs: 57
; ScratchSize: 0
; MemoryBound: 0
; FloatMode: 240
; IeeeMode: 1
; LDSByteSize: 0 bytes/workgroup (compile time only)
; SGPRBlocks: 5
; VGPRBlocks: 7
; NumSGPRsForWavesPerEU: 44
; NumVGPRsForWavesPerEU: 57
; AccumOffset: 60
; Occupancy: 8
; WaveLimiterHint : 1
; COMPUTE_PGM_RSRC2:SCRATCH_EN: 0
; COMPUTE_PGM_RSRC2:USER_SGPR: 2
; COMPUTE_PGM_RSRC2:TRAP_HANDLER: 0
; COMPUTE_PGM_RSRC2:TGID_X_EN: 1
; COMPUTE_PGM_RSRC2:TGID_Y_EN: 1
; COMPUTE_PGM_RSRC2:TGID_Z_EN: 0
; COMPUTE_PGM_RSRC2:TIDIG_COMP_CNT: 0
; COMPUTE_PGM_RSRC3_GFX90A:ACCUM_OFFSET: 14
; COMPUTE_PGM_RSRC3_GFX90A:TG_SPLIT: 0
	.section	.text._ZN2at6native12_GLOBAL__N_135CatArrayBatchedCopy_alignedK_contigINS1_10OpaqueTypeILj2EEEjLi3ELi64ELi64ELi8EEEvPT_NS1_25CatArrInputTensorMetadataIS5_T0_XT2_EXT3_EEENS1_16TensorSizeStrideIS8_Lj4EEEiS8_,"axG",@progbits,_ZN2at6native12_GLOBAL__N_135CatArrayBatchedCopy_alignedK_contigINS1_10OpaqueTypeILj2EEEjLi3ELi64ELi64ELi8EEEvPT_NS1_25CatArrInputTensorMetadataIS5_T0_XT2_EXT3_EEENS1_16TensorSizeStrideIS8_Lj4EEEiS8_,comdat
	.globl	_ZN2at6native12_GLOBAL__N_135CatArrayBatchedCopy_alignedK_contigINS1_10OpaqueTypeILj2EEEjLi3ELi64ELi64ELi8EEEvPT_NS1_25CatArrInputTensorMetadataIS5_T0_XT2_EXT3_EEENS1_16TensorSizeStrideIS8_Lj4EEEiS8_ ; -- Begin function _ZN2at6native12_GLOBAL__N_135CatArrayBatchedCopy_alignedK_contigINS1_10OpaqueTypeILj2EEEjLi3ELi64ELi64ELi8EEEvPT_NS1_25CatArrInputTensorMetadataIS5_T0_XT2_EXT3_EEENS1_16TensorSizeStrideIS8_Lj4EEEiS8_
	.p2align	8
	.type	_ZN2at6native12_GLOBAL__N_135CatArrayBatchedCopy_alignedK_contigINS1_10OpaqueTypeILj2EEEjLi3ELi64ELi64ELi8EEEvPT_NS1_25CatArrInputTensorMetadataIS5_T0_XT2_EXT3_EEENS1_16TensorSizeStrideIS8_Lj4EEEiS8_,@function
_ZN2at6native12_GLOBAL__N_135CatArrayBatchedCopy_alignedK_contigINS1_10OpaqueTypeILj2EEEjLi3ELi64ELi64ELi8EEEvPT_NS1_25CatArrInputTensorMetadataIS5_T0_XT2_EXT3_EEENS1_16TensorSizeStrideIS8_Lj4EEEiS8_: ; @_ZN2at6native12_GLOBAL__N_135CatArrayBatchedCopy_alignedK_contigINS1_10OpaqueTypeILj2EEEjLi3ELi64ELi64ELi8EEEvPT_NS1_25CatArrInputTensorMetadataIS5_T0_XT2_EXT3_EEENS1_16TensorSizeStrideIS8_Lj4EEEiS8_
; %bb.0:
	s_mov_b32 s6, s3
	s_load_dword s3, s[0:1], 0xd7c
	s_add_u32 s4, s0, 0xd70
	s_mov_b32 s7, 0
	s_addc_u32 s5, s1, 0
	s_lshl_b64 s[6:7], s[6:7], 2
	s_waitcnt lgkmcnt(0)
	s_and_b32 s3, s3, 0xffff
	s_add_u32 s8, s0, s6
	s_addc_u32 s9, s1, s7
	s_load_dword s22, s[8:9], 0x408
	s_mul_i32 s2, s2, s3
	v_add_lshl_u32 v0, s2, v0, 2
	s_add_u32 s2, s8, 8
	s_addc_u32 s12, s9, 0
	s_waitcnt lgkmcnt(0)
	v_cmp_gt_u32_e32 vcc, s22, v0
	s_and_saveexec_b64 s[8:9], vcc
	s_cbranch_execz .LBB132_8
; %bb.1:
	s_add_u32 s18, s2, s6
	s_addc_u32 s19, s12, s7
	s_sub_u32 s2, 0, s6
	s_load_dwordx2 s[14:15], s[0:1], 0xd68
	s_load_dwordx4 s[8:11], s[0:1], 0xd58
	s_subb_u32 s6, 0, s7
	s_add_u32 s20, s18, s2
	s_addc_u32 s21, s19, s6
	s_waitcnt lgkmcnt(0)
	s_load_dword s11, s[20:21], 0x200
	s_load_dwordx2 s[6:7], s[0:1], 0x0
	s_load_dwordx2 s[16:17], s[0:1], 0xd4c
	;; [unrolled: 1-line block ×3, first 2 shown]
	s_load_dword s23, s[20:21], 0x300
	v_add_u32_e32 v1, 4, v0
	s_mov_b64 s[18:19], 0
	s_waitcnt lgkmcnt(0)
	s_mul_i32 s11, s11, s15
	v_cmp_ge_u32_e32 vcc, s22, v1
	s_and_saveexec_b64 s[20:21], vcc
	s_cbranch_execz .LBB132_5
; %bb.2:
	s_load_dword s0, s[4:5], 0x0
	v_mov_b32_e32 v1, 0
	v_add_u32_e32 v10, 3, v0
	v_add_u32_e32 v11, 2, v0
	;; [unrolled: 1-line block ×3, first 2 shown]
	s_waitcnt lgkmcnt(0)
	s_mul_i32 s0, s0, s3
	s_lshl_b32 s15, s0, 2
	s_cmp_eq_u32 s14, 2
	s_cselect_b32 s24, s23, s17
	s_cmp_eq_u32 s14, 1
	v_cvt_f32_u32_e32 v2, s24
	s_cselect_b32 s25, s23, s16
	v_cvt_f32_u32_e32 v3, s25
	s_sub_i32 s26, 0, s24
	v_rcp_iflag_f32_e32 v2, v2
	s_sub_i32 s0, 0, s25
	v_rcp_iflag_f32_e32 v3, v3
	v_mul_f32_e32 v2, 0x4f7ffffe, v2
	v_cvt_u32_f32_e32 v2, v2
	v_mul_f32_e32 v3, 0x4f7ffffe, v3
	v_cvt_u32_f32_e32 v3, v3
	v_mul_lo_u32 v4, s26, v2
	v_mul_hi_u32 v4, v2, v4
	v_mul_lo_u32 v5, s0, v3
	v_add_u32_e32 v12, v2, v4
	v_mul_hi_u32 v2, v3, v5
	v_add_u32_e32 v13, v3, v2
.LBB132_3:                              ; =>This Inner Loop Header: Depth=1
	v_lshl_add_u64 v[16:17], v[0:1], 1, s[12:13]
	global_load_dwordx2 v[16:17], v[16:17], off
	v_mul_hi_u32 v8, v12, v0
	v_mul_hi_u32 v22, v12, v11
	;; [unrolled: 1-line block ×3, first 2 shown]
	v_add_u32_e32 v4, 1, v0
	v_add_u32_e32 v2, 2, v0
	v_mov_b32_e32 v3, v1
	v_mov_b32_e32 v5, v1
	v_not_b32_e32 v26, v8
	v_mad_u64_u32 v[18:19], s[0:1], s26, v8, v[0:1]
	v_mul_hi_u32 v15, v12, v10
	v_add_u32_e32 v6, 3, v0
	v_mov_b32_e32 v7, v1
	v_not_b32_e32 v30, v22
	v_not_b32_e32 v28, v20
	v_add_u32_e32 v19, 1, v8
	v_mad_u64_u32 v[20:21], s[0:1], s26, v20, v[4:5]
	v_mad_u64_u32 v[22:23], s[0:1], s26, v22, v[2:3]
	v_cmp_le_u32_e32 vcc, s24, v18
	v_mad_u64_u32 v[26:27], s[0:1], s24, v26, v[0:1]
	v_not_b32_e32 v32, v15
	v_mul_hi_u32 v34, v4, v12
	v_mul_hi_u32 v21, v2, v12
	;; [unrolled: 1-line block ×3, first 2 shown]
	v_mad_u64_u32 v[24:25], s[0:1], s26, v15, v[6:7]
	v_cndmask_b32_e32 v8, v8, v19, vcc
	v_mad_u64_u32 v[28:29], s[2:3], s24, v28, v[4:5]
	v_mad_u64_u32 v[30:31], s[4:5], s24, v30, v[2:3]
	v_cndmask_b32_e32 v18, v18, v26, vcc
	v_add_u32_e32 v15, 1, v34
	v_cmp_le_u32_e64 s[0:1], s24, v20
	v_add_u32_e32 v4, 1, v21
	v_cmp_le_u32_e64 s[2:3], s24, v22
	;; [unrolled: 2-line block ×3, first 2 shown]
	v_mad_u64_u32 v[32:33], s[28:29], s24, v32, v[6:7]
	v_add_u32_e32 v25, 1, v8
	v_cmp_le_u32_e32 vcc, s24, v18
	v_cndmask_b32_e64 v15, v34, v15, s[0:1]
	v_cndmask_b32_e64 v20, v20, v28, s[0:1]
	;; [unrolled: 1-line block ×6, first 2 shown]
	v_cndmask_b32_e32 v8, v8, v25, vcc
	v_add_u32_e32 v23, 1, v15
	v_cmp_le_u32_e32 vcc, s24, v20
	v_cmp_le_u32_e64 s[2:3], s24, v19
	v_mad_u64_u32 v[18:19], s[4:5], s26, v8, v[0:1]
	v_add_u32_e32 v20, 1, v4
	v_cmp_le_u32_e64 s[0:1], s24, v21
	v_add_u32_e32 v21, 1, v22
	v_mul_hi_u32 v19, v8, v13
	v_cndmask_b32_e32 v15, v15, v23, vcc
	v_cndmask_b32_e64 v26, v4, v20, s[0:1]
	v_cndmask_b32_e64 v27, v22, v21, s[2:3]
	v_mul_lo_u32 v4, v19, s25
	v_mad_u64_u32 v[20:21], s[0:1], s26, v15, v[0:1]
	v_mul_hi_u32 v21, v15, v13
	v_mad_u64_u32 v[22:23], s[0:1], s26, v26, v[2:3]
	v_sub_u32_e32 v4, v8, v4
	v_add_u32_e32 v28, 1, v19
	v_mul_hi_u32 v2, v26, v13
	v_add_u32_e32 v0, s15, v0
	v_mul_lo_u32 v23, v21, s25
	v_cmp_le_u32_e32 vcc, s25, v4
	v_mad_u64_u32 v[24:25], s[0:1], s26, v27, v[6:7]
	v_mul_hi_u32 v6, v27, v13
	v_mul_lo_u32 v29, v2, s25
	v_add_u32_e32 v33, 4, v0
	v_cndmask_b32_e32 v19, v19, v28, vcc
	v_subrev_u32_e32 v28, s25, v4
	v_sub_u32_e32 v23, v15, v23
	v_add_u32_e32 v25, 1, v21
	v_mul_lo_u32 v31, v6, s25
	v_sub_u32_e32 v29, v26, v29
	v_cmp_lt_u32_e64 s[0:1], s22, v33
	v_cndmask_b32_e32 v4, v4, v28, vcc
	v_cmp_le_u32_e32 vcc, s25, v23
	v_add_u32_e32 v30, 1, v2
	v_sub_u32_e32 v31, v27, v31
	v_add_u32_e32 v28, 1, v19
	v_cndmask_b32_e32 v21, v21, v25, vcc
	v_subrev_u32_e32 v25, s25, v23
	v_cmp_le_u32_e64 s[2:3], s25, v29
	s_or_b64 s[18:19], s[0:1], s[18:19]
	v_cmp_le_u32_e64 s[0:1], s25, v4
	v_add_u32_e32 v32, 1, v6
	v_cndmask_b32_e64 v30, v2, v30, s[2:3]
	v_subrev_u32_e32 v2, s25, v29
	v_cmp_le_u32_e64 s[4:5], s25, v31
	v_cndmask_b32_e64 v4, v19, v28, s[0:1]
	v_cndmask_b32_e32 v19, v23, v25, vcc
	v_cndmask_b32_e64 v6, v6, v32, s[4:5]
	v_subrev_u32_e32 v32, s25, v31
	v_add_u32_e32 v23, 1, v21
	v_cndmask_b32_e64 v25, v29, v2, s[2:3]
	v_cmp_le_u32_e32 vcc, s25, v19
	v_add_u32_e32 v28, 1, v30
	v_cndmask_b32_e64 v29, v31, v32, s[4:5]
	v_mul_lo_u32 v32, v4, s25
	v_mul_lo_u32 v2, v4, s8
	v_cndmask_b32_e32 v4, v21, v23, vcc
	v_cmp_le_u32_e32 vcc, s25, v25
	v_add_u32_e32 v31, 1, v6
	v_mad_u64_u32 v[18:19], s[0:1], v18, s10, v[2:3]
	v_cndmask_b32_e32 v21, v30, v28, vcc
	v_cmp_le_u32_e32 vcc, s25, v29
	v_mul_lo_u32 v20, s10, v20
	v_sub_u32_e32 v8, v8, v32
	v_cndmask_b32_e32 v6, v6, v31, vcc
	v_mul_lo_u32 v19, v4, s25
	v_mul_lo_u32 v23, v4, s8
	;; [unrolled: 1-line block ×7, first 2 shown]
	v_sub_u32_e32 v8, v15, v19
	v_add3_u32 v15, v20, s10, v23
	v_sub_u32_e32 v19, v26, v25
	v_mad_u64_u32 v[20:21], s[0:1], v22, s10, v[2:3]
	v_sub_u32_e32 v2, v27, v28
	v_mad_u64_u32 v[22:23], s[0:1], v24, s10, v[4:5]
	v_mul_lo_u32 v4, v8, s9
	v_mul_lo_u32 v8, v19, s9
	;; [unrolled: 1-line block ×3, first 2 shown]
	v_add3_u32 v2, v18, v6, s11
	v_mov_b32_e32 v9, v1
	v_add_u32_e32 v10, s15, v10
	v_add_u32_e32 v11, s15, v11
	v_add_u32_e32 v14, s15, v14
	v_lshl_add_u64 v[2:3], v[2:3], 1, s[6:7]
	v_add3_u32 v4, v15, v4, s11
	v_add3_u32 v6, v20, v8, s11
	;; [unrolled: 1-line block ×3, first 2 shown]
	v_lshl_add_u64 v[4:5], v[4:5], 1, s[6:7]
	v_lshl_add_u64 v[6:7], v[6:7], 1, s[6:7]
	;; [unrolled: 1-line block ×3, first 2 shown]
	s_waitcnt vmcnt(0)
	global_store_short v[2:3], v16, off
	global_store_short_d16_hi v[4:5], v16, off
	global_store_short v[6:7], v17, off
	global_store_short_d16_hi v[8:9], v17, off
	s_andn2_b64 exec, exec, s[18:19]
	s_cbranch_execnz .LBB132_3
; %bb.4:
	s_or_b64 exec, exec, s[18:19]
.LBB132_5:
	s_or_b64 exec, exec, s[20:21]
	v_cmp_gt_u32_e32 vcc, s22, v0
	s_and_b64 exec, exec, vcc
	s_cbranch_execz .LBB132_8
; %bb.6:
	s_cmp_eq_u32 s14, 2
	s_cselect_b32 s4, s23, s17
	v_cvt_f32_u32_e32 v1, s4
	s_cmp_eq_u32 s14, 1
	s_cselect_b32 s5, s23, s16
	v_cvt_f32_u32_e32 v2, s5
	v_rcp_iflag_f32_e32 v1, v1
	s_sub_i32 s0, 0, s4
	v_mov_b32_e32 v3, 0
	v_rcp_iflag_f32_e32 v2, v2
	v_mul_f32_e32 v1, 0x4f7ffffe, v1
	v_cvt_u32_f32_e32 v1, v1
	v_mov_b32_e32 v5, v3
	v_mul_f32_e32 v2, 0x4f7ffffe, v2
	v_cvt_u32_f32_e32 v2, v2
	v_mul_lo_u32 v4, s0, v1
	v_mul_hi_u32 v4, v1, v4
	s_sub_i32 s0, 0, s5
	v_add_u32_e32 v4, v1, v4
	v_mul_lo_u32 v1, s0, v2
	v_mul_hi_u32 v1, v2, v1
	v_add_u32_e32 v10, v2, v1
	v_mov_b32_e32 v1, v3
	v_mad_u64_u32 v[6:7], s[0:1], v0, v4, 0
	v_lshl_add_u64 v[8:9], v[0:1], 1, s[12:13]
	s_mov_b64 s[2:3], 0
.LBB132_7:                              ; =>This Inner Loop Header: Depth=1
	global_load_ushort v1, v[8:9], off
	v_mul_lo_u32 v2, s4, v7
	v_not_b32_e32 v11, v7
	v_sub_u32_e32 v2, v0, v2
	v_add_u32_e32 v14, 1, v7
	v_cmp_le_u32_e32 vcc, s4, v2
	v_lshl_add_u64 v[8:9], v[8:9], 0, 2
	s_waitcnt vmcnt(0)
	v_mad_u64_u32 v[12:13], s[0:1], s4, v11, v[0:1]
	v_cndmask_b32_e32 v11, v7, v14, vcc
	v_cndmask_b32_e32 v2, v2, v12, vcc
	v_add_u32_e32 v12, 1, v11
	v_cmp_le_u32_e32 vcc, s4, v2
	v_lshl_add_u64 v[6:7], v[6:7], 0, v[4:5]
	s_nop 0
	v_cndmask_b32_e32 v11, v11, v12, vcc
	v_mul_hi_u32 v2, v11, v10
	v_mul_lo_u32 v13, v2, s5
	v_sub_u32_e32 v13, v11, v13
	v_mul_lo_u32 v12, v11, s4
	v_add_u32_e32 v14, 1, v2
	v_cmp_le_u32_e64 s[0:1], s5, v13
	v_sub_u32_e32 v12, v0, v12
	v_add_u32_e32 v0, 1, v0
	v_cndmask_b32_e64 v2, v2, v14, s[0:1]
	v_subrev_u32_e32 v14, s5, v13
	v_cmp_le_u32_e32 vcc, s22, v0
	v_cndmask_b32_e64 v13, v13, v14, s[0:1]
	s_or_b64 s[2:3], vcc, s[2:3]
	v_add_u32_e32 v14, 1, v2
	v_cmp_le_u32_e32 vcc, s5, v13
	s_nop 1
	v_cndmask_b32_e32 v2, v2, v14, vcc
	v_mul_lo_u32 v13, v2, s5
	v_mul_lo_u32 v2, v2, s8
	v_sub_u32_e32 v11, v11, v13
	v_mad_u64_u32 v[12:13], s[0:1], v12, s10, v[2:3]
	v_mul_lo_u32 v2, v11, s9
	v_add3_u32 v2, v12, v2, s11
	v_lshl_add_u64 v[12:13], v[2:3], 1, s[6:7]
	global_store_short v[12:13], v1, off
	s_andn2_b64 exec, exec, s[2:3]
	s_cbranch_execnz .LBB132_7
.LBB132_8:
	s_endpgm
	.section	.rodata,"a",@progbits
	.p2align	6, 0x0
	.amdhsa_kernel _ZN2at6native12_GLOBAL__N_135CatArrayBatchedCopy_alignedK_contigINS1_10OpaqueTypeILj2EEEjLi3ELi64ELi64ELi8EEEvPT_NS1_25CatArrInputTensorMetadataIS5_T0_XT2_EXT3_EEENS1_16TensorSizeStrideIS8_Lj4EEEiS8_
		.amdhsa_group_segment_fixed_size 0
		.amdhsa_private_segment_fixed_size 0
		.amdhsa_kernarg_size 3696
		.amdhsa_user_sgpr_count 2
		.amdhsa_user_sgpr_dispatch_ptr 0
		.amdhsa_user_sgpr_queue_ptr 0
		.amdhsa_user_sgpr_kernarg_segment_ptr 1
		.amdhsa_user_sgpr_dispatch_id 0
		.amdhsa_user_sgpr_kernarg_preload_length 0
		.amdhsa_user_sgpr_kernarg_preload_offset 0
		.amdhsa_user_sgpr_private_segment_size 0
		.amdhsa_uses_dynamic_stack 0
		.amdhsa_enable_private_segment 0
		.amdhsa_system_sgpr_workgroup_id_x 1
		.amdhsa_system_sgpr_workgroup_id_y 1
		.amdhsa_system_sgpr_workgroup_id_z 0
		.amdhsa_system_sgpr_workgroup_info 0
		.amdhsa_system_vgpr_workitem_id 0
		.amdhsa_next_free_vgpr 35
		.amdhsa_next_free_sgpr 30
		.amdhsa_accum_offset 36
		.amdhsa_reserve_vcc 1
		.amdhsa_float_round_mode_32 0
		.amdhsa_float_round_mode_16_64 0
		.amdhsa_float_denorm_mode_32 3
		.amdhsa_float_denorm_mode_16_64 3
		.amdhsa_dx10_clamp 1
		.amdhsa_ieee_mode 1
		.amdhsa_fp16_overflow 0
		.amdhsa_tg_split 0
		.amdhsa_exception_fp_ieee_invalid_op 0
		.amdhsa_exception_fp_denorm_src 0
		.amdhsa_exception_fp_ieee_div_zero 0
		.amdhsa_exception_fp_ieee_overflow 0
		.amdhsa_exception_fp_ieee_underflow 0
		.amdhsa_exception_fp_ieee_inexact 0
		.amdhsa_exception_int_div_zero 0
	.end_amdhsa_kernel
	.section	.text._ZN2at6native12_GLOBAL__N_135CatArrayBatchedCopy_alignedK_contigINS1_10OpaqueTypeILj2EEEjLi3ELi64ELi64ELi8EEEvPT_NS1_25CatArrInputTensorMetadataIS5_T0_XT2_EXT3_EEENS1_16TensorSizeStrideIS8_Lj4EEEiS8_,"axG",@progbits,_ZN2at6native12_GLOBAL__N_135CatArrayBatchedCopy_alignedK_contigINS1_10OpaqueTypeILj2EEEjLi3ELi64ELi64ELi8EEEvPT_NS1_25CatArrInputTensorMetadataIS5_T0_XT2_EXT3_EEENS1_16TensorSizeStrideIS8_Lj4EEEiS8_,comdat
.Lfunc_end132:
	.size	_ZN2at6native12_GLOBAL__N_135CatArrayBatchedCopy_alignedK_contigINS1_10OpaqueTypeILj2EEEjLi3ELi64ELi64ELi8EEEvPT_NS1_25CatArrInputTensorMetadataIS5_T0_XT2_EXT3_EEENS1_16TensorSizeStrideIS8_Lj4EEEiS8_, .Lfunc_end132-_ZN2at6native12_GLOBAL__N_135CatArrayBatchedCopy_alignedK_contigINS1_10OpaqueTypeILj2EEEjLi3ELi64ELi64ELi8EEEvPT_NS1_25CatArrInputTensorMetadataIS5_T0_XT2_EXT3_EEENS1_16TensorSizeStrideIS8_Lj4EEEiS8_
                                        ; -- End function
	.set _ZN2at6native12_GLOBAL__N_135CatArrayBatchedCopy_alignedK_contigINS1_10OpaqueTypeILj2EEEjLi3ELi64ELi64ELi8EEEvPT_NS1_25CatArrInputTensorMetadataIS5_T0_XT2_EXT3_EEENS1_16TensorSizeStrideIS8_Lj4EEEiS8_.num_vgpr, 35
	.set _ZN2at6native12_GLOBAL__N_135CatArrayBatchedCopy_alignedK_contigINS1_10OpaqueTypeILj2EEEjLi3ELi64ELi64ELi8EEEvPT_NS1_25CatArrInputTensorMetadataIS5_T0_XT2_EXT3_EEENS1_16TensorSizeStrideIS8_Lj4EEEiS8_.num_agpr, 0
	.set _ZN2at6native12_GLOBAL__N_135CatArrayBatchedCopy_alignedK_contigINS1_10OpaqueTypeILj2EEEjLi3ELi64ELi64ELi8EEEvPT_NS1_25CatArrInputTensorMetadataIS5_T0_XT2_EXT3_EEENS1_16TensorSizeStrideIS8_Lj4EEEiS8_.numbered_sgpr, 30
	.set _ZN2at6native12_GLOBAL__N_135CatArrayBatchedCopy_alignedK_contigINS1_10OpaqueTypeILj2EEEjLi3ELi64ELi64ELi8EEEvPT_NS1_25CatArrInputTensorMetadataIS5_T0_XT2_EXT3_EEENS1_16TensorSizeStrideIS8_Lj4EEEiS8_.num_named_barrier, 0
	.set _ZN2at6native12_GLOBAL__N_135CatArrayBatchedCopy_alignedK_contigINS1_10OpaqueTypeILj2EEEjLi3ELi64ELi64ELi8EEEvPT_NS1_25CatArrInputTensorMetadataIS5_T0_XT2_EXT3_EEENS1_16TensorSizeStrideIS8_Lj4EEEiS8_.private_seg_size, 0
	.set _ZN2at6native12_GLOBAL__N_135CatArrayBatchedCopy_alignedK_contigINS1_10OpaqueTypeILj2EEEjLi3ELi64ELi64ELi8EEEvPT_NS1_25CatArrInputTensorMetadataIS5_T0_XT2_EXT3_EEENS1_16TensorSizeStrideIS8_Lj4EEEiS8_.uses_vcc, 1
	.set _ZN2at6native12_GLOBAL__N_135CatArrayBatchedCopy_alignedK_contigINS1_10OpaqueTypeILj2EEEjLi3ELi64ELi64ELi8EEEvPT_NS1_25CatArrInputTensorMetadataIS5_T0_XT2_EXT3_EEENS1_16TensorSizeStrideIS8_Lj4EEEiS8_.uses_flat_scratch, 0
	.set _ZN2at6native12_GLOBAL__N_135CatArrayBatchedCopy_alignedK_contigINS1_10OpaqueTypeILj2EEEjLi3ELi64ELi64ELi8EEEvPT_NS1_25CatArrInputTensorMetadataIS5_T0_XT2_EXT3_EEENS1_16TensorSizeStrideIS8_Lj4EEEiS8_.has_dyn_sized_stack, 0
	.set _ZN2at6native12_GLOBAL__N_135CatArrayBatchedCopy_alignedK_contigINS1_10OpaqueTypeILj2EEEjLi3ELi64ELi64ELi8EEEvPT_NS1_25CatArrInputTensorMetadataIS5_T0_XT2_EXT3_EEENS1_16TensorSizeStrideIS8_Lj4EEEiS8_.has_recursion, 0
	.set _ZN2at6native12_GLOBAL__N_135CatArrayBatchedCopy_alignedK_contigINS1_10OpaqueTypeILj2EEEjLi3ELi64ELi64ELi8EEEvPT_NS1_25CatArrInputTensorMetadataIS5_T0_XT2_EXT3_EEENS1_16TensorSizeStrideIS8_Lj4EEEiS8_.has_indirect_call, 0
	.section	.AMDGPU.csdata,"",@progbits
; Kernel info:
; codeLenInByte = 1660
; TotalNumSgprs: 36
; NumVgprs: 35
; NumAgprs: 0
; TotalNumVgprs: 35
; ScratchSize: 0
; MemoryBound: 0
; FloatMode: 240
; IeeeMode: 1
; LDSByteSize: 0 bytes/workgroup (compile time only)
; SGPRBlocks: 4
; VGPRBlocks: 4
; NumSGPRsForWavesPerEU: 36
; NumVGPRsForWavesPerEU: 35
; AccumOffset: 36
; Occupancy: 8
; WaveLimiterHint : 1
; COMPUTE_PGM_RSRC2:SCRATCH_EN: 0
; COMPUTE_PGM_RSRC2:USER_SGPR: 2
; COMPUTE_PGM_RSRC2:TRAP_HANDLER: 0
; COMPUTE_PGM_RSRC2:TGID_X_EN: 1
; COMPUTE_PGM_RSRC2:TGID_Y_EN: 1
; COMPUTE_PGM_RSRC2:TGID_Z_EN: 0
; COMPUTE_PGM_RSRC2:TIDIG_COMP_CNT: 0
; COMPUTE_PGM_RSRC3_GFX90A:ACCUM_OFFSET: 8
; COMPUTE_PGM_RSRC3_GFX90A:TG_SPLIT: 0
	.section	.text._ZN2at6native12_GLOBAL__N_126CatArrayBatchedCopy_contigINS1_10OpaqueTypeILj2EEEjLi3ELi64ELi64EEEvPT_NS1_25CatArrInputTensorMetadataIS5_T0_XT2_EXT3_EEENS1_16TensorSizeStrideIS8_Lj4EEEiS8_,"axG",@progbits,_ZN2at6native12_GLOBAL__N_126CatArrayBatchedCopy_contigINS1_10OpaqueTypeILj2EEEjLi3ELi64ELi64EEEvPT_NS1_25CatArrInputTensorMetadataIS5_T0_XT2_EXT3_EEENS1_16TensorSizeStrideIS8_Lj4EEEiS8_,comdat
	.globl	_ZN2at6native12_GLOBAL__N_126CatArrayBatchedCopy_contigINS1_10OpaqueTypeILj2EEEjLi3ELi64ELi64EEEvPT_NS1_25CatArrInputTensorMetadataIS5_T0_XT2_EXT3_EEENS1_16TensorSizeStrideIS8_Lj4EEEiS8_ ; -- Begin function _ZN2at6native12_GLOBAL__N_126CatArrayBatchedCopy_contigINS1_10OpaqueTypeILj2EEEjLi3ELi64ELi64EEEvPT_NS1_25CatArrInputTensorMetadataIS5_T0_XT2_EXT3_EEENS1_16TensorSizeStrideIS8_Lj4EEEiS8_
	.p2align	8
	.type	_ZN2at6native12_GLOBAL__N_126CatArrayBatchedCopy_contigINS1_10OpaqueTypeILj2EEEjLi3ELi64ELi64EEEvPT_NS1_25CatArrInputTensorMetadataIS5_T0_XT2_EXT3_EEENS1_16TensorSizeStrideIS8_Lj4EEEiS8_,@function
_ZN2at6native12_GLOBAL__N_126CatArrayBatchedCopy_contigINS1_10OpaqueTypeILj2EEEjLi3ELi64ELi64EEEvPT_NS1_25CatArrInputTensorMetadataIS5_T0_XT2_EXT3_EEENS1_16TensorSizeStrideIS8_Lj4EEEiS8_: ; @_ZN2at6native12_GLOBAL__N_126CatArrayBatchedCopy_contigINS1_10OpaqueTypeILj2EEEjLi3ELi64ELi64EEEvPT_NS1_25CatArrInputTensorMetadataIS5_T0_XT2_EXT3_EEENS1_16TensorSizeStrideIS8_Lj4EEEiS8_
; %bb.0:
	s_mov_b32 s4, s3
	s_load_dword s3, s[0:1], 0xd7c
	s_add_u32 s10, s0, 0xd70
	s_mov_b32 s5, 0
	s_addc_u32 s11, s1, 0
	s_lshl_b64 s[8:9], s[4:5], 2
	s_waitcnt lgkmcnt(0)
	s_and_b32 s15, s3, 0xffff
	s_add_u32 s4, s0, s8
	s_addc_u32 s5, s1, s9
	s_load_dword s12, s[4:5], 0x408
	s_mul_i32 s2, s2, s15
	v_add_u32_e32 v0, s2, v0
	s_add_u32 s13, s4, 8
	s_addc_u32 s14, s5, 0
	s_waitcnt lgkmcnt(0)
	v_cmp_gt_u32_e32 vcc, s12, v0
	s_and_saveexec_b64 s[2:3], vcc
	s_cbranch_execz .LBB133_3
; %bb.1:
	s_load_dwordx2 s[16:17], s[0:1], 0xd68
	s_load_dwordx4 s[4:7], s[0:1], 0xd58
	s_load_dwordx2 s[2:3], s[0:1], 0x0
	s_load_dwordx2 s[18:19], s[0:1], 0xd4c
	s_add_u32 s0, s13, s8
	s_addc_u32 s1, s14, s9
	s_waitcnt lgkmcnt(0)
	s_sub_u32 s7, 0, s8
	s_subb_u32 s8, 0, s9
	s_add_u32 s20, s0, s7
	s_addc_u32 s21, s1, s8
	s_load_dwordx2 s[8:9], s[0:1], 0x0
	s_load_dword s22, s[20:21], 0x300
	s_load_dword s23, s[20:21], 0x200
	s_cmp_eq_u32 s16, 2
	s_load_dword s0, s[10:11], 0x0
	s_mov_b32 s13, s6
	s_waitcnt lgkmcnt(0)
	s_cselect_b32 s14, s22, s19
	v_cvt_f32_u32_e32 v1, s14
	s_cmp_eq_u32 s16, 1
	s_cselect_b32 s11, s22, s18
	v_cvt_f32_u32_e32 v2, s11
	v_rcp_iflag_f32_e32 v1, v1
	s_mul_i32 s15, s0, s15
	s_sub_i32 s0, 0, s14
	v_rcp_iflag_f32_e32 v2, v2
	v_mul_f32_e32 v1, 0x4f7ffffe, v1
	v_cvt_u32_f32_e32 v1, v1
	s_mov_b64 s[6:7], 0
	v_mul_f32_e32 v2, 0x4f7ffffe, v2
	v_cvt_u32_f32_e32 v4, v2
	v_mul_lo_u32 v3, s0, v1
	v_mul_hi_u32 v3, v1, v3
	s_sub_i32 s0, 0, s11
	v_add_u32_e32 v2, v1, v3
	v_mul_lo_u32 v3, s0, v4
	v_mul_hi_u32 v3, v4, v3
	s_mul_i32 s10, s23, s17
	v_mov_b32_e32 v1, 0
	v_add_u32_e32 v3, v4, v3
.LBB133_2:                              ; =>This Inner Loop Header: Depth=1
	v_lshl_add_u64 v[4:5], v[0:1], 1, s[8:9]
	global_load_ushort v8, v[4:5], off
	v_mul_hi_u32 v4, v2, v0
	v_mul_lo_u32 v6, s14, v4
	v_not_b32_e32 v7, v4
	v_sub_u32_e32 v10, v0, v6
	v_add_u32_e32 v9, 1, v4
	v_mad_u64_u32 v[6:7], s[0:1], s14, v7, v[0:1]
	v_cmp_le_u32_e32 vcc, s14, v10
	v_mov_b32_e32 v5, v1
	s_nop 0
	v_cndmask_b32_e32 v4, v4, v9, vcc
	v_cndmask_b32_e32 v6, v10, v6, vcc
	v_add_u32_e32 v7, 1, v4
	v_cmp_le_u32_e32 vcc, s14, v6
	s_nop 1
	v_cndmask_b32_e32 v4, v4, v7, vcc
	v_mul_hi_u32 v6, v4, v3
	v_mul_lo_u32 v9, v6, s11
	v_sub_u32_e32 v9, v4, v9
	v_mul_lo_u32 v7, v4, s14
	v_add_u32_e32 v10, 1, v6
	v_cmp_le_u32_e64 s[0:1], s11, v9
	v_sub_u32_e32 v7, v0, v7
	v_add_u32_e32 v0, s15, v0
	v_cndmask_b32_e64 v6, v6, v10, s[0:1]
	v_subrev_u32_e32 v10, s11, v9
	v_cmp_le_u32_e32 vcc, s12, v0
	v_cndmask_b32_e64 v9, v9, v10, s[0:1]
	s_or_b64 s[6:7], vcc, s[6:7]
	v_add_u32_e32 v10, 1, v6
	v_cmp_le_u32_e32 vcc, s11, v9
	v_mul_lo_u32 v7, v7, s13
	s_nop 0
	v_cndmask_b32_e32 v6, v6, v10, vcc
	v_mul_lo_u32 v9, v6, s11
	v_mul_lo_u32 v6, v6, s4
	v_sub_u32_e32 v4, v4, v9
	v_add_u32_e32 v6, s10, v6
	v_mul_lo_u32 v4, v4, s5
	v_add3_u32 v4, v6, v7, v4
	v_lshl_add_u64 v[4:5], v[4:5], 1, s[2:3]
	s_waitcnt vmcnt(0)
	global_store_short v[4:5], v8, off
	s_andn2_b64 exec, exec, s[6:7]
	s_cbranch_execnz .LBB133_2
.LBB133_3:
	s_endpgm
	.section	.rodata,"a",@progbits
	.p2align	6, 0x0
	.amdhsa_kernel _ZN2at6native12_GLOBAL__N_126CatArrayBatchedCopy_contigINS1_10OpaqueTypeILj2EEEjLi3ELi64ELi64EEEvPT_NS1_25CatArrInputTensorMetadataIS5_T0_XT2_EXT3_EEENS1_16TensorSizeStrideIS8_Lj4EEEiS8_
		.amdhsa_group_segment_fixed_size 0
		.amdhsa_private_segment_fixed_size 0
		.amdhsa_kernarg_size 3696
		.amdhsa_user_sgpr_count 2
		.amdhsa_user_sgpr_dispatch_ptr 0
		.amdhsa_user_sgpr_queue_ptr 0
		.amdhsa_user_sgpr_kernarg_segment_ptr 1
		.amdhsa_user_sgpr_dispatch_id 0
		.amdhsa_user_sgpr_kernarg_preload_length 0
		.amdhsa_user_sgpr_kernarg_preload_offset 0
		.amdhsa_user_sgpr_private_segment_size 0
		.amdhsa_uses_dynamic_stack 0
		.amdhsa_enable_private_segment 0
		.amdhsa_system_sgpr_workgroup_id_x 1
		.amdhsa_system_sgpr_workgroup_id_y 1
		.amdhsa_system_sgpr_workgroup_id_z 0
		.amdhsa_system_sgpr_workgroup_info 0
		.amdhsa_system_vgpr_workitem_id 0
		.amdhsa_next_free_vgpr 11
		.amdhsa_next_free_sgpr 24
		.amdhsa_accum_offset 12
		.amdhsa_reserve_vcc 1
		.amdhsa_float_round_mode_32 0
		.amdhsa_float_round_mode_16_64 0
		.amdhsa_float_denorm_mode_32 3
		.amdhsa_float_denorm_mode_16_64 3
		.amdhsa_dx10_clamp 1
		.amdhsa_ieee_mode 1
		.amdhsa_fp16_overflow 0
		.amdhsa_tg_split 0
		.amdhsa_exception_fp_ieee_invalid_op 0
		.amdhsa_exception_fp_denorm_src 0
		.amdhsa_exception_fp_ieee_div_zero 0
		.amdhsa_exception_fp_ieee_overflow 0
		.amdhsa_exception_fp_ieee_underflow 0
		.amdhsa_exception_fp_ieee_inexact 0
		.amdhsa_exception_int_div_zero 0
	.end_amdhsa_kernel
	.section	.text._ZN2at6native12_GLOBAL__N_126CatArrayBatchedCopy_contigINS1_10OpaqueTypeILj2EEEjLi3ELi64ELi64EEEvPT_NS1_25CatArrInputTensorMetadataIS5_T0_XT2_EXT3_EEENS1_16TensorSizeStrideIS8_Lj4EEEiS8_,"axG",@progbits,_ZN2at6native12_GLOBAL__N_126CatArrayBatchedCopy_contigINS1_10OpaqueTypeILj2EEEjLi3ELi64ELi64EEEvPT_NS1_25CatArrInputTensorMetadataIS5_T0_XT2_EXT3_EEENS1_16TensorSizeStrideIS8_Lj4EEEiS8_,comdat
.Lfunc_end133:
	.size	_ZN2at6native12_GLOBAL__N_126CatArrayBatchedCopy_contigINS1_10OpaqueTypeILj2EEEjLi3ELi64ELi64EEEvPT_NS1_25CatArrInputTensorMetadataIS5_T0_XT2_EXT3_EEENS1_16TensorSizeStrideIS8_Lj4EEEiS8_, .Lfunc_end133-_ZN2at6native12_GLOBAL__N_126CatArrayBatchedCopy_contigINS1_10OpaqueTypeILj2EEEjLi3ELi64ELi64EEEvPT_NS1_25CatArrInputTensorMetadataIS5_T0_XT2_EXT3_EEENS1_16TensorSizeStrideIS8_Lj4EEEiS8_
                                        ; -- End function
	.set _ZN2at6native12_GLOBAL__N_126CatArrayBatchedCopy_contigINS1_10OpaqueTypeILj2EEEjLi3ELi64ELi64EEEvPT_NS1_25CatArrInputTensorMetadataIS5_T0_XT2_EXT3_EEENS1_16TensorSizeStrideIS8_Lj4EEEiS8_.num_vgpr, 11
	.set _ZN2at6native12_GLOBAL__N_126CatArrayBatchedCopy_contigINS1_10OpaqueTypeILj2EEEjLi3ELi64ELi64EEEvPT_NS1_25CatArrInputTensorMetadataIS5_T0_XT2_EXT3_EEENS1_16TensorSizeStrideIS8_Lj4EEEiS8_.num_agpr, 0
	.set _ZN2at6native12_GLOBAL__N_126CatArrayBatchedCopy_contigINS1_10OpaqueTypeILj2EEEjLi3ELi64ELi64EEEvPT_NS1_25CatArrInputTensorMetadataIS5_T0_XT2_EXT3_EEENS1_16TensorSizeStrideIS8_Lj4EEEiS8_.numbered_sgpr, 24
	.set _ZN2at6native12_GLOBAL__N_126CatArrayBatchedCopy_contigINS1_10OpaqueTypeILj2EEEjLi3ELi64ELi64EEEvPT_NS1_25CatArrInputTensorMetadataIS5_T0_XT2_EXT3_EEENS1_16TensorSizeStrideIS8_Lj4EEEiS8_.num_named_barrier, 0
	.set _ZN2at6native12_GLOBAL__N_126CatArrayBatchedCopy_contigINS1_10OpaqueTypeILj2EEEjLi3ELi64ELi64EEEvPT_NS1_25CatArrInputTensorMetadataIS5_T0_XT2_EXT3_EEENS1_16TensorSizeStrideIS8_Lj4EEEiS8_.private_seg_size, 0
	.set _ZN2at6native12_GLOBAL__N_126CatArrayBatchedCopy_contigINS1_10OpaqueTypeILj2EEEjLi3ELi64ELi64EEEvPT_NS1_25CatArrInputTensorMetadataIS5_T0_XT2_EXT3_EEENS1_16TensorSizeStrideIS8_Lj4EEEiS8_.uses_vcc, 1
	.set _ZN2at6native12_GLOBAL__N_126CatArrayBatchedCopy_contigINS1_10OpaqueTypeILj2EEEjLi3ELi64ELi64EEEvPT_NS1_25CatArrInputTensorMetadataIS5_T0_XT2_EXT3_EEENS1_16TensorSizeStrideIS8_Lj4EEEiS8_.uses_flat_scratch, 0
	.set _ZN2at6native12_GLOBAL__N_126CatArrayBatchedCopy_contigINS1_10OpaqueTypeILj2EEEjLi3ELi64ELi64EEEvPT_NS1_25CatArrInputTensorMetadataIS5_T0_XT2_EXT3_EEENS1_16TensorSizeStrideIS8_Lj4EEEiS8_.has_dyn_sized_stack, 0
	.set _ZN2at6native12_GLOBAL__N_126CatArrayBatchedCopy_contigINS1_10OpaqueTypeILj2EEEjLi3ELi64ELi64EEEvPT_NS1_25CatArrInputTensorMetadataIS5_T0_XT2_EXT3_EEENS1_16TensorSizeStrideIS8_Lj4EEEiS8_.has_recursion, 0
	.set _ZN2at6native12_GLOBAL__N_126CatArrayBatchedCopy_contigINS1_10OpaqueTypeILj2EEEjLi3ELi64ELi64EEEvPT_NS1_25CatArrInputTensorMetadataIS5_T0_XT2_EXT3_EEENS1_16TensorSizeStrideIS8_Lj4EEEiS8_.has_indirect_call, 0
	.section	.AMDGPU.csdata,"",@progbits
; Kernel info:
; codeLenInByte = 572
; TotalNumSgprs: 30
; NumVgprs: 11
; NumAgprs: 0
; TotalNumVgprs: 11
; ScratchSize: 0
; MemoryBound: 0
; FloatMode: 240
; IeeeMode: 1
; LDSByteSize: 0 bytes/workgroup (compile time only)
; SGPRBlocks: 3
; VGPRBlocks: 1
; NumSGPRsForWavesPerEU: 30
; NumVGPRsForWavesPerEU: 11
; AccumOffset: 12
; Occupancy: 8
; WaveLimiterHint : 1
; COMPUTE_PGM_RSRC2:SCRATCH_EN: 0
; COMPUTE_PGM_RSRC2:USER_SGPR: 2
; COMPUTE_PGM_RSRC2:TRAP_HANDLER: 0
; COMPUTE_PGM_RSRC2:TGID_X_EN: 1
; COMPUTE_PGM_RSRC2:TGID_Y_EN: 1
; COMPUTE_PGM_RSRC2:TGID_Z_EN: 0
; COMPUTE_PGM_RSRC2:TIDIG_COMP_CNT: 0
; COMPUTE_PGM_RSRC3_GFX90A:ACCUM_OFFSET: 2
; COMPUTE_PGM_RSRC3_GFX90A:TG_SPLIT: 0
	.section	.text._ZN2at6native12_GLOBAL__N_119CatArrayBatchedCopyINS1_10OpaqueTypeILj2EEEjLi3ELi64ELi64EEEvPT_NS1_25CatArrInputTensorMetadataIS5_T0_XT2_EXT3_EEENS1_16TensorSizeStrideIS8_Lj4EEEiS8_,"axG",@progbits,_ZN2at6native12_GLOBAL__N_119CatArrayBatchedCopyINS1_10OpaqueTypeILj2EEEjLi3ELi64ELi64EEEvPT_NS1_25CatArrInputTensorMetadataIS5_T0_XT2_EXT3_EEENS1_16TensorSizeStrideIS8_Lj4EEEiS8_,comdat
	.globl	_ZN2at6native12_GLOBAL__N_119CatArrayBatchedCopyINS1_10OpaqueTypeILj2EEEjLi3ELi64ELi64EEEvPT_NS1_25CatArrInputTensorMetadataIS5_T0_XT2_EXT3_EEENS1_16TensorSizeStrideIS8_Lj4EEEiS8_ ; -- Begin function _ZN2at6native12_GLOBAL__N_119CatArrayBatchedCopyINS1_10OpaqueTypeILj2EEEjLi3ELi64ELi64EEEvPT_NS1_25CatArrInputTensorMetadataIS5_T0_XT2_EXT3_EEENS1_16TensorSizeStrideIS8_Lj4EEEiS8_
	.p2align	8
	.type	_ZN2at6native12_GLOBAL__N_119CatArrayBatchedCopyINS1_10OpaqueTypeILj2EEEjLi3ELi64ELi64EEEvPT_NS1_25CatArrInputTensorMetadataIS5_T0_XT2_EXT3_EEENS1_16TensorSizeStrideIS8_Lj4EEEiS8_,@function
_ZN2at6native12_GLOBAL__N_119CatArrayBatchedCopyINS1_10OpaqueTypeILj2EEEjLi3ELi64ELi64EEEvPT_NS1_25CatArrInputTensorMetadataIS5_T0_XT2_EXT3_EEENS1_16TensorSizeStrideIS8_Lj4EEEiS8_: ; @_ZN2at6native12_GLOBAL__N_119CatArrayBatchedCopyINS1_10OpaqueTypeILj2EEEjLi3ELi64ELi64EEEvPT_NS1_25CatArrInputTensorMetadataIS5_T0_XT2_EXT3_EEENS1_16TensorSizeStrideIS8_Lj4EEEiS8_
; %bb.0:
	s_load_dword s4, s[0:1], 0xd7c
	s_mov_b32 s8, s3
	s_or_b32 s3, s0, 8
	s_add_u32 s10, s0, 0xd70
	s_mov_b32 s9, 0
	s_addc_u32 s11, s1, 0
	s_waitcnt lgkmcnt(0)
	s_and_b32 s17, s4, 0xffff
	s_lshl_b64 s[14:15], s[8:9], 2
	s_add_u32 s4, s3, s14
	s_addc_u32 s5, s1, s15
	s_load_dword s16, s[4:5], 0x400
	s_mul_i32 s2, s2, s17
	v_add_u32_e32 v0, s2, v0
	s_waitcnt lgkmcnt(0)
	v_cmp_gt_u32_e32 vcc, s16, v0
	s_and_saveexec_b64 s[12:13], vcc
	s_cbranch_execz .LBB134_5
; %bb.1:
	s_mul_i32 s7, s8, 28
	s_mul_hi_u32 s2, s8, 28
	s_add_u32 s18, s4, s7
	s_addc_u32 s19, s5, s2
	s_add_u32 s20, s3, s8
	s_addc_u32 s21, s1, 0
	v_mov_b32_e32 v1, 0
	global_load_ubyte v2, v1, s[20:21] offset:1280
	s_load_dwordx2 s[22:23], s[0:1], 0xd68
	s_load_dwordx4 s[4:7], s[0:1], 0xd58
	s_load_dwordx2 s[2:3], s[0:1], 0x0
	s_load_dwordx2 s[24:25], s[0:1], 0xd4c
	s_waitcnt lgkmcnt(0)
	s_load_dword s7, s[10:11], 0x0
                                        ; kill: killed $sgpr0 killed $sgpr1
                                        ; kill: killed $sgpr10 killed $sgpr11
	s_mul_hi_u32 s26, s8, 7
	s_mul_i32 s27, s8, 7
	s_load_dwordx2 s[0:1], s[18:19], 0x544
	s_load_dwordx4 s[8:11], s[18:19], 0x550
	s_mov_b64 s[12:13], 0
	s_waitcnt lgkmcnt(0)
	s_mul_i32 s7, s7, s17
	s_waitcnt vmcnt(0)
	v_and_b32_e32 v2, 1, v2
	v_cmp_eq_u32_e32 vcc, 1, v2
	s_xor_b64 s[18:19], vcc, -1
	s_add_u32 s20, s20, s27
	s_addc_u32 s21, s21, s26
	s_sub_u32 s11, 0, s14
	s_subb_u32 s14, 0, s15
	s_add_u32 s26, s20, s11
	s_addc_u32 s27, s21, s14
	s_load_dwordx2 s[14:15], s[20:21], 0x0
	s_load_dword s11, s[26:27], 0x200
	s_load_dword s28, s[26:27], 0x300
	s_cmp_eq_u32 s22, 2
	v_cndmask_b32_e64 v2, 0, 1, s[18:19]
	s_waitcnt lgkmcnt(0)
	s_mul_i32 s11, s11, s23
	s_cselect_b32 s17, s28, s25
	s_cselect_b32 s18, s28, s1
	s_cmp_eq_u32 s22, 1
	s_cselect_b32 s19, s28, s24
	s_cselect_b32 s20, s28, s0
	v_cvt_f32_u32_e32 v3, s17
	v_cvt_f32_u32_e32 v4, s18
	v_cvt_f32_u32_e32 v5, s19
	v_cvt_f32_u32_e32 v6, s20
	v_rcp_iflag_f32_e32 v3, v3
	v_rcp_iflag_f32_e32 v4, v4
	;; [unrolled: 1-line block ×4, first 2 shown]
	v_mul_f32_e32 v3, 0x4f7ffffe, v3
	v_mul_f32_e32 v4, 0x4f7ffffe, v4
	v_cvt_u32_f32_e32 v3, v3
	v_mul_f32_e32 v5, 0x4f7ffffe, v5
	v_cvt_u32_f32_e32 v7, v4
	;; [unrolled: 2-line block ×3, first 2 shown]
	v_cvt_u32_f32_e32 v8, v4
	s_sub_i32 s21, 0, s17
	s_sub_i32 s22, 0, s18
	;; [unrolled: 1-line block ×4, first 2 shown]
	v_mul_lo_u32 v4, s21, v3
	v_mul_lo_u32 v5, s22, v7
	v_mul_hi_u32 v4, v3, v4
	v_mul_lo_u32 v9, s0, v6
	v_mul_hi_u32 v5, v7, v5
	v_mul_lo_u32 v10, s1, v8
	v_add_u32_e32 v4, v3, v4
	v_mul_hi_u32 v3, v6, v9
	v_add_u32_e32 v5, v7, v5
	v_mul_hi_u32 v7, v8, v10
	v_add_u32_e32 v6, v6, v3
	v_add_u32_e32 v7, v8, v7
	v_cmp_ne_u32_e64 s[0:1], 1, v2
	s_branch .LBB134_3
.LBB134_2:                              ;   in Loop: Header=BB134_3 Depth=1
	v_lshl_add_u64 v[2:3], v[2:3], 1, s[14:15]
	global_load_ushort v10, v[2:3], off
	v_mul_hi_u32 v8, v4, v0
	v_mad_u64_u32 v[2:3], s[24:25], s21, v8, v[0:1]
	v_not_b32_e32 v9, v8
	v_add_u32_e32 v3, 1, v8
	v_cmp_le_u32_e32 vcc, s17, v2
	s_nop 1
	v_cndmask_b32_e32 v3, v8, v3, vcc
	v_mad_u64_u32 v[8:9], s[24:25], s17, v9, v[0:1]
	v_cndmask_b32_e32 v2, v2, v8, vcc
	v_add_u32_e32 v8, 1, v3
	v_cmp_le_u32_e32 vcc, s17, v2
	s_nop 1
	v_cndmask_b32_e32 v8, v3, v8, vcc
	v_mad_u64_u32 v[2:3], s[24:25], s21, v8, v[0:1]
	v_mul_hi_u32 v3, v8, v6
	v_mul_lo_u32 v9, v3, s19
	v_sub_u32_e32 v9, v8, v9
	v_add_u32_e32 v11, 1, v3
	v_cmp_le_u32_e32 vcc, s19, v9
	v_add_u32_e32 v0, s7, v0
	s_nop 0
	v_cndmask_b32_e32 v3, v3, v11, vcc
	v_subrev_u32_e32 v11, s19, v9
	v_cndmask_b32_e32 v9, v9, v11, vcc
	v_add_u32_e32 v11, 1, v3
	v_cmp_le_u32_e32 vcc, s19, v9
	s_nop 1
	v_cndmask_b32_e32 v3, v3, v11, vcc
	v_mul_lo_u32 v9, v3, s19
	v_sub_u32_e32 v8, v8, v9
	v_mul_lo_u32 v9, v8, s5
	v_mul_lo_u32 v8, v3, s4
	v_mad_u64_u32 v[2:3], s[24:25], v2, s6, v[8:9]
	v_add3_u32 v2, v2, v9, s11
	v_mov_b32_e32 v3, v1
	v_cmp_le_u32_e32 vcc, s16, v0
	v_lshl_add_u64 v[2:3], v[2:3], 1, s[2:3]
	s_or_b64 s[12:13], vcc, s[12:13]
	s_waitcnt vmcnt(0)
	global_store_short v[2:3], v10, off
	s_andn2_b64 exec, exec, s[12:13]
	s_cbranch_execz .LBB134_5
.LBB134_3:                              ; =>This Inner Loop Header: Depth=1
	s_and_b64 vcc, exec, s[0:1]
	v_mov_b64_e32 v[2:3], v[0:1]
	s_cbranch_vccnz .LBB134_2
; %bb.4:                                ;   in Loop: Header=BB134_3 Depth=1
	v_mul_hi_u32 v8, v5, v0
	v_mad_u64_u32 v[2:3], s[24:25], s22, v8, v[0:1]
	v_not_b32_e32 v9, v8
	v_add_u32_e32 v3, 1, v8
	v_cmp_le_u32_e32 vcc, s18, v2
	s_nop 1
	v_cndmask_b32_e32 v3, v8, v3, vcc
	v_mad_u64_u32 v[8:9], s[24:25], s18, v9, v[0:1]
	v_cndmask_b32_e32 v2, v2, v8, vcc
	v_add_u32_e32 v8, 1, v3
	v_cmp_le_u32_e32 vcc, s18, v2
	s_nop 1
	v_cndmask_b32_e32 v8, v3, v8, vcc
	v_mad_u64_u32 v[2:3], s[24:25], s22, v8, v[0:1]
	v_mul_hi_u32 v3, v8, v7
	v_mul_lo_u32 v9, v3, s20
	v_sub_u32_e32 v9, v8, v9
	v_add_u32_e32 v10, 1, v3
	v_cmp_le_u32_e32 vcc, s20, v9
	v_mul_lo_u32 v2, v2, s10
	s_nop 0
	v_cndmask_b32_e32 v3, v3, v10, vcc
	v_subrev_u32_e32 v10, s20, v9
	v_cndmask_b32_e32 v9, v9, v10, vcc
	v_add_u32_e32 v10, 1, v3
	v_cmp_le_u32_e32 vcc, s20, v9
	s_nop 1
	v_cndmask_b32_e32 v3, v3, v10, vcc
	v_mul_lo_u32 v9, v3, s20
	v_sub_u32_e32 v8, v8, v9
	v_mul_lo_u32 v8, v8, s9
	v_mul_lo_u32 v3, v3, s8
	v_add3_u32 v2, v2, v3, v8
	v_mov_b32_e32 v3, v1
	s_branch .LBB134_2
.LBB134_5:
	s_endpgm
	.section	.rodata,"a",@progbits
	.p2align	6, 0x0
	.amdhsa_kernel _ZN2at6native12_GLOBAL__N_119CatArrayBatchedCopyINS1_10OpaqueTypeILj2EEEjLi3ELi64ELi64EEEvPT_NS1_25CatArrInputTensorMetadataIS5_T0_XT2_EXT3_EEENS1_16TensorSizeStrideIS8_Lj4EEEiS8_
		.amdhsa_group_segment_fixed_size 0
		.amdhsa_private_segment_fixed_size 0
		.amdhsa_kernarg_size 3696
		.amdhsa_user_sgpr_count 2
		.amdhsa_user_sgpr_dispatch_ptr 0
		.amdhsa_user_sgpr_queue_ptr 0
		.amdhsa_user_sgpr_kernarg_segment_ptr 1
		.amdhsa_user_sgpr_dispatch_id 0
		.amdhsa_user_sgpr_kernarg_preload_length 0
		.amdhsa_user_sgpr_kernarg_preload_offset 0
		.amdhsa_user_sgpr_private_segment_size 0
		.amdhsa_uses_dynamic_stack 0
		.amdhsa_enable_private_segment 0
		.amdhsa_system_sgpr_workgroup_id_x 1
		.amdhsa_system_sgpr_workgroup_id_y 1
		.amdhsa_system_sgpr_workgroup_id_z 0
		.amdhsa_system_sgpr_workgroup_info 0
		.amdhsa_system_vgpr_workitem_id 0
		.amdhsa_next_free_vgpr 12
		.amdhsa_next_free_sgpr 29
		.amdhsa_accum_offset 12
		.amdhsa_reserve_vcc 1
		.amdhsa_float_round_mode_32 0
		.amdhsa_float_round_mode_16_64 0
		.amdhsa_float_denorm_mode_32 3
		.amdhsa_float_denorm_mode_16_64 3
		.amdhsa_dx10_clamp 1
		.amdhsa_ieee_mode 1
		.amdhsa_fp16_overflow 0
		.amdhsa_tg_split 0
		.amdhsa_exception_fp_ieee_invalid_op 0
		.amdhsa_exception_fp_denorm_src 0
		.amdhsa_exception_fp_ieee_div_zero 0
		.amdhsa_exception_fp_ieee_overflow 0
		.amdhsa_exception_fp_ieee_underflow 0
		.amdhsa_exception_fp_ieee_inexact 0
		.amdhsa_exception_int_div_zero 0
	.end_amdhsa_kernel
	.section	.text._ZN2at6native12_GLOBAL__N_119CatArrayBatchedCopyINS1_10OpaqueTypeILj2EEEjLi3ELi64ELi64EEEvPT_NS1_25CatArrInputTensorMetadataIS5_T0_XT2_EXT3_EEENS1_16TensorSizeStrideIS8_Lj4EEEiS8_,"axG",@progbits,_ZN2at6native12_GLOBAL__N_119CatArrayBatchedCopyINS1_10OpaqueTypeILj2EEEjLi3ELi64ELi64EEEvPT_NS1_25CatArrInputTensorMetadataIS5_T0_XT2_EXT3_EEENS1_16TensorSizeStrideIS8_Lj4EEEiS8_,comdat
.Lfunc_end134:
	.size	_ZN2at6native12_GLOBAL__N_119CatArrayBatchedCopyINS1_10OpaqueTypeILj2EEEjLi3ELi64ELi64EEEvPT_NS1_25CatArrInputTensorMetadataIS5_T0_XT2_EXT3_EEENS1_16TensorSizeStrideIS8_Lj4EEEiS8_, .Lfunc_end134-_ZN2at6native12_GLOBAL__N_119CatArrayBatchedCopyINS1_10OpaqueTypeILj2EEEjLi3ELi64ELi64EEEvPT_NS1_25CatArrInputTensorMetadataIS5_T0_XT2_EXT3_EEENS1_16TensorSizeStrideIS8_Lj4EEEiS8_
                                        ; -- End function
	.set _ZN2at6native12_GLOBAL__N_119CatArrayBatchedCopyINS1_10OpaqueTypeILj2EEEjLi3ELi64ELi64EEEvPT_NS1_25CatArrInputTensorMetadataIS5_T0_XT2_EXT3_EEENS1_16TensorSizeStrideIS8_Lj4EEEiS8_.num_vgpr, 12
	.set _ZN2at6native12_GLOBAL__N_119CatArrayBatchedCopyINS1_10OpaqueTypeILj2EEEjLi3ELi64ELi64EEEvPT_NS1_25CatArrInputTensorMetadataIS5_T0_XT2_EXT3_EEENS1_16TensorSizeStrideIS8_Lj4EEEiS8_.num_agpr, 0
	.set _ZN2at6native12_GLOBAL__N_119CatArrayBatchedCopyINS1_10OpaqueTypeILj2EEEjLi3ELi64ELi64EEEvPT_NS1_25CatArrInputTensorMetadataIS5_T0_XT2_EXT3_EEENS1_16TensorSizeStrideIS8_Lj4EEEiS8_.numbered_sgpr, 29
	.set _ZN2at6native12_GLOBAL__N_119CatArrayBatchedCopyINS1_10OpaqueTypeILj2EEEjLi3ELi64ELi64EEEvPT_NS1_25CatArrInputTensorMetadataIS5_T0_XT2_EXT3_EEENS1_16TensorSizeStrideIS8_Lj4EEEiS8_.num_named_barrier, 0
	.set _ZN2at6native12_GLOBAL__N_119CatArrayBatchedCopyINS1_10OpaqueTypeILj2EEEjLi3ELi64ELi64EEEvPT_NS1_25CatArrInputTensorMetadataIS5_T0_XT2_EXT3_EEENS1_16TensorSizeStrideIS8_Lj4EEEiS8_.private_seg_size, 0
	.set _ZN2at6native12_GLOBAL__N_119CatArrayBatchedCopyINS1_10OpaqueTypeILj2EEEjLi3ELi64ELi64EEEvPT_NS1_25CatArrInputTensorMetadataIS5_T0_XT2_EXT3_EEENS1_16TensorSizeStrideIS8_Lj4EEEiS8_.uses_vcc, 1
	.set _ZN2at6native12_GLOBAL__N_119CatArrayBatchedCopyINS1_10OpaqueTypeILj2EEEjLi3ELi64ELi64EEEvPT_NS1_25CatArrInputTensorMetadataIS5_T0_XT2_EXT3_EEENS1_16TensorSizeStrideIS8_Lj4EEEiS8_.uses_flat_scratch, 0
	.set _ZN2at6native12_GLOBAL__N_119CatArrayBatchedCopyINS1_10OpaqueTypeILj2EEEjLi3ELi64ELi64EEEvPT_NS1_25CatArrInputTensorMetadataIS5_T0_XT2_EXT3_EEENS1_16TensorSizeStrideIS8_Lj4EEEiS8_.has_dyn_sized_stack, 0
	.set _ZN2at6native12_GLOBAL__N_119CatArrayBatchedCopyINS1_10OpaqueTypeILj2EEEjLi3ELi64ELi64EEEvPT_NS1_25CatArrInputTensorMetadataIS5_T0_XT2_EXT3_EEENS1_16TensorSizeStrideIS8_Lj4EEEiS8_.has_recursion, 0
	.set _ZN2at6native12_GLOBAL__N_119CatArrayBatchedCopyINS1_10OpaqueTypeILj2EEEjLi3ELi64ELi64EEEvPT_NS1_25CatArrInputTensorMetadataIS5_T0_XT2_EXT3_EEENS1_16TensorSizeStrideIS8_Lj4EEEiS8_.has_indirect_call, 0
	.section	.AMDGPU.csdata,"",@progbits
; Kernel info:
; codeLenInByte = 932
; TotalNumSgprs: 35
; NumVgprs: 12
; NumAgprs: 0
; TotalNumVgprs: 12
; ScratchSize: 0
; MemoryBound: 0
; FloatMode: 240
; IeeeMode: 1
; LDSByteSize: 0 bytes/workgroup (compile time only)
; SGPRBlocks: 4
; VGPRBlocks: 1
; NumSGPRsForWavesPerEU: 35
; NumVGPRsForWavesPerEU: 12
; AccumOffset: 12
; Occupancy: 8
; WaveLimiterHint : 1
; COMPUTE_PGM_RSRC2:SCRATCH_EN: 0
; COMPUTE_PGM_RSRC2:USER_SGPR: 2
; COMPUTE_PGM_RSRC2:TRAP_HANDLER: 0
; COMPUTE_PGM_RSRC2:TGID_X_EN: 1
; COMPUTE_PGM_RSRC2:TGID_Y_EN: 1
; COMPUTE_PGM_RSRC2:TGID_Z_EN: 0
; COMPUTE_PGM_RSRC2:TIDIG_COMP_CNT: 0
; COMPUTE_PGM_RSRC3_GFX90A:ACCUM_OFFSET: 2
; COMPUTE_PGM_RSRC3_GFX90A:TG_SPLIT: 0
	.section	.text._ZN2at6native12_GLOBAL__N_130CatArrayBatchedCopy_vectorizedINS1_10OpaqueTypeILj2EEEjLi4ELi64ELi64ELi16ELi8EEEvPcNS1_25CatArrInputTensorMetadataIT_T0_XT2_EXT3_EEENS1_16TensorSizeStrideIS8_Lj4EEEiS8_,"axG",@progbits,_ZN2at6native12_GLOBAL__N_130CatArrayBatchedCopy_vectorizedINS1_10OpaqueTypeILj2EEEjLi4ELi64ELi64ELi16ELi8EEEvPcNS1_25CatArrInputTensorMetadataIT_T0_XT2_EXT3_EEENS1_16TensorSizeStrideIS8_Lj4EEEiS8_,comdat
	.globl	_ZN2at6native12_GLOBAL__N_130CatArrayBatchedCopy_vectorizedINS1_10OpaqueTypeILj2EEEjLi4ELi64ELi64ELi16ELi8EEEvPcNS1_25CatArrInputTensorMetadataIT_T0_XT2_EXT3_EEENS1_16TensorSizeStrideIS8_Lj4EEEiS8_ ; -- Begin function _ZN2at6native12_GLOBAL__N_130CatArrayBatchedCopy_vectorizedINS1_10OpaqueTypeILj2EEEjLi4ELi64ELi64ELi16ELi8EEEvPcNS1_25CatArrInputTensorMetadataIT_T0_XT2_EXT3_EEENS1_16TensorSizeStrideIS8_Lj4EEEiS8_
	.p2align	8
	.type	_ZN2at6native12_GLOBAL__N_130CatArrayBatchedCopy_vectorizedINS1_10OpaqueTypeILj2EEEjLi4ELi64ELi64ELi16ELi8EEEvPcNS1_25CatArrInputTensorMetadataIT_T0_XT2_EXT3_EEENS1_16TensorSizeStrideIS8_Lj4EEEiS8_,@function
_ZN2at6native12_GLOBAL__N_130CatArrayBatchedCopy_vectorizedINS1_10OpaqueTypeILj2EEEjLi4ELi64ELi64ELi16ELi8EEEvPcNS1_25CatArrInputTensorMetadataIT_T0_XT2_EXT3_EEENS1_16TensorSizeStrideIS8_Lj4EEEiS8_: ; @_ZN2at6native12_GLOBAL__N_130CatArrayBatchedCopy_vectorizedINS1_10OpaqueTypeILj2EEEjLi4ELi64ELi64ELi16ELi8EEEvPcNS1_25CatArrInputTensorMetadataIT_T0_XT2_EXT3_EEENS1_16TensorSizeStrideIS8_Lj4EEEiS8_
; %bb.0:
	s_mov_b32 s12, s3
	s_load_dword s3, s[0:1], 0xd7c
	s_add_u32 s14, s0, 0xd70
	s_mov_b32 s13, 0
	s_addc_u32 s15, s1, 0
	s_lshl_b64 s[16:17], s[12:13], 2
	s_waitcnt lgkmcnt(0)
	s_and_b32 s19, s3, 0xffff
	s_add_u32 s4, s0, s16
	s_addc_u32 s5, s1, s17
	s_load_dword s6, s[4:5], 0x408
	s_mul_i32 s2, s2, s19
	v_add_u32_e32 v0, s2, v0
	s_add_u32 s2, s4, 8
	s_addc_u32 s3, s5, 0
	s_waitcnt lgkmcnt(0)
	s_lshr_b32 s18, s6, 3
	v_cmp_gt_u32_e32 vcc, s18, v0
	s_and_saveexec_b64 s[4:5], vcc
	s_cbranch_execz .LBB135_3
; %bb.1:
	s_add_u32 s2, s2, s16
	s_addc_u32 s3, s3, s17
	s_load_dwordx4 s[4:7], s[0:1], 0xd58
	s_load_dwordx2 s[20:21], s[0:1], 0xd68
	s_load_dwordx2 s[22:23], s[0:1], 0x0
	s_load_dwordx4 s[8:11], s[0:1], 0xd4c
	s_sub_u32 s0, 0, s16
	s_subb_u32 s1, 0, s17
	s_add_u32 s16, s2, s0
	s_addc_u32 s17, s3, s1
	s_waitcnt lgkmcnt(0)
	s_load_dword s11, s[16:17], 0x200
	s_load_dwordx2 s[0:1], s[2:3], 0x0
	s_load_dword s24, s[16:17], 0x300
	s_load_dword s25, s[14:15], 0x0
	s_mov_b64 s[2:3], 0
	s_waitcnt lgkmcnt(0)
	s_mul_i32 s11, s11, s21
	s_lshr_b32 s12, s11, 3
	s_mul_i32 s24, s24, s21
	s_lshr_b32 s16, s24, 3
	s_lshl_b64 s[14:15], s[12:13], 4
	s_cmp_eq_u32 s20, 3
	s_cselect_b32 s10, s16, s10
	v_cvt_f32_u32_e32 v1, s10
	s_cmp_eq_u32 s20, 2
	s_cselect_b32 s12, s16, s9
	s_cmp_eq_u32 s20, 1
	v_rcp_iflag_f32_e32 v1, v1
	v_cvt_f32_u32_e32 v2, s12
	s_cselect_b32 s13, s16, s8
	s_add_u32 s8, s22, s14
	v_mul_f32_e32 v1, 0x4f7ffffe, v1
	v_cvt_u32_f32_e32 v1, v1
	s_addc_u32 s9, s23, s15
	s_sub_i32 s14, 0, s10
	v_rcp_iflag_f32_e32 v4, v2
	v_mul_lo_u32 v3, s14, v1
	v_mul_hi_u32 v2, v1, v3
	v_cvt_f32_u32_e32 v3, s13
	v_add_u32_e32 v2, v1, v2
	v_mul_f32_e32 v1, 0x4f7ffffe, v4
	v_cvt_u32_f32_e32 v4, v1
	v_rcp_iflag_f32_e32 v3, v3
	s_sub_i32 s15, 0, s12
	s_mul_i32 s11, s25, s19
	v_mul_lo_u32 v5, s15, v4
	v_mul_f32_e32 v3, 0x4f7ffffe, v3
	v_cvt_u32_f32_e32 v6, v3
	v_mul_hi_u32 v3, v4, v5
	s_sub_i32 s15, 0, s13
	v_add_u32_e32 v3, v4, v3
	v_mul_lo_u32 v4, s15, v6
	v_mul_hi_u32 v4, v6, v4
	v_mov_b32_e32 v1, 0
	v_add_u32_e32 v4, v6, v4
.LBB135_2:                              ; =>This Inner Loop Header: Depth=1
	v_lshl_add_u64 v[6:7], v[0:1], 4, s[0:1]
	global_load_dwordx4 v[6:9], v[6:7], off
	v_mul_hi_u32 v5, v2, v0
	v_mul_lo_u32 v10, s10, v5
	v_not_b32_e32 v12, v5
	v_sub_u32_e32 v10, v0, v10
	v_add_u32_e32 v14, 1, v5
	v_mad_u64_u32 v[12:13], s[16:17], s10, v12, v[0:1]
	v_cmp_le_u32_e32 vcc, s10, v10
	v_mov_b32_e32 v11, v1
	s_nop 0
	v_cndmask_b32_e32 v5, v5, v14, vcc
	v_cndmask_b32_e32 v10, v10, v12, vcc
	v_add_u32_e32 v12, 1, v5
	v_cmp_le_u32_e32 vcc, s10, v10
	s_nop 1
	v_cndmask_b32_e32 v5, v5, v12, vcc
	v_mul_hi_u32 v14, v5, v3
	v_mad_u64_u32 v[12:13], s[16:17], s14, v5, v[0:1]
	v_add_u32_e32 v0, s11, v0
	v_mul_lo_u32 v13, v14, s12
	v_mul_lo_u32 v10, v12, s7
	v_cmp_le_u32_e32 vcc, s18, v0
	v_sub_u32_e32 v12, v5, v13
	v_add_u32_e32 v15, 1, v14
	s_or_b64 s[2:3], vcc, s[2:3]
	v_cmp_le_u32_e32 vcc, s12, v12
	s_nop 1
	v_cndmask_b32_e32 v13, v14, v15, vcc
	v_subrev_u32_e32 v14, s12, v12
	v_cndmask_b32_e32 v12, v12, v14, vcc
	v_add_u32_e32 v14, 1, v13
	v_cmp_le_u32_e32 vcc, s12, v12
	s_nop 1
	v_cndmask_b32_e32 v14, v13, v14, vcc
	v_mul_lo_u32 v12, v14, s12
	v_mul_hi_u32 v13, v14, v4
	v_sub_u32_e32 v5, v5, v12
	v_mul_lo_u32 v12, v13, s13
	v_sub_u32_e32 v12, v14, v12
	v_add_u32_e32 v15, 1, v13
	v_cmp_le_u32_e32 vcc, s13, v12
	v_mul_lo_u32 v5, v5, s6
	s_nop 0
	v_cndmask_b32_e32 v13, v13, v15, vcc
	v_subrev_u32_e32 v15, s13, v12
	v_cndmask_b32_e32 v12, v12, v15, vcc
	v_add_u32_e32 v15, 1, v13
	v_cmp_le_u32_e32 vcc, s13, v12
	s_nop 1
	v_cndmask_b32_e32 v12, v13, v15, vcc
	v_mul_lo_u32 v15, v12, s13
	v_mad_u64_u32 v[12:13], s[16:17], v12, s4, v[10:11]
	v_sub_u32_e32 v10, v14, v15
	v_mul_lo_u32 v10, v10, s5
	v_add3_u32 v10, v12, v5, v10
	v_lshl_add_u64 v[10:11], v[10:11], 4, s[8:9]
	s_waitcnt vmcnt(0)
	global_store_dwordx4 v[10:11], v[6:9], off
	s_andn2_b64 exec, exec, s[2:3]
	s_cbranch_execnz .LBB135_2
.LBB135_3:
	s_endpgm
	.section	.rodata,"a",@progbits
	.p2align	6, 0x0
	.amdhsa_kernel _ZN2at6native12_GLOBAL__N_130CatArrayBatchedCopy_vectorizedINS1_10OpaqueTypeILj2EEEjLi4ELi64ELi64ELi16ELi8EEEvPcNS1_25CatArrInputTensorMetadataIT_T0_XT2_EXT3_EEENS1_16TensorSizeStrideIS8_Lj4EEEiS8_
		.amdhsa_group_segment_fixed_size 0
		.amdhsa_private_segment_fixed_size 0
		.amdhsa_kernarg_size 3696
		.amdhsa_user_sgpr_count 2
		.amdhsa_user_sgpr_dispatch_ptr 0
		.amdhsa_user_sgpr_queue_ptr 0
		.amdhsa_user_sgpr_kernarg_segment_ptr 1
		.amdhsa_user_sgpr_dispatch_id 0
		.amdhsa_user_sgpr_kernarg_preload_length 0
		.amdhsa_user_sgpr_kernarg_preload_offset 0
		.amdhsa_user_sgpr_private_segment_size 0
		.amdhsa_uses_dynamic_stack 0
		.amdhsa_enable_private_segment 0
		.amdhsa_system_sgpr_workgroup_id_x 1
		.amdhsa_system_sgpr_workgroup_id_y 1
		.amdhsa_system_sgpr_workgroup_id_z 0
		.amdhsa_system_sgpr_workgroup_info 0
		.amdhsa_system_vgpr_workitem_id 0
		.amdhsa_next_free_vgpr 16
		.amdhsa_next_free_sgpr 26
		.amdhsa_accum_offset 16
		.amdhsa_reserve_vcc 1
		.amdhsa_float_round_mode_32 0
		.amdhsa_float_round_mode_16_64 0
		.amdhsa_float_denorm_mode_32 3
		.amdhsa_float_denorm_mode_16_64 3
		.amdhsa_dx10_clamp 1
		.amdhsa_ieee_mode 1
		.amdhsa_fp16_overflow 0
		.amdhsa_tg_split 0
		.amdhsa_exception_fp_ieee_invalid_op 0
		.amdhsa_exception_fp_denorm_src 0
		.amdhsa_exception_fp_ieee_div_zero 0
		.amdhsa_exception_fp_ieee_overflow 0
		.amdhsa_exception_fp_ieee_underflow 0
		.amdhsa_exception_fp_ieee_inexact 0
		.amdhsa_exception_int_div_zero 0
	.end_amdhsa_kernel
	.section	.text._ZN2at6native12_GLOBAL__N_130CatArrayBatchedCopy_vectorizedINS1_10OpaqueTypeILj2EEEjLi4ELi64ELi64ELi16ELi8EEEvPcNS1_25CatArrInputTensorMetadataIT_T0_XT2_EXT3_EEENS1_16TensorSizeStrideIS8_Lj4EEEiS8_,"axG",@progbits,_ZN2at6native12_GLOBAL__N_130CatArrayBatchedCopy_vectorizedINS1_10OpaqueTypeILj2EEEjLi4ELi64ELi64ELi16ELi8EEEvPcNS1_25CatArrInputTensorMetadataIT_T0_XT2_EXT3_EEENS1_16TensorSizeStrideIS8_Lj4EEEiS8_,comdat
.Lfunc_end135:
	.size	_ZN2at6native12_GLOBAL__N_130CatArrayBatchedCopy_vectorizedINS1_10OpaqueTypeILj2EEEjLi4ELi64ELi64ELi16ELi8EEEvPcNS1_25CatArrInputTensorMetadataIT_T0_XT2_EXT3_EEENS1_16TensorSizeStrideIS8_Lj4EEEiS8_, .Lfunc_end135-_ZN2at6native12_GLOBAL__N_130CatArrayBatchedCopy_vectorizedINS1_10OpaqueTypeILj2EEEjLi4ELi64ELi64ELi16ELi8EEEvPcNS1_25CatArrInputTensorMetadataIT_T0_XT2_EXT3_EEENS1_16TensorSizeStrideIS8_Lj4EEEiS8_
                                        ; -- End function
	.set _ZN2at6native12_GLOBAL__N_130CatArrayBatchedCopy_vectorizedINS1_10OpaqueTypeILj2EEEjLi4ELi64ELi64ELi16ELi8EEEvPcNS1_25CatArrInputTensorMetadataIT_T0_XT2_EXT3_EEENS1_16TensorSizeStrideIS8_Lj4EEEiS8_.num_vgpr, 16
	.set _ZN2at6native12_GLOBAL__N_130CatArrayBatchedCopy_vectorizedINS1_10OpaqueTypeILj2EEEjLi4ELi64ELi64ELi16ELi8EEEvPcNS1_25CatArrInputTensorMetadataIT_T0_XT2_EXT3_EEENS1_16TensorSizeStrideIS8_Lj4EEEiS8_.num_agpr, 0
	.set _ZN2at6native12_GLOBAL__N_130CatArrayBatchedCopy_vectorizedINS1_10OpaqueTypeILj2EEEjLi4ELi64ELi64ELi16ELi8EEEvPcNS1_25CatArrInputTensorMetadataIT_T0_XT2_EXT3_EEENS1_16TensorSizeStrideIS8_Lj4EEEiS8_.numbered_sgpr, 26
	.set _ZN2at6native12_GLOBAL__N_130CatArrayBatchedCopy_vectorizedINS1_10OpaqueTypeILj2EEEjLi4ELi64ELi64ELi16ELi8EEEvPcNS1_25CatArrInputTensorMetadataIT_T0_XT2_EXT3_EEENS1_16TensorSizeStrideIS8_Lj4EEEiS8_.num_named_barrier, 0
	.set _ZN2at6native12_GLOBAL__N_130CatArrayBatchedCopy_vectorizedINS1_10OpaqueTypeILj2EEEjLi4ELi64ELi64ELi16ELi8EEEvPcNS1_25CatArrInputTensorMetadataIT_T0_XT2_EXT3_EEENS1_16TensorSizeStrideIS8_Lj4EEEiS8_.private_seg_size, 0
	.set _ZN2at6native12_GLOBAL__N_130CatArrayBatchedCopy_vectorizedINS1_10OpaqueTypeILj2EEEjLi4ELi64ELi64ELi16ELi8EEEvPcNS1_25CatArrInputTensorMetadataIT_T0_XT2_EXT3_EEENS1_16TensorSizeStrideIS8_Lj4EEEiS8_.uses_vcc, 1
	.set _ZN2at6native12_GLOBAL__N_130CatArrayBatchedCopy_vectorizedINS1_10OpaqueTypeILj2EEEjLi4ELi64ELi64ELi16ELi8EEEvPcNS1_25CatArrInputTensorMetadataIT_T0_XT2_EXT3_EEENS1_16TensorSizeStrideIS8_Lj4EEEiS8_.uses_flat_scratch, 0
	.set _ZN2at6native12_GLOBAL__N_130CatArrayBatchedCopy_vectorizedINS1_10OpaqueTypeILj2EEEjLi4ELi64ELi64ELi16ELi8EEEvPcNS1_25CatArrInputTensorMetadataIT_T0_XT2_EXT3_EEENS1_16TensorSizeStrideIS8_Lj4EEEiS8_.has_dyn_sized_stack, 0
	.set _ZN2at6native12_GLOBAL__N_130CatArrayBatchedCopy_vectorizedINS1_10OpaqueTypeILj2EEEjLi4ELi64ELi64ELi16ELi8EEEvPcNS1_25CatArrInputTensorMetadataIT_T0_XT2_EXT3_EEENS1_16TensorSizeStrideIS8_Lj4EEEiS8_.has_recursion, 0
	.set _ZN2at6native12_GLOBAL__N_130CatArrayBatchedCopy_vectorizedINS1_10OpaqueTypeILj2EEEjLi4ELi64ELi64ELi16ELi8EEEvPcNS1_25CatArrInputTensorMetadataIT_T0_XT2_EXT3_EEENS1_16TensorSizeStrideIS8_Lj4EEEiS8_.has_indirect_call, 0
	.section	.AMDGPU.csdata,"",@progbits
; Kernel info:
; codeLenInByte = 712
; TotalNumSgprs: 32
; NumVgprs: 16
; NumAgprs: 0
; TotalNumVgprs: 16
; ScratchSize: 0
; MemoryBound: 0
; FloatMode: 240
; IeeeMode: 1
; LDSByteSize: 0 bytes/workgroup (compile time only)
; SGPRBlocks: 3
; VGPRBlocks: 1
; NumSGPRsForWavesPerEU: 32
; NumVGPRsForWavesPerEU: 16
; AccumOffset: 16
; Occupancy: 8
; WaveLimiterHint : 1
; COMPUTE_PGM_RSRC2:SCRATCH_EN: 0
; COMPUTE_PGM_RSRC2:USER_SGPR: 2
; COMPUTE_PGM_RSRC2:TRAP_HANDLER: 0
; COMPUTE_PGM_RSRC2:TGID_X_EN: 1
; COMPUTE_PGM_RSRC2:TGID_Y_EN: 1
; COMPUTE_PGM_RSRC2:TGID_Z_EN: 0
; COMPUTE_PGM_RSRC2:TIDIG_COMP_CNT: 0
; COMPUTE_PGM_RSRC3_GFX90A:ACCUM_OFFSET: 3
; COMPUTE_PGM_RSRC3_GFX90A:TG_SPLIT: 0
	.section	.text._ZN2at6native12_GLOBAL__N_135CatArrayBatchedCopy_alignedK_contigINS1_10OpaqueTypeILj2EEEjLi4ELi64ELi64ELi16EEEvPT_NS1_25CatArrInputTensorMetadataIS5_T0_XT2_EXT3_EEENS1_16TensorSizeStrideIS8_Lj4EEEiS8_,"axG",@progbits,_ZN2at6native12_GLOBAL__N_135CatArrayBatchedCopy_alignedK_contigINS1_10OpaqueTypeILj2EEEjLi4ELi64ELi64ELi16EEEvPT_NS1_25CatArrInputTensorMetadataIS5_T0_XT2_EXT3_EEENS1_16TensorSizeStrideIS8_Lj4EEEiS8_,comdat
	.globl	_ZN2at6native12_GLOBAL__N_135CatArrayBatchedCopy_alignedK_contigINS1_10OpaqueTypeILj2EEEjLi4ELi64ELi64ELi16EEEvPT_NS1_25CatArrInputTensorMetadataIS5_T0_XT2_EXT3_EEENS1_16TensorSizeStrideIS8_Lj4EEEiS8_ ; -- Begin function _ZN2at6native12_GLOBAL__N_135CatArrayBatchedCopy_alignedK_contigINS1_10OpaqueTypeILj2EEEjLi4ELi64ELi64ELi16EEEvPT_NS1_25CatArrInputTensorMetadataIS5_T0_XT2_EXT3_EEENS1_16TensorSizeStrideIS8_Lj4EEEiS8_
	.p2align	8
	.type	_ZN2at6native12_GLOBAL__N_135CatArrayBatchedCopy_alignedK_contigINS1_10OpaqueTypeILj2EEEjLi4ELi64ELi64ELi16EEEvPT_NS1_25CatArrInputTensorMetadataIS5_T0_XT2_EXT3_EEENS1_16TensorSizeStrideIS8_Lj4EEEiS8_,@function
_ZN2at6native12_GLOBAL__N_135CatArrayBatchedCopy_alignedK_contigINS1_10OpaqueTypeILj2EEEjLi4ELi64ELi64ELi16EEEvPT_NS1_25CatArrInputTensorMetadataIS5_T0_XT2_EXT3_EEENS1_16TensorSizeStrideIS8_Lj4EEEiS8_: ; @_ZN2at6native12_GLOBAL__N_135CatArrayBatchedCopy_alignedK_contigINS1_10OpaqueTypeILj2EEEjLi4ELi64ELi64ELi16EEEvPT_NS1_25CatArrInputTensorMetadataIS5_T0_XT2_EXT3_EEENS1_16TensorSizeStrideIS8_Lj4EEEiS8_
; %bb.0:
	s_mov_b32 s4, s3
	s_load_dword s3, s[0:1], 0xd7c
	s_add_u32 s18, s0, 0xd70
	s_mov_b32 s5, 0
	s_addc_u32 s19, s1, 0
	s_lshl_b64 s[4:5], s[4:5], 2
	s_waitcnt lgkmcnt(0)
	s_and_b32 s20, s3, 0xffff
	s_add_u32 s6, s0, s4
	s_addc_u32 s7, s1, s5
	s_load_dword s22, s[6:7], 0x408
	s_mul_i32 s2, s2, s20
	v_add_lshl_u32 v10, s2, v0, 3
	s_add_u32 s6, s6, 8
	s_addc_u32 s7, s7, 0
	s_waitcnt lgkmcnt(0)
	v_cmp_gt_u32_e32 vcc, s22, v10
	s_and_saveexec_b64 s[2:3], vcc
	s_cbranch_execz .LBB136_10
; %bb.1:
	s_add_u32 s14, s6, s4
	s_addc_u32 s15, s7, s5
	s_sub_u32 s4, 0, s4
	s_load_dwordx2 s[2:3], s[0:1], 0x0
	s_subb_u32 s5, 0, s5
	s_add_u32 s16, s14, s4
	s_addc_u32 s17, s15, s5
	s_load_dword s21, s[0:1], 0xd6c
	s_load_dword s23, s[16:17], 0x200
	s_load_dwordx8 s[4:11], s[0:1], 0xd4c
	s_load_dwordx2 s[12:13], s[14:15], 0x0
	s_load_dword s24, s[16:17], 0x300
	v_add_u32_e32 v0, 8, v10
	s_mov_b64 s[14:15], 0
	s_waitcnt lgkmcnt(0)
	s_mul_i32 s23, s23, s21
	v_cmp_ge_u32_e32 vcc, s22, v0
	s_and_saveexec_b64 s[16:17], vcc
	s_cbranch_execz .LBB136_7
; %bb.2:
	s_load_dword s0, s[18:19], 0x0
	v_mov_b32_e32 v1, 0
	v_mov_b32_e32 v5, v1
	;; [unrolled: 1-line block ×4, first 2 shown]
	s_waitcnt lgkmcnt(0)
	s_mul_i32 s0, s0, s20
	s_lshl_b32 s18, s0, 3
	s_cmp_eq_u32 s11, 3
	s_cselect_b32 s25, s24, s6
	s_cmp_eq_u32 s11, 2
	v_cvt_f32_u32_e32 v0, s25
	s_cselect_b32 s26, s24, s5
	s_cmp_eq_u32 s11, 1
	v_cvt_f32_u32_e32 v2, s26
	s_cselect_b32 s27, s24, s4
	v_rcp_iflag_f32_e32 v0, v0
	v_cvt_f32_u32_e32 v3, s27
	v_rcp_iflag_f32_e32 v2, v2
	s_sub_i32 s28, 0, s25
	v_mul_f32_e32 v0, 0x4f7ffffe, v0
	v_rcp_iflag_f32_e32 v3, v3
	v_cvt_u32_f32_e32 v0, v0
	v_mul_f32_e32 v2, 0x4f7ffffe, v2
	v_cvt_u32_f32_e32 v2, v2
	v_mul_f32_e32 v3, 0x4f7ffffe, v3
	v_mul_lo_u32 v4, s28, v0
	v_cvt_u32_f32_e32 v3, v3
	v_mul_hi_u32 v4, v0, v4
	s_sub_i32 s0, 0, s26
	v_add_u32_e32 v12, v0, v4
	v_mul_lo_u32 v0, s0, v2
	v_mul_hi_u32 v0, v2, v0
	s_sub_i32 s0, 0, s27
	v_add_u32_e32 v13, v2, v0
	v_mul_lo_u32 v0, s0, v3
	v_mul_hi_u32 v0, v3, v0
	v_add_u32_e32 v14, v3, v0
	v_mov_b32_e32 v2, v1
	v_mov_b32_e32 v3, v1
	;; [unrolled: 1-line block ×4, first 2 shown]
	v_mov_b64_e32 v[8:9], v[6:7]
	s_mov_b32 s19, 0
	v_add_u32_e32 v15, 1, v10
	v_mov_b32_e32 v11, v1
	v_mov_b64_e32 v[6:7], v[4:5]
	v_mov_b64_e32 v[4:5], v[2:3]
	;; [unrolled: 1-line block ×3, first 2 shown]
.LBB136_3:                              ; =>This Loop Header: Depth=1
                                        ;     Child Loop BB136_4 Depth 2
	s_mov_b64 s[20:21], 0
	v_mov_b32_e32 v16, v10
	v_mov_b32_e32 v17, v15
.LBB136_4:                              ;   Parent Loop BB136_3 Depth=1
                                        ; =>  This Inner Loop Header: Depth=2
	v_mul_hi_u32 v18, v12, v17
	v_mul_hi_u32 v19, v12, v16
	v_add_u32_e32 v0, s20, v10
	v_mul_lo_u32 v20, s25, v18
	v_not_b32_e32 v21, v18
	v_not_b32_e32 v22, v19
	v_mul_hi_u32 v23, v0, v12
	v_mad_u64_u32 v[18:19], s[0:1], s28, v19, v[0:1]
	v_add_u32_e32 v19, 1, v0
	v_sub_u32_e32 v24, v15, v20
	v_mul_lo_u32 v25, s25, v21
	v_add_u32_e32 v26, 1, v23
	v_mad_u64_u32 v[20:21], s[0:1], s25, v22, v[0:1]
	v_cmp_le_u32_e32 vcc, s25, v18
	v_mul_hi_u32 v19, v19, v12
	v_add_u32_e32 v22, 1, v19
	v_cndmask_b32_e32 v21, v23, v26, vcc
	v_cndmask_b32_e32 v18, v18, v20, vcc
	v_add_u32_e32 v20, s20, v24
	v_add3_u32 v23, v15, v25, s20
	v_add_u32_e32 v24, 1, v21
	v_cmp_le_u32_e32 vcc, s25, v20
	v_cmp_le_u32_e64 s[0:1], s25, v18
	s_cmp_eq_u32 s20, 0
	v_cndmask_b32_e32 v22, v19, v22, vcc
	v_cndmask_b32_e64 v24, v21, v24, s[0:1]
	v_cndmask_b32_e32 v20, v20, v23, vcc
	v_add_u32_e32 v21, 1, v22
	v_mul_hi_u32 v23, v24, v13
	v_mad_u64_u32 v[18:19], s[0:1], s28, v24, v[0:1]
	v_cmp_le_u32_e32 vcc, s25, v20
	v_add_u32_e32 v25, 1, v23
	v_mul_lo_u32 v18, v18, s10
	v_cndmask_b32_e32 v19, v22, v21, vcc
	v_mul_lo_u32 v22, v23, s26
	v_mul_hi_u32 v26, v19, v13
	v_mad_u64_u32 v[20:21], s[0:1], s28, v19, v[0:1]
	v_sub_u32_e32 v0, v24, v22
	v_mul_lo_u32 v21, v26, s26
	v_cmp_le_u32_e32 vcc, s26, v0
	v_sub_u32_e32 v21, v19, v21
	v_add_u32_e32 v22, 1, v26
	v_cndmask_b32_e32 v23, v23, v25, vcc
	v_subrev_u32_e32 v25, s26, v0
	v_cndmask_b32_e32 v0, v0, v25, vcc
	v_cmp_le_u32_e32 vcc, s26, v21
	v_add_u32_e32 v25, 1, v23
	v_cmp_le_u32_e64 s[0:1], s26, v0
	v_cndmask_b32_e32 v22, v26, v22, vcc
	v_subrev_u32_e32 v26, s26, v21
	v_cndmask_b32_e64 v0, v23, v25, s[0:1]
	v_cndmask_b32_e32 v21, v21, v26, vcc
	v_add_u32_e32 v23, 1, v22
	v_mul_hi_u32 v26, v0, v14
	v_cmp_le_u32_e32 vcc, s26, v21
	v_mul_lo_u32 v25, v0, s26
	v_mul_lo_u32 v20, s10, v20
	v_cndmask_b32_e32 v21, v22, v23, vcc
	v_mul_lo_u32 v23, v26, s27
	v_sub_u32_e32 v23, v0, v23
	v_sub_u32_e32 v22, v24, v25
	v_add_u32_e32 v24, 1, v26
	v_mul_lo_u32 v25, v21, s26
	v_mul_hi_u32 v27, v21, v14
	v_cmp_le_u32_e32 vcc, s27, v23
	v_sub_u32_e32 v19, v19, v25
	v_mul_lo_u32 v25, v27, s27
	v_cndmask_b32_e32 v24, v26, v24, vcc
	v_subrev_u32_e32 v26, s27, v23
	v_mul_lo_u32 v29, v19, s9
	v_sub_u32_e32 v19, v21, v25
	v_cndmask_b32_e32 v23, v23, v26, vcc
	v_add_u32_e32 v28, 1, v27
	v_add_u32_e32 v25, 1, v24
	v_cmp_le_u32_e32 vcc, s27, v19
	v_cmp_le_u32_e64 s[0:1], s27, v23
	v_mul_lo_u32 v22, v22, s9
	v_cndmask_b32_e32 v26, v27, v28, vcc
	v_subrev_u32_e32 v27, s27, v19
	v_cndmask_b32_e64 v23, v24, v25, s[0:1]
	v_cndmask_b32_e32 v24, v19, v27, vcc
	v_mul_lo_u32 v27, v23, s27
	v_sub_u32_e32 v0, v0, v27
	v_add_u32_e32 v25, 1, v26
	v_mad_u64_u32 v[18:19], s[0:1], v23, s7, v[18:19]
	v_cmp_le_u32_e32 vcc, s27, v24
	v_mul_lo_u32 v0, v0, s8
	v_add3_u32 v0, v18, v22, v0
	v_cndmask_b32_e32 v19, v26, v25, vcc
	s_cselect_b64 vcc, -1, 0
	s_cmp_eq_u32 s20, 1
	v_cndmask_b32_e32 v2, v2, v0, vcc
	s_cselect_b64 vcc, -1, 0
	s_cmp_eq_u32 s20, 2
	;; [unrolled: 3-line block ×6, first 2 shown]
	v_mul_lo_u32 v23, v19, s27
	v_cndmask_b32_e32 v7, v7, v0, vcc
	s_cselect_b64 vcc, -1, 0
	s_cmp_eq_u32 s20, 7
	v_mul_lo_u32 v19, v19, s7
	v_sub_u32_e32 v21, v21, v23
	v_cndmask_b32_e32 v8, v8, v0, vcc
	s_cselect_b64 vcc, -1, 0
	s_add_i32 s0, s20, 1
	v_add3_u32 v19, v20, s10, v19
	v_mul_lo_u32 v18, v21, s8
	s_cmp_eq_u32 s0, 7
	v_add3_u32 v18, v19, v29, v18
	v_cndmask_b32_e32 v0, v9, v0, vcc
	s_cselect_b64 vcc, -1, 0
	s_cmp_eq_u32 s0, 6
	v_cndmask_b32_e32 v9, v0, v18, vcc
	s_cselect_b64 vcc, -1, 0
	s_cmp_eq_u32 s0, 5
	;; [unrolled: 3-line block ×7, first 2 shown]
	v_cndmask_b32_e32 v3, v3, v18, vcc
	s_cselect_b64 vcc, -1, 0
	s_add_u32 s20, s20, 2
	s_addc_u32 s21, s21, 0
	v_add_u32_e32 v17, 2, v17
	v_add_u32_e32 v16, 2, v16
	s_cmp_eq_u32 s20, 8
	v_cndmask_b32_e32 v2, v2, v18, vcc
	s_cbranch_scc0 .LBB136_4
; %bb.5:                                ;   in Loop: Header=BB136_3 Depth=1
	v_mov_b32_e32 v0, v10
	v_lshl_add_u64 v[16:17], v[0:1], 1, s[12:13]
	global_load_dwordx4 v[16:19], v[16:17], off
	v_lshl_add_u64 v[10:11], v[10:11], 0, s[18:19]
	v_add_u32_e32 v0, s23, v2
	v_add_u32_e32 v22, 8, v10
	v_lshl_add_u64 v[20:21], v[0:1], 1, s[2:3]
	v_add_u32_e32 v0, s23, v3
	v_cmp_lt_u32_e32 vcc, s22, v22
	v_lshl_add_u64 v[22:23], v[0:1], 1, s[2:3]
	v_add_u32_e32 v0, s23, v4
	v_lshl_add_u64 v[24:25], v[0:1], 1, s[2:3]
	v_add_u32_e32 v0, s23, v5
	;; [unrolled: 2-line block ×5, first 2 shown]
	s_or_b64 s[14:15], vcc, s[14:15]
	v_lshl_add_u64 v[32:33], v[0:1], 1, s[2:3]
	v_add_u32_e32 v0, s23, v9
	v_add_u32_e32 v15, s18, v15
	v_lshl_add_u64 v[34:35], v[0:1], 1, s[2:3]
	s_waitcnt vmcnt(0)
	global_store_short v[20:21], v16, off
	global_store_short_d16_hi v[22:23], v16, off
	global_store_short v[24:25], v17, off
	global_store_short_d16_hi v[26:27], v17, off
	global_store_short v[28:29], v18, off
	global_store_short_d16_hi v[30:31], v18, off
	global_store_short v[32:33], v19, off
	global_store_short_d16_hi v[34:35], v19, off
	s_andn2_b64 exec, exec, s[14:15]
	s_cbranch_execnz .LBB136_3
; %bb.6:
	s_or_b64 exec, exec, s[14:15]
.LBB136_7:
	s_or_b64 exec, exec, s[16:17]
	v_cmp_gt_u32_e32 vcc, s22, v10
	s_and_b64 exec, exec, vcc
	s_cbranch_execz .LBB136_10
; %bb.8:
	s_cmp_eq_u32 s11, 3
	s_cselect_b32 s6, s24, s6
	v_cvt_f32_u32_e32 v0, s6
	s_cmp_eq_u32 s11, 2
	s_cselect_b32 s5, s24, s5
	v_cvt_f32_u32_e32 v2, s5
	v_rcp_iflag_f32_e32 v0, v0
	s_cmp_eq_u32 s11, 1
	s_cselect_b32 s4, s24, s4
	v_cvt_f32_u32_e32 v3, s4
	v_mul_f32_e32 v0, 0x4f7ffffe, v0
	v_cvt_u32_f32_e32 v0, v0
	v_rcp_iflag_f32_e32 v4, v2
	s_sub_i32 s11, 0, s6
	s_sub_i32 s0, 0, s5
	v_mul_lo_u32 v2, s11, v0
	v_mul_hi_u32 v2, v0, v2
	v_add_u32_e32 v2, v0, v2
	v_mul_f32_e32 v0, 0x4f7ffffe, v4
	v_rcp_iflag_f32_e32 v4, v3
	v_cvt_u32_f32_e32 v0, v0
	v_mov_b32_e32 v1, 0
	v_mov_b32_e32 v11, v1
	v_mul_f32_e32 v4, 0x4f7ffffe, v4
	v_cvt_u32_f32_e32 v4, v4
	v_mul_lo_u32 v5, s0, v0
	v_mul_hi_u32 v5, v0, v5
	s_sub_i32 s0, 0, s4
	v_add_u32_e32 v8, v0, v5
	v_mul_lo_u32 v0, s0, v4
	v_mul_hi_u32 v0, v4, v0
	v_add_u32_e32 v9, v4, v0
	v_mad_u64_u32 v[4:5], s[0:1], v10, v2, 0
	v_mov_b32_e32 v3, v1
	v_lshl_add_u64 v[6:7], v[10:11], 1, s[12:13]
	s_mov_b64 s[0:1], 0
.LBB136_9:                              ; =>This Inner Loop Header: Depth=1
	global_load_ushort v11, v[6:7], off
	v_mul_lo_u32 v0, s6, v5
	v_not_b32_e32 v12, v5
	v_sub_u32_e32 v0, v10, v0
	v_add_u32_e32 v14, 1, v5
	v_cmp_le_u32_e32 vcc, s6, v0
	v_lshl_add_u64 v[6:7], v[6:7], 0, 2
	s_waitcnt vmcnt(0)
	v_mad_u64_u32 v[12:13], s[12:13], s6, v12, v[10:11]
	v_cndmask_b32_e32 v13, v5, v14, vcc
	v_cndmask_b32_e32 v0, v0, v12, vcc
	v_add_u32_e32 v12, 1, v13
	v_cmp_le_u32_e32 vcc, s6, v0
	v_lshl_add_u64 v[4:5], v[4:5], 0, v[2:3]
	s_nop 0
	v_cndmask_b32_e32 v0, v13, v12, vcc
	v_mul_hi_u32 v14, v0, v8
	v_mad_u64_u32 v[12:13], s[12:13], s11, v0, v[10:11]
	v_add_u32_e32 v10, 1, v10
	v_mul_lo_u32 v13, v14, s5
	v_cmp_le_u32_e32 vcc, s22, v10
	v_sub_u32_e32 v13, v0, v13
	v_add_u32_e32 v15, 1, v14
	s_or_b64 s[0:1], vcc, s[0:1]
	v_cmp_le_u32_e32 vcc, s5, v13
	v_mul_lo_u32 v12, v12, s10
	s_nop 0
	v_cndmask_b32_e32 v14, v14, v15, vcc
	v_subrev_u32_e32 v15, s5, v13
	v_cndmask_b32_e32 v13, v13, v15, vcc
	v_add_u32_e32 v15, 1, v14
	v_cmp_le_u32_e32 vcc, s5, v13
	s_nop 1
	v_cndmask_b32_e32 v13, v14, v15, vcc
	v_mul_hi_u32 v14, v13, v9
	v_mul_lo_u32 v15, v13, s5
	v_mul_lo_u32 v16, v14, s4
	v_sub_u32_e32 v0, v0, v15
	v_sub_u32_e32 v15, v13, v16
	v_add_u32_e32 v17, 1, v14
	v_cmp_le_u32_e32 vcc, s4, v15
	v_subrev_u32_e32 v16, s4, v15
	v_mul_lo_u32 v0, v0, s9
	v_cndmask_b32_e32 v14, v14, v17, vcc
	v_cndmask_b32_e32 v15, v15, v16, vcc
	v_add_u32_e32 v16, 1, v14
	v_cmp_le_u32_e32 vcc, s4, v15
	s_nop 1
	v_cndmask_b32_e32 v14, v14, v16, vcc
	v_mul_lo_u32 v15, v14, s4
	v_mul_lo_u32 v14, v14, s7
	v_sub_u32_e32 v13, v13, v15
	v_add3_u32 v0, v14, v12, v0
	v_mul_lo_u32 v12, v13, s8
	v_add3_u32 v0, v0, v12, s23
	v_lshl_add_u64 v[12:13], v[0:1], 1, s[2:3]
	global_store_short v[12:13], v11, off
	s_andn2_b64 exec, exec, s[0:1]
	s_cbranch_execnz .LBB136_9
.LBB136_10:
	s_endpgm
	.section	.rodata,"a",@progbits
	.p2align	6, 0x0
	.amdhsa_kernel _ZN2at6native12_GLOBAL__N_135CatArrayBatchedCopy_alignedK_contigINS1_10OpaqueTypeILj2EEEjLi4ELi64ELi64ELi16EEEvPT_NS1_25CatArrInputTensorMetadataIS5_T0_XT2_EXT3_EEENS1_16TensorSizeStrideIS8_Lj4EEEiS8_
		.amdhsa_group_segment_fixed_size 0
		.amdhsa_private_segment_fixed_size 0
		.amdhsa_kernarg_size 3696
		.amdhsa_user_sgpr_count 2
		.amdhsa_user_sgpr_dispatch_ptr 0
		.amdhsa_user_sgpr_queue_ptr 0
		.amdhsa_user_sgpr_kernarg_segment_ptr 1
		.amdhsa_user_sgpr_dispatch_id 0
		.amdhsa_user_sgpr_kernarg_preload_length 0
		.amdhsa_user_sgpr_kernarg_preload_offset 0
		.amdhsa_user_sgpr_private_segment_size 0
		.amdhsa_uses_dynamic_stack 0
		.amdhsa_enable_private_segment 0
		.amdhsa_system_sgpr_workgroup_id_x 1
		.amdhsa_system_sgpr_workgroup_id_y 1
		.amdhsa_system_sgpr_workgroup_id_z 0
		.amdhsa_system_sgpr_workgroup_info 0
		.amdhsa_system_vgpr_workitem_id 0
		.amdhsa_next_free_vgpr 36
		.amdhsa_next_free_sgpr 29
		.amdhsa_accum_offset 36
		.amdhsa_reserve_vcc 1
		.amdhsa_float_round_mode_32 0
		.amdhsa_float_round_mode_16_64 0
		.amdhsa_float_denorm_mode_32 3
		.amdhsa_float_denorm_mode_16_64 3
		.amdhsa_dx10_clamp 1
		.amdhsa_ieee_mode 1
		.amdhsa_fp16_overflow 0
		.amdhsa_tg_split 0
		.amdhsa_exception_fp_ieee_invalid_op 0
		.amdhsa_exception_fp_denorm_src 0
		.amdhsa_exception_fp_ieee_div_zero 0
		.amdhsa_exception_fp_ieee_overflow 0
		.amdhsa_exception_fp_ieee_underflow 0
		.amdhsa_exception_fp_ieee_inexact 0
		.amdhsa_exception_int_div_zero 0
	.end_amdhsa_kernel
	.section	.text._ZN2at6native12_GLOBAL__N_135CatArrayBatchedCopy_alignedK_contigINS1_10OpaqueTypeILj2EEEjLi4ELi64ELi64ELi16EEEvPT_NS1_25CatArrInputTensorMetadataIS5_T0_XT2_EXT3_EEENS1_16TensorSizeStrideIS8_Lj4EEEiS8_,"axG",@progbits,_ZN2at6native12_GLOBAL__N_135CatArrayBatchedCopy_alignedK_contigINS1_10OpaqueTypeILj2EEEjLi4ELi64ELi64ELi16EEEvPT_NS1_25CatArrInputTensorMetadataIS5_T0_XT2_EXT3_EEENS1_16TensorSizeStrideIS8_Lj4EEEiS8_,comdat
.Lfunc_end136:
	.size	_ZN2at6native12_GLOBAL__N_135CatArrayBatchedCopy_alignedK_contigINS1_10OpaqueTypeILj2EEEjLi4ELi64ELi64ELi16EEEvPT_NS1_25CatArrInputTensorMetadataIS5_T0_XT2_EXT3_EEENS1_16TensorSizeStrideIS8_Lj4EEEiS8_, .Lfunc_end136-_ZN2at6native12_GLOBAL__N_135CatArrayBatchedCopy_alignedK_contigINS1_10OpaqueTypeILj2EEEjLi4ELi64ELi64ELi16EEEvPT_NS1_25CatArrInputTensorMetadataIS5_T0_XT2_EXT3_EEENS1_16TensorSizeStrideIS8_Lj4EEEiS8_
                                        ; -- End function
	.set _ZN2at6native12_GLOBAL__N_135CatArrayBatchedCopy_alignedK_contigINS1_10OpaqueTypeILj2EEEjLi4ELi64ELi64ELi16EEEvPT_NS1_25CatArrInputTensorMetadataIS5_T0_XT2_EXT3_EEENS1_16TensorSizeStrideIS8_Lj4EEEiS8_.num_vgpr, 36
	.set _ZN2at6native12_GLOBAL__N_135CatArrayBatchedCopy_alignedK_contigINS1_10OpaqueTypeILj2EEEjLi4ELi64ELi64ELi16EEEvPT_NS1_25CatArrInputTensorMetadataIS5_T0_XT2_EXT3_EEENS1_16TensorSizeStrideIS8_Lj4EEEiS8_.num_agpr, 0
	.set _ZN2at6native12_GLOBAL__N_135CatArrayBatchedCopy_alignedK_contigINS1_10OpaqueTypeILj2EEEjLi4ELi64ELi64ELi16EEEvPT_NS1_25CatArrInputTensorMetadataIS5_T0_XT2_EXT3_EEENS1_16TensorSizeStrideIS8_Lj4EEEiS8_.numbered_sgpr, 29
	.set _ZN2at6native12_GLOBAL__N_135CatArrayBatchedCopy_alignedK_contigINS1_10OpaqueTypeILj2EEEjLi4ELi64ELi64ELi16EEEvPT_NS1_25CatArrInputTensorMetadataIS5_T0_XT2_EXT3_EEENS1_16TensorSizeStrideIS8_Lj4EEEiS8_.num_named_barrier, 0
	.set _ZN2at6native12_GLOBAL__N_135CatArrayBatchedCopy_alignedK_contigINS1_10OpaqueTypeILj2EEEjLi4ELi64ELi64ELi16EEEvPT_NS1_25CatArrInputTensorMetadataIS5_T0_XT2_EXT3_EEENS1_16TensorSizeStrideIS8_Lj4EEEiS8_.private_seg_size, 0
	.set _ZN2at6native12_GLOBAL__N_135CatArrayBatchedCopy_alignedK_contigINS1_10OpaqueTypeILj2EEEjLi4ELi64ELi64ELi16EEEvPT_NS1_25CatArrInputTensorMetadataIS5_T0_XT2_EXT3_EEENS1_16TensorSizeStrideIS8_Lj4EEEiS8_.uses_vcc, 1
	.set _ZN2at6native12_GLOBAL__N_135CatArrayBatchedCopy_alignedK_contigINS1_10OpaqueTypeILj2EEEjLi4ELi64ELi64ELi16EEEvPT_NS1_25CatArrInputTensorMetadataIS5_T0_XT2_EXT3_EEENS1_16TensorSizeStrideIS8_Lj4EEEiS8_.uses_flat_scratch, 0
	.set _ZN2at6native12_GLOBAL__N_135CatArrayBatchedCopy_alignedK_contigINS1_10OpaqueTypeILj2EEEjLi4ELi64ELi64ELi16EEEvPT_NS1_25CatArrInputTensorMetadataIS5_T0_XT2_EXT3_EEENS1_16TensorSizeStrideIS8_Lj4EEEiS8_.has_dyn_sized_stack, 0
	.set _ZN2at6native12_GLOBAL__N_135CatArrayBatchedCopy_alignedK_contigINS1_10OpaqueTypeILj2EEEjLi4ELi64ELi64ELi16EEEvPT_NS1_25CatArrInputTensorMetadataIS5_T0_XT2_EXT3_EEENS1_16TensorSizeStrideIS8_Lj4EEEiS8_.has_recursion, 0
	.set _ZN2at6native12_GLOBAL__N_135CatArrayBatchedCopy_alignedK_contigINS1_10OpaqueTypeILj2EEEjLi4ELi64ELi64ELi16EEEvPT_NS1_25CatArrInputTensorMetadataIS5_T0_XT2_EXT3_EEENS1_16TensorSizeStrideIS8_Lj4EEEiS8_.has_indirect_call, 0
	.section	.AMDGPU.csdata,"",@progbits
; Kernel info:
; codeLenInByte = 1944
; TotalNumSgprs: 35
; NumVgprs: 36
; NumAgprs: 0
; TotalNumVgprs: 36
; ScratchSize: 0
; MemoryBound: 0
; FloatMode: 240
; IeeeMode: 1
; LDSByteSize: 0 bytes/workgroup (compile time only)
; SGPRBlocks: 4
; VGPRBlocks: 4
; NumSGPRsForWavesPerEU: 35
; NumVGPRsForWavesPerEU: 36
; AccumOffset: 36
; Occupancy: 8
; WaveLimiterHint : 1
; COMPUTE_PGM_RSRC2:SCRATCH_EN: 0
; COMPUTE_PGM_RSRC2:USER_SGPR: 2
; COMPUTE_PGM_RSRC2:TRAP_HANDLER: 0
; COMPUTE_PGM_RSRC2:TGID_X_EN: 1
; COMPUTE_PGM_RSRC2:TGID_Y_EN: 1
; COMPUTE_PGM_RSRC2:TGID_Z_EN: 0
; COMPUTE_PGM_RSRC2:TIDIG_COMP_CNT: 0
; COMPUTE_PGM_RSRC3_GFX90A:ACCUM_OFFSET: 8
; COMPUTE_PGM_RSRC3_GFX90A:TG_SPLIT: 0
	.section	.text._ZN2at6native12_GLOBAL__N_135CatArrayBatchedCopy_alignedK_contigINS1_10OpaqueTypeILj2EEEjLi4ELi64ELi64ELi8EEEvPT_NS1_25CatArrInputTensorMetadataIS5_T0_XT2_EXT3_EEENS1_16TensorSizeStrideIS8_Lj4EEEiS8_,"axG",@progbits,_ZN2at6native12_GLOBAL__N_135CatArrayBatchedCopy_alignedK_contigINS1_10OpaqueTypeILj2EEEjLi4ELi64ELi64ELi8EEEvPT_NS1_25CatArrInputTensorMetadataIS5_T0_XT2_EXT3_EEENS1_16TensorSizeStrideIS8_Lj4EEEiS8_,comdat
	.globl	_ZN2at6native12_GLOBAL__N_135CatArrayBatchedCopy_alignedK_contigINS1_10OpaqueTypeILj2EEEjLi4ELi64ELi64ELi8EEEvPT_NS1_25CatArrInputTensorMetadataIS5_T0_XT2_EXT3_EEENS1_16TensorSizeStrideIS8_Lj4EEEiS8_ ; -- Begin function _ZN2at6native12_GLOBAL__N_135CatArrayBatchedCopy_alignedK_contigINS1_10OpaqueTypeILj2EEEjLi4ELi64ELi64ELi8EEEvPT_NS1_25CatArrInputTensorMetadataIS5_T0_XT2_EXT3_EEENS1_16TensorSizeStrideIS8_Lj4EEEiS8_
	.p2align	8
	.type	_ZN2at6native12_GLOBAL__N_135CatArrayBatchedCopy_alignedK_contigINS1_10OpaqueTypeILj2EEEjLi4ELi64ELi64ELi8EEEvPT_NS1_25CatArrInputTensorMetadataIS5_T0_XT2_EXT3_EEENS1_16TensorSizeStrideIS8_Lj4EEEiS8_,@function
_ZN2at6native12_GLOBAL__N_135CatArrayBatchedCopy_alignedK_contigINS1_10OpaqueTypeILj2EEEjLi4ELi64ELi64ELi8EEEvPT_NS1_25CatArrInputTensorMetadataIS5_T0_XT2_EXT3_EEENS1_16TensorSizeStrideIS8_Lj4EEEiS8_: ; @_ZN2at6native12_GLOBAL__N_135CatArrayBatchedCopy_alignedK_contigINS1_10OpaqueTypeILj2EEEjLi4ELi64ELi64ELi8EEEvPT_NS1_25CatArrInputTensorMetadataIS5_T0_XT2_EXT3_EEENS1_16TensorSizeStrideIS8_Lj4EEEiS8_
; %bb.0:
	s_mov_b32 s6, s3
	s_load_dword s3, s[0:1], 0xd7c
	s_add_u32 s4, s0, 0xd70
	s_mov_b32 s7, 0
	s_addc_u32 s5, s1, 0
	s_lshl_b64 s[8:9], s[6:7], 2
	s_waitcnt lgkmcnt(0)
	s_and_b32 s3, s3, 0xffff
	s_add_u32 s6, s0, s8
	s_addc_u32 s7, s1, s9
	s_load_dword s22, s[6:7], 0x408
	s_mul_i32 s2, s2, s3
	v_add_lshl_u32 v0, s2, v0, 2
	s_add_u32 s2, s6, 8
	s_addc_u32 s10, s7, 0
	s_waitcnt lgkmcnt(0)
	v_cmp_gt_u32_e32 vcc, s22, v0
	s_and_saveexec_b64 s[6:7], vcc
	s_cbranch_execz .LBB137_8
; %bb.1:
	s_add_u32 s18, s2, s8
	s_addc_u32 s19, s10, s9
	s_sub_u32 s2, 0, s8
	s_load_dwordx2 s[6:7], s[0:1], 0x0
	s_subb_u32 s8, 0, s9
	s_add_u32 s20, s18, s2
	s_addc_u32 s21, s19, s8
	s_load_dword s2, s[0:1], 0xd6c
	s_load_dword s23, s[20:21], 0x200
	s_load_dwordx8 s[8:15], s[0:1], 0xd4c
	s_load_dwordx2 s[16:17], s[18:19], 0x0
	s_load_dword s24, s[20:21], 0x300
	v_add_u32_e32 v1, 4, v0
	s_mov_b64 s[18:19], 0
	s_waitcnt lgkmcnt(0)
	s_mul_i32 s23, s23, s2
	v_cmp_ge_u32_e32 vcc, s22, v1
	s_and_saveexec_b64 s[20:21], vcc
	s_cbranch_execz .LBB137_5
; %bb.2:
	s_load_dword s0, s[4:5], 0x0
	v_mov_b32_e32 v1, 0
	v_add_u32_e32 v15, 3, v0
	v_add_u32_e32 v16, 2, v0
	;; [unrolled: 1-line block ×3, first 2 shown]
	s_waitcnt lgkmcnt(0)
	s_mul_i32 s0, s0, s3
	s_lshl_b32 s25, s0, 2
	s_cmp_eq_u32 s15, 3
	s_cselect_b32 s26, s24, s10
	s_cmp_eq_u32 s15, 2
	v_cvt_f32_u32_e32 v2, s26
	s_cselect_b32 s27, s24, s9
	s_cmp_eq_u32 s15, 1
	v_cvt_f32_u32_e32 v3, s27
	s_cselect_b32 s28, s24, s8
	v_rcp_iflag_f32_e32 v2, v2
	v_cvt_f32_u32_e32 v4, s28
	v_rcp_iflag_f32_e32 v3, v3
	s_sub_i32 s29, 0, s26
	v_mul_f32_e32 v2, 0x4f7ffffe, v2
	v_rcp_iflag_f32_e32 v4, v4
	v_cvt_u32_f32_e32 v2, v2
	v_mul_f32_e32 v3, 0x4f7ffffe, v3
	v_cvt_u32_f32_e32 v3, v3
	v_mul_f32_e32 v4, 0x4f7ffffe, v4
	v_mul_lo_u32 v5, s29, v2
	v_cvt_u32_f32_e32 v4, v4
	s_sub_i32 s0, 0, s27
	v_mul_hi_u32 v5, v2, v5
	v_add_u32_e32 v12, v2, v5
	v_mul_lo_u32 v2, s0, v3
	v_mul_hi_u32 v2, v3, v2
	s_sub_i32 s0, 0, s28
	v_add_u32_e32 v13, v3, v2
	v_mul_lo_u32 v2, s0, v4
	v_mul_hi_u32 v2, v4, v2
	v_add_u32_e32 v14, v4, v2
.LBB137_3:                              ; =>This Inner Loop Header: Depth=1
	v_lshl_add_u64 v[10:11], v[0:1], 1, s[16:17]
	global_load_dwordx2 v[10:11], v[10:11], off
	v_mul_hi_u32 v8, v12, v0
	v_mul_hi_u32 v22, v12, v16
	v_mul_hi_u32 v20, v12, v17
	v_add_u32_e32 v2, 1, v0
	v_add_u32_e32 v4, 2, v0
	v_mov_b32_e32 v3, v1
	v_mov_b32_e32 v5, v1
	v_not_b32_e32 v26, v8
	v_mad_u64_u32 v[18:19], s[0:1], s29, v8, v[0:1]
	v_mul_hi_u32 v24, v12, v15
	v_add_u32_e32 v6, 3, v0
	v_mov_b32_e32 v7, v1
	v_not_b32_e32 v30, v22
	v_not_b32_e32 v28, v20
	v_add_u32_e32 v19, 1, v8
	v_mad_u64_u32 v[20:21], s[0:1], s29, v20, v[2:3]
	v_mad_u64_u32 v[22:23], s[0:1], s29, v22, v[4:5]
	v_cmp_le_u32_e32 vcc, s26, v18
	v_mad_u64_u32 v[26:27], s[0:1], s26, v26, v[0:1]
	v_not_b32_e32 v32, v24
	v_mul_hi_u32 v34, v2, v12
	v_mul_hi_u32 v21, v4, v12
	;; [unrolled: 1-line block ×3, first 2 shown]
	v_mad_u64_u32 v[24:25], s[0:1], s29, v24, v[6:7]
	v_cndmask_b32_e32 v8, v8, v19, vcc
	v_mad_u64_u32 v[28:29], s[2:3], s26, v28, v[2:3]
	v_mad_u64_u32 v[30:31], s[4:5], s26, v30, v[4:5]
	v_cndmask_b32_e32 v18, v18, v26, vcc
	v_add_u32_e32 v19, 1, v34
	v_cmp_le_u32_e64 s[0:1], s26, v20
	v_add_u32_e32 v2, 1, v21
	v_cmp_le_u32_e64 s[2:3], s26, v22
	;; [unrolled: 2-line block ×3, first 2 shown]
	v_mad_u64_u32 v[32:33], s[30:31], s26, v32, v[6:7]
	v_add_u32_e32 v26, 1, v8
	v_cmp_le_u32_e32 vcc, s26, v18
	v_cndmask_b32_e64 v27, v34, v19, s[0:1]
	v_cndmask_b32_e64 v19, v20, v28, s[0:1]
	;; [unrolled: 1-line block ×6, first 2 shown]
	v_cndmask_b32_e32 v8, v8, v26, vcc
	v_add_u32_e32 v23, 1, v27
	v_cmp_le_u32_e32 vcc, s26, v19
	v_add_u32_e32 v24, 1, v2
	v_cmp_le_u32_e64 s[0:1], s26, v20
	v_add_u32_e32 v20, 1, v21
	v_cmp_le_u32_e64 s[2:3], s26, v22
	v_mul_hi_u32 v25, v8, v13
	v_mad_u64_u32 v[18:19], s[4:5], s29, v8, v[0:1]
	v_cndmask_b32_e32 v26, v27, v23, vcc
	v_cndmask_b32_e64 v2, v2, v24, s[0:1]
	v_cndmask_b32_e64 v24, v21, v20, s[2:3]
	v_mul_lo_u32 v27, v25, s27
	v_mul_lo_u32 v29, v18, s14
	v_mul_hi_u32 v30, v26, v13
	v_mad_u64_u32 v[18:19], s[0:1], s29, v26, v[0:1]
	v_mad_u64_u32 v[20:21], s[0:1], s29, v2, v[4:5]
	;; [unrolled: 1-line block ×3, first 2 shown]
	v_sub_u32_e32 v6, v8, v27
	v_add_u32_e32 v28, 1, v25
	v_mul_hi_u32 v19, v2, v13
	v_mul_hi_u32 v4, v24, v13
	v_add_u32_e32 v0, s25, v0
	v_mul_lo_u32 v21, v30, s27
	v_cmp_le_u32_e32 vcc, s27, v6
	v_mul_lo_u32 v27, v19, s27
	v_mul_lo_u32 v32, v4, s27
	v_add_u32_e32 v34, 4, v0
	v_cndmask_b32_e32 v25, v25, v28, vcc
	v_subrev_u32_e32 v28, s27, v6
	v_sub_u32_e32 v21, v26, v21
	v_add_u32_e32 v23, 1, v30
	v_sub_u32_e32 v27, v2, v27
	v_sub_u32_e32 v32, v24, v32
	v_cmp_lt_u32_e64 s[0:1], s22, v34
	v_cndmask_b32_e32 v6, v6, v28, vcc
	v_cmp_le_u32_e32 vcc, s27, v21
	v_add_u32_e32 v31, 1, v19
	v_add_u32_e32 v33, 1, v4
	;; [unrolled: 1-line block ×3, first 2 shown]
	v_cndmask_b32_e32 v23, v30, v23, vcc
	v_subrev_u32_e32 v30, s27, v21
	v_cmp_le_u32_e64 s[2:3], s27, v27
	v_cmp_le_u32_e64 s[4:5], s27, v32
	s_or_b64 s[18:19], s[0:1], s[18:19]
	v_cmp_le_u32_e64 s[0:1], s27, v6
	v_cndmask_b32_e64 v19, v19, v31, s[2:3]
	v_subrev_u32_e32 v31, s27, v27
	v_cndmask_b32_e64 v4, v4, v33, s[4:5]
	v_subrev_u32_e32 v33, s27, v32
	v_cndmask_b32_e64 v6, v25, v28, s[0:1]
	v_cndmask_b32_e32 v21, v21, v30, vcc
	v_add_u32_e32 v25, 1, v23
	v_cndmask_b32_e64 v27, v27, v31, s[2:3]
	v_cndmask_b32_e64 v30, v32, v33, s[4:5]
	v_mul_hi_u32 v33, v6, v14
	v_cmp_le_u32_e32 vcc, s27, v21
	v_add_u32_e32 v28, 1, v19
	v_add_u32_e32 v31, 1, v4
	v_cndmask_b32_e32 v21, v23, v25, vcc
	v_cmp_le_u32_e32 vcc, s27, v27
	v_mul_lo_u32 v23, v33, s28
	v_mul_lo_u32 v27, v21, s27
	v_cndmask_b32_e32 v19, v19, v28, vcc
	v_cmp_le_u32_e32 vcc, s27, v30
	v_mul_hi_u32 v28, v21, v14
	v_sub_u32_e32 v23, v6, v23
	v_mul_lo_u32 v32, v6, s27
	v_cndmask_b32_e32 v4, v4, v31, vcc
	v_add_u32_e32 v25, 1, v33
	v_mul_lo_u32 v30, v19, s27
	v_mul_hi_u32 v31, v19, v14
	v_sub_u32_e32 v26, v26, v27
	v_mul_lo_u32 v27, v28, s28
	v_cmp_le_u32_e32 vcc, s28, v23
	v_sub_u32_e32 v8, v8, v32
	v_mul_lo_u32 v32, v4, s27
	v_mul_hi_u32 v34, v4, v14
	v_sub_u32_e32 v2, v2, v30
	v_mul_lo_u32 v30, v31, s28
	v_cndmask_b32_e32 v25, v33, v25, vcc
	v_subrev_u32_e32 v33, s28, v23
	v_sub_u32_e32 v27, v21, v27
	v_add_u32_e32 v35, 1, v28
	v_sub_u32_e32 v24, v24, v32
	v_mul_lo_u32 v32, v34, s28
	v_sub_u32_e32 v30, v19, v30
	v_cndmask_b32_e32 v23, v23, v33, vcc
	v_cmp_le_u32_e32 vcc, s28, v27
	v_add_u32_e32 v36, 1, v31
	v_sub_u32_e32 v32, v4, v32
	v_add_u32_e32 v33, 1, v25
	v_cndmask_b32_e32 v28, v28, v35, vcc
	v_subrev_u32_e32 v35, s28, v27
	v_cmp_le_u32_e64 s[0:1], s28, v30
	v_cmp_le_u32_e64 s[4:5], s28, v23
	v_add_u32_e32 v37, 1, v34
	v_cndmask_b32_e64 v31, v31, v36, s[0:1]
	v_subrev_u32_e32 v36, s28, v30
	v_cmp_le_u32_e64 s[2:3], s28, v32
	v_cndmask_b32_e64 v23, v25, v33, s[4:5]
	v_cndmask_b32_e32 v25, v27, v35, vcc
	v_cndmask_b32_e64 v34, v34, v37, s[2:3]
	v_subrev_u32_e32 v37, s28, v32
	v_add_u32_e32 v27, 1, v28
	v_cndmask_b32_e64 v30, v30, v36, s[0:1]
	v_cmp_le_u32_e32 vcc, s28, v25
	v_add_u32_e32 v33, 1, v31
	v_cndmask_b32_e64 v32, v32, v37, s[2:3]
	v_cndmask_b32_e32 v25, v28, v27, vcc
	v_cmp_le_u32_e32 vcc, s28, v30
	v_add_u32_e32 v35, 1, v34
	v_mul_lo_u32 v8, v8, s13
	v_cndmask_b32_e32 v27, v31, v33, vcc
	v_cmp_le_u32_e32 vcc, s28, v32
	v_mul_lo_u32 v36, v23, s28
	v_mul_lo_u32 v23, v23, s11
	v_cndmask_b32_e32 v28, v34, v35, vcc
	v_mul_lo_u32 v18, s14, v18
	v_mul_lo_u32 v20, v20, s14
	;; [unrolled: 1-line block ×3, first 2 shown]
	v_sub_u32_e32 v6, v6, v36
	v_add3_u32 v8, v23, v29, v8
	v_mul_lo_u32 v23, v25, s28
	v_mul_lo_u32 v29, v27, s28
	;; [unrolled: 1-line block ×5, first 2 shown]
	v_add_u32_e32 v18, s14, v18
	v_mul_lo_u32 v26, v26, s13
	v_mul_lo_u32 v24, v24, s13
	;; [unrolled: 1-line block ×5, first 2 shown]
	v_sub_u32_e32 v21, v21, v23
	v_sub_u32_e32 v19, v19, v29
	v_add3_u32 v20, v27, v20, v2
	v_sub_u32_e32 v2, v4, v30
	v_add3_u32 v18, v25, v18, v26
	v_add3_u32 v22, v28, v22, v24
	v_mul_lo_u32 v4, v21, s12
	v_mul_lo_u32 v19, v19, s12
	;; [unrolled: 1-line block ×3, first 2 shown]
	v_add3_u32 v2, v8, v6, s23
	v_mov_b32_e32 v9, v1
	v_add_u32_e32 v15, s25, v15
	v_add_u32_e32 v16, s25, v16
	;; [unrolled: 1-line block ×3, first 2 shown]
	v_lshl_add_u64 v[2:3], v[2:3], 1, s[6:7]
	v_add3_u32 v4, v18, v4, s23
	v_add3_u32 v6, v20, v19, s23
	;; [unrolled: 1-line block ×3, first 2 shown]
	v_lshl_add_u64 v[4:5], v[4:5], 1, s[6:7]
	v_lshl_add_u64 v[6:7], v[6:7], 1, s[6:7]
	;; [unrolled: 1-line block ×3, first 2 shown]
	s_waitcnt vmcnt(0)
	global_store_short v[2:3], v10, off
	global_store_short_d16_hi v[4:5], v10, off
	global_store_short v[6:7], v11, off
	global_store_short_d16_hi v[8:9], v11, off
	s_andn2_b64 exec, exec, s[18:19]
	s_cbranch_execnz .LBB137_3
; %bb.4:
	s_or_b64 exec, exec, s[18:19]
.LBB137_5:
	s_or_b64 exec, exec, s[20:21]
	v_cmp_gt_u32_e32 vcc, s22, v0
	s_and_b64 exec, exec, vcc
	s_cbranch_execz .LBB137_8
; %bb.6:
	s_cmp_eq_u32 s15, 3
	s_cselect_b32 s2, s24, s10
	v_cvt_f32_u32_e32 v1, s2
	s_cmp_eq_u32 s15, 2
	s_cselect_b32 s3, s24, s9
	v_cvt_f32_u32_e32 v2, s3
	v_rcp_iflag_f32_e32 v1, v1
	s_cmp_eq_u32 s15, 1
	s_cselect_b32 s4, s24, s8
	v_cvt_f32_u32_e32 v5, s4
	v_mul_f32_e32 v1, 0x4f7ffffe, v1
	v_cvt_u32_f32_e32 v1, v1
	v_rcp_iflag_f32_e32 v2, v2
	s_sub_i32 s5, 0, s2
	s_sub_i32 s0, 0, s3
	v_mul_lo_u32 v4, s5, v1
	v_mul_hi_u32 v4, v1, v4
	v_add_u32_e32 v4, v1, v4
	v_mul_f32_e32 v1, 0x4f7ffffe, v2
	v_rcp_iflag_f32_e32 v2, v5
	v_cvt_u32_f32_e32 v1, v1
	v_mov_b32_e32 v3, 0
	v_mov_b32_e32 v5, v3
	v_mul_f32_e32 v2, 0x4f7ffffe, v2
	v_cvt_u32_f32_e32 v2, v2
	v_mul_lo_u32 v6, s0, v1
	v_mul_hi_u32 v6, v1, v6
	s_sub_i32 s0, 0, s4
	v_add_u32_e32 v10, v1, v6
	v_mul_lo_u32 v1, s0, v2
	v_mul_hi_u32 v1, v2, v1
	v_add_u32_e32 v11, v2, v1
	v_mov_b32_e32 v1, v3
	v_mad_u64_u32 v[6:7], s[0:1], v0, v4, 0
	v_lshl_add_u64 v[8:9], v[0:1], 1, s[16:17]
	s_mov_b64 s[0:1], 0
.LBB137_7:                              ; =>This Inner Loop Header: Depth=1
	global_load_ushort v1, v[8:9], off
	v_mul_lo_u32 v2, s2, v7
	v_not_b32_e32 v12, v7
	v_sub_u32_e32 v2, v0, v2
	v_add_u32_e32 v14, 1, v7
	v_cmp_le_u32_e32 vcc, s2, v2
	v_lshl_add_u64 v[8:9], v[8:9], 0, 2
	s_waitcnt vmcnt(0)
	v_mad_u64_u32 v[12:13], s[8:9], s2, v12, v[0:1]
	v_cndmask_b32_e32 v13, v7, v14, vcc
	v_cndmask_b32_e32 v2, v2, v12, vcc
	v_add_u32_e32 v12, 1, v13
	v_cmp_le_u32_e32 vcc, s2, v2
	v_lshl_add_u64 v[6:7], v[6:7], 0, v[4:5]
	s_nop 0
	v_cndmask_b32_e32 v2, v13, v12, vcc
	v_mul_hi_u32 v14, v2, v10
	v_mad_u64_u32 v[12:13], s[8:9], s5, v2, v[0:1]
	v_add_u32_e32 v0, 1, v0
	v_mul_lo_u32 v13, v14, s3
	v_cmp_le_u32_e32 vcc, s22, v0
	v_sub_u32_e32 v13, v2, v13
	v_add_u32_e32 v15, 1, v14
	s_or_b64 s[0:1], vcc, s[0:1]
	v_cmp_le_u32_e32 vcc, s3, v13
	v_mul_lo_u32 v12, v12, s14
	s_nop 0
	v_cndmask_b32_e32 v14, v14, v15, vcc
	v_subrev_u32_e32 v15, s3, v13
	v_cndmask_b32_e32 v13, v13, v15, vcc
	v_add_u32_e32 v15, 1, v14
	v_cmp_le_u32_e32 vcc, s3, v13
	s_nop 1
	v_cndmask_b32_e32 v13, v14, v15, vcc
	v_mul_hi_u32 v14, v13, v11
	v_mul_lo_u32 v15, v13, s3
	v_mul_lo_u32 v16, v14, s4
	v_sub_u32_e32 v2, v2, v15
	v_sub_u32_e32 v15, v13, v16
	v_add_u32_e32 v17, 1, v14
	v_cmp_le_u32_e32 vcc, s4, v15
	v_subrev_u32_e32 v16, s4, v15
	v_mul_lo_u32 v2, v2, s13
	v_cndmask_b32_e32 v14, v14, v17, vcc
	v_cndmask_b32_e32 v15, v15, v16, vcc
	v_add_u32_e32 v16, 1, v14
	v_cmp_le_u32_e32 vcc, s4, v15
	s_nop 1
	v_cndmask_b32_e32 v14, v14, v16, vcc
	v_mul_lo_u32 v15, v14, s4
	v_mul_lo_u32 v14, v14, s11
	v_sub_u32_e32 v13, v13, v15
	v_add3_u32 v2, v14, v12, v2
	v_mul_lo_u32 v12, v13, s12
	v_add3_u32 v2, v2, v12, s23
	v_lshl_add_u64 v[12:13], v[2:3], 1, s[6:7]
	global_store_short v[12:13], v1, off
	s_andn2_b64 exec, exec, s[0:1]
	s_cbranch_execnz .LBB137_7
.LBB137_8:
	s_endpgm
	.section	.rodata,"a",@progbits
	.p2align	6, 0x0
	.amdhsa_kernel _ZN2at6native12_GLOBAL__N_135CatArrayBatchedCopy_alignedK_contigINS1_10OpaqueTypeILj2EEEjLi4ELi64ELi64ELi8EEEvPT_NS1_25CatArrInputTensorMetadataIS5_T0_XT2_EXT3_EEENS1_16TensorSizeStrideIS8_Lj4EEEiS8_
		.amdhsa_group_segment_fixed_size 0
		.amdhsa_private_segment_fixed_size 0
		.amdhsa_kernarg_size 3696
		.amdhsa_user_sgpr_count 2
		.amdhsa_user_sgpr_dispatch_ptr 0
		.amdhsa_user_sgpr_queue_ptr 0
		.amdhsa_user_sgpr_kernarg_segment_ptr 1
		.amdhsa_user_sgpr_dispatch_id 0
		.amdhsa_user_sgpr_kernarg_preload_length 0
		.amdhsa_user_sgpr_kernarg_preload_offset 0
		.amdhsa_user_sgpr_private_segment_size 0
		.amdhsa_uses_dynamic_stack 0
		.amdhsa_enable_private_segment 0
		.amdhsa_system_sgpr_workgroup_id_x 1
		.amdhsa_system_sgpr_workgroup_id_y 1
		.amdhsa_system_sgpr_workgroup_id_z 0
		.amdhsa_system_sgpr_workgroup_info 0
		.amdhsa_system_vgpr_workitem_id 0
		.amdhsa_next_free_vgpr 38
		.amdhsa_next_free_sgpr 32
		.amdhsa_accum_offset 40
		.amdhsa_reserve_vcc 1
		.amdhsa_float_round_mode_32 0
		.amdhsa_float_round_mode_16_64 0
		.amdhsa_float_denorm_mode_32 3
		.amdhsa_float_denorm_mode_16_64 3
		.amdhsa_dx10_clamp 1
		.amdhsa_ieee_mode 1
		.amdhsa_fp16_overflow 0
		.amdhsa_tg_split 0
		.amdhsa_exception_fp_ieee_invalid_op 0
		.amdhsa_exception_fp_denorm_src 0
		.amdhsa_exception_fp_ieee_div_zero 0
		.amdhsa_exception_fp_ieee_overflow 0
		.amdhsa_exception_fp_ieee_underflow 0
		.amdhsa_exception_fp_ieee_inexact 0
		.amdhsa_exception_int_div_zero 0
	.end_amdhsa_kernel
	.section	.text._ZN2at6native12_GLOBAL__N_135CatArrayBatchedCopy_alignedK_contigINS1_10OpaqueTypeILj2EEEjLi4ELi64ELi64ELi8EEEvPT_NS1_25CatArrInputTensorMetadataIS5_T0_XT2_EXT3_EEENS1_16TensorSizeStrideIS8_Lj4EEEiS8_,"axG",@progbits,_ZN2at6native12_GLOBAL__N_135CatArrayBatchedCopy_alignedK_contigINS1_10OpaqueTypeILj2EEEjLi4ELi64ELi64ELi8EEEvPT_NS1_25CatArrInputTensorMetadataIS5_T0_XT2_EXT3_EEENS1_16TensorSizeStrideIS8_Lj4EEEiS8_,comdat
.Lfunc_end137:
	.size	_ZN2at6native12_GLOBAL__N_135CatArrayBatchedCopy_alignedK_contigINS1_10OpaqueTypeILj2EEEjLi4ELi64ELi64ELi8EEEvPT_NS1_25CatArrInputTensorMetadataIS5_T0_XT2_EXT3_EEENS1_16TensorSizeStrideIS8_Lj4EEEiS8_, .Lfunc_end137-_ZN2at6native12_GLOBAL__N_135CatArrayBatchedCopy_alignedK_contigINS1_10OpaqueTypeILj2EEEjLi4ELi64ELi64ELi8EEEvPT_NS1_25CatArrInputTensorMetadataIS5_T0_XT2_EXT3_EEENS1_16TensorSizeStrideIS8_Lj4EEEiS8_
                                        ; -- End function
	.set _ZN2at6native12_GLOBAL__N_135CatArrayBatchedCopy_alignedK_contigINS1_10OpaqueTypeILj2EEEjLi4ELi64ELi64ELi8EEEvPT_NS1_25CatArrInputTensorMetadataIS5_T0_XT2_EXT3_EEENS1_16TensorSizeStrideIS8_Lj4EEEiS8_.num_vgpr, 38
	.set _ZN2at6native12_GLOBAL__N_135CatArrayBatchedCopy_alignedK_contigINS1_10OpaqueTypeILj2EEEjLi4ELi64ELi64ELi8EEEvPT_NS1_25CatArrInputTensorMetadataIS5_T0_XT2_EXT3_EEENS1_16TensorSizeStrideIS8_Lj4EEEiS8_.num_agpr, 0
	.set _ZN2at6native12_GLOBAL__N_135CatArrayBatchedCopy_alignedK_contigINS1_10OpaqueTypeILj2EEEjLi4ELi64ELi64ELi8EEEvPT_NS1_25CatArrInputTensorMetadataIS5_T0_XT2_EXT3_EEENS1_16TensorSizeStrideIS8_Lj4EEEiS8_.numbered_sgpr, 32
	.set _ZN2at6native12_GLOBAL__N_135CatArrayBatchedCopy_alignedK_contigINS1_10OpaqueTypeILj2EEEjLi4ELi64ELi64ELi8EEEvPT_NS1_25CatArrInputTensorMetadataIS5_T0_XT2_EXT3_EEENS1_16TensorSizeStrideIS8_Lj4EEEiS8_.num_named_barrier, 0
	.set _ZN2at6native12_GLOBAL__N_135CatArrayBatchedCopy_alignedK_contigINS1_10OpaqueTypeILj2EEEjLi4ELi64ELi64ELi8EEEvPT_NS1_25CatArrInputTensorMetadataIS5_T0_XT2_EXT3_EEENS1_16TensorSizeStrideIS8_Lj4EEEiS8_.private_seg_size, 0
	.set _ZN2at6native12_GLOBAL__N_135CatArrayBatchedCopy_alignedK_contigINS1_10OpaqueTypeILj2EEEjLi4ELi64ELi64ELi8EEEvPT_NS1_25CatArrInputTensorMetadataIS5_T0_XT2_EXT3_EEENS1_16TensorSizeStrideIS8_Lj4EEEiS8_.uses_vcc, 1
	.set _ZN2at6native12_GLOBAL__N_135CatArrayBatchedCopy_alignedK_contigINS1_10OpaqueTypeILj2EEEjLi4ELi64ELi64ELi8EEEvPT_NS1_25CatArrInputTensorMetadataIS5_T0_XT2_EXT3_EEENS1_16TensorSizeStrideIS8_Lj4EEEiS8_.uses_flat_scratch, 0
	.set _ZN2at6native12_GLOBAL__N_135CatArrayBatchedCopy_alignedK_contigINS1_10OpaqueTypeILj2EEEjLi4ELi64ELi64ELi8EEEvPT_NS1_25CatArrInputTensorMetadataIS5_T0_XT2_EXT3_EEENS1_16TensorSizeStrideIS8_Lj4EEEiS8_.has_dyn_sized_stack, 0
	.set _ZN2at6native12_GLOBAL__N_135CatArrayBatchedCopy_alignedK_contigINS1_10OpaqueTypeILj2EEEjLi4ELi64ELi64ELi8EEEvPT_NS1_25CatArrInputTensorMetadataIS5_T0_XT2_EXT3_EEENS1_16TensorSizeStrideIS8_Lj4EEEiS8_.has_recursion, 0
	.set _ZN2at6native12_GLOBAL__N_135CatArrayBatchedCopy_alignedK_contigINS1_10OpaqueTypeILj2EEEjLi4ELi64ELi64ELi8EEEvPT_NS1_25CatArrInputTensorMetadataIS5_T0_XT2_EXT3_EEENS1_16TensorSizeStrideIS8_Lj4EEEiS8_.has_indirect_call, 0
	.section	.AMDGPU.csdata,"",@progbits
; Kernel info:
; codeLenInByte = 2172
; TotalNumSgprs: 38
; NumVgprs: 38
; NumAgprs: 0
; TotalNumVgprs: 38
; ScratchSize: 0
; MemoryBound: 0
; FloatMode: 240
; IeeeMode: 1
; LDSByteSize: 0 bytes/workgroup (compile time only)
; SGPRBlocks: 4
; VGPRBlocks: 4
; NumSGPRsForWavesPerEU: 38
; NumVGPRsForWavesPerEU: 38
; AccumOffset: 40
; Occupancy: 8
; WaveLimiterHint : 1
; COMPUTE_PGM_RSRC2:SCRATCH_EN: 0
; COMPUTE_PGM_RSRC2:USER_SGPR: 2
; COMPUTE_PGM_RSRC2:TRAP_HANDLER: 0
; COMPUTE_PGM_RSRC2:TGID_X_EN: 1
; COMPUTE_PGM_RSRC2:TGID_Y_EN: 1
; COMPUTE_PGM_RSRC2:TGID_Z_EN: 0
; COMPUTE_PGM_RSRC2:TIDIG_COMP_CNT: 0
; COMPUTE_PGM_RSRC3_GFX90A:ACCUM_OFFSET: 9
; COMPUTE_PGM_RSRC3_GFX90A:TG_SPLIT: 0
	.section	.text._ZN2at6native12_GLOBAL__N_126CatArrayBatchedCopy_contigINS1_10OpaqueTypeILj2EEEjLi4ELi64ELi64EEEvPT_NS1_25CatArrInputTensorMetadataIS5_T0_XT2_EXT3_EEENS1_16TensorSizeStrideIS8_Lj4EEEiS8_,"axG",@progbits,_ZN2at6native12_GLOBAL__N_126CatArrayBatchedCopy_contigINS1_10OpaqueTypeILj2EEEjLi4ELi64ELi64EEEvPT_NS1_25CatArrInputTensorMetadataIS5_T0_XT2_EXT3_EEENS1_16TensorSizeStrideIS8_Lj4EEEiS8_,comdat
	.globl	_ZN2at6native12_GLOBAL__N_126CatArrayBatchedCopy_contigINS1_10OpaqueTypeILj2EEEjLi4ELi64ELi64EEEvPT_NS1_25CatArrInputTensorMetadataIS5_T0_XT2_EXT3_EEENS1_16TensorSizeStrideIS8_Lj4EEEiS8_ ; -- Begin function _ZN2at6native12_GLOBAL__N_126CatArrayBatchedCopy_contigINS1_10OpaqueTypeILj2EEEjLi4ELi64ELi64EEEvPT_NS1_25CatArrInputTensorMetadataIS5_T0_XT2_EXT3_EEENS1_16TensorSizeStrideIS8_Lj4EEEiS8_
	.p2align	8
	.type	_ZN2at6native12_GLOBAL__N_126CatArrayBatchedCopy_contigINS1_10OpaqueTypeILj2EEEjLi4ELi64ELi64EEEvPT_NS1_25CatArrInputTensorMetadataIS5_T0_XT2_EXT3_EEENS1_16TensorSizeStrideIS8_Lj4EEEiS8_,@function
_ZN2at6native12_GLOBAL__N_126CatArrayBatchedCopy_contigINS1_10OpaqueTypeILj2EEEjLi4ELi64ELi64EEEvPT_NS1_25CatArrInputTensorMetadataIS5_T0_XT2_EXT3_EEENS1_16TensorSizeStrideIS8_Lj4EEEiS8_: ; @_ZN2at6native12_GLOBAL__N_126CatArrayBatchedCopy_contigINS1_10OpaqueTypeILj2EEEjLi4ELi64ELi64EEEvPT_NS1_25CatArrInputTensorMetadataIS5_T0_XT2_EXT3_EEENS1_16TensorSizeStrideIS8_Lj4EEEiS8_
; %bb.0:
	s_mov_b32 s4, s3
	s_load_dword s3, s[0:1], 0xd7c
	s_add_u32 s16, s0, 0xd70
	s_mov_b32 s5, 0
	s_addc_u32 s17, s1, 0
	s_lshl_b64 s[14:15], s[4:5], 2
	s_waitcnt lgkmcnt(0)
	s_and_b32 s19, s3, 0xffff
	s_add_u32 s4, s0, s14
	s_addc_u32 s5, s1, s15
	s_load_dword s18, s[4:5], 0x408
	s_mul_i32 s2, s2, s19
	v_add_u32_e32 v0, s2, v0
	s_add_u32 s20, s4, 8
	s_addc_u32 s21, s5, 0
	s_waitcnt lgkmcnt(0)
	v_cmp_gt_u32_e32 vcc, s18, v0
	s_and_saveexec_b64 s[2:3], vcc
	s_cbranch_execz .LBB138_3
; %bb.1:
	s_add_u32 s20, s20, s14
	s_load_dwordx2 s[2:3], s[0:1], 0xd5c
	s_load_dwordx4 s[4:7], s[0:1], 0xd58
	s_load_dwordx2 s[12:13], s[0:1], 0x0
	s_load_dwordx4 s[8:11], s[0:1], 0xd4c
	s_addc_u32 s21, s21, s15
	s_waitcnt lgkmcnt(0)
	s_sub_u32 s5, 0, s14
	s_subb_u32 s6, 0, s15
	s_add_u32 s22, s20, s5
	s_addc_u32 s23, s21, s6
	s_load_dwordx2 s[24:25], s[0:1], 0xd68
	s_load_dwordx2 s[14:15], s[20:21], 0x0
	s_load_dword s11, s[22:23], 0x300
	s_load_dword s26, s[22:23], 0x200
	s_mov_b32 s5, s7
	s_waitcnt lgkmcnt(0)
	s_cmp_eq_u32 s24, 3
	s_load_dword s16, s[16:17], 0x0
	s_cselect_b32 s6, s11, s10
	v_cvt_f32_u32_e32 v1, s6
	s_cmp_eq_u32 s24, 2
	s_cselect_b32 s9, s11, s9
	v_cvt_f32_u32_e32 v2, s9
	v_rcp_iflag_f32_e32 v1, v1
	s_cmp_eq_u32 s24, 1
	s_cselect_b32 s8, s11, s8
	s_sub_i32 s11, 0, s6
	v_mul_f32_e32 v1, 0x4f7ffffe, v1
	v_cvt_u32_f32_e32 v1, v1
	v_rcp_iflag_f32_e32 v4, v2
	s_waitcnt lgkmcnt(0)
	s_mul_i32 s10, s16, s19
	s_sub_i32 s16, 0, s9
	v_mul_lo_u32 v3, s11, v1
	v_mul_hi_u32 v2, v1, v3
	v_cvt_f32_u32_e32 v3, s8
	v_add_u32_e32 v2, v1, v2
	v_mul_f32_e32 v1, 0x4f7ffffe, v4
	v_cvt_u32_f32_e32 v4, v1
	v_rcp_iflag_f32_e32 v3, v3
	s_mov_b64 s[0:1], 0
	s_mul_i32 s7, s26, s25
	v_mul_lo_u32 v5, s16, v4
	v_mul_f32_e32 v3, 0x4f7ffffe, v3
	v_cvt_u32_f32_e32 v6, v3
	v_mul_hi_u32 v3, v4, v5
	s_sub_i32 s16, 0, s8
	v_add_u32_e32 v3, v4, v3
	v_mul_lo_u32 v4, s16, v6
	v_mul_hi_u32 v4, v6, v4
	v_mov_b32_e32 v1, 0
	v_add_u32_e32 v4, v6, v4
.LBB138_2:                              ; =>This Inner Loop Header: Depth=1
	v_lshl_add_u64 v[6:7], v[0:1], 1, s[14:15]
	global_load_ushort v5, v[6:7], off
	v_mul_hi_u32 v6, v2, v0
	v_mul_lo_u32 v8, s6, v6
	v_not_b32_e32 v9, v6
	v_sub_u32_e32 v11, v0, v8
	v_add_u32_e32 v10, 1, v6
	v_mad_u64_u32 v[8:9], s[16:17], s6, v9, v[0:1]
	v_cmp_le_u32_e32 vcc, s6, v11
	v_mov_b32_e32 v7, v1
	s_nop 0
	v_cndmask_b32_e32 v6, v6, v10, vcc
	v_cndmask_b32_e32 v8, v11, v8, vcc
	v_add_u32_e32 v9, 1, v6
	v_cmp_le_u32_e32 vcc, s6, v8
	s_nop 1
	v_cndmask_b32_e32 v6, v6, v9, vcc
	v_mul_hi_u32 v10, v6, v3
	v_mad_u64_u32 v[8:9], s[16:17], s11, v6, v[0:1]
	v_add_u32_e32 v0, s10, v0
	v_mul_lo_u32 v9, v10, s9
	v_cmp_le_u32_e32 vcc, s18, v0
	v_sub_u32_e32 v9, v6, v9
	v_add_u32_e32 v11, 1, v10
	s_or_b64 s[0:1], vcc, s[0:1]
	v_cmp_le_u32_e32 vcc, s9, v9
	v_mul_lo_u32 v8, v8, s5
	s_nop 0
	v_cndmask_b32_e32 v10, v10, v11, vcc
	v_subrev_u32_e32 v11, s9, v9
	v_cndmask_b32_e32 v9, v9, v11, vcc
	v_add_u32_e32 v11, 1, v10
	v_cmp_le_u32_e32 vcc, s9, v9
	s_nop 1
	v_cndmask_b32_e32 v9, v10, v11, vcc
	v_mul_hi_u32 v10, v9, v4
	v_mul_lo_u32 v11, v9, s9
	v_mul_lo_u32 v12, v10, s8
	v_sub_u32_e32 v6, v6, v11
	v_sub_u32_e32 v11, v9, v12
	v_add_u32_e32 v13, 1, v10
	v_cmp_le_u32_e32 vcc, s8, v11
	v_subrev_u32_e32 v12, s8, v11
	v_mul_lo_u32 v6, v6, s3
	v_cndmask_b32_e32 v10, v10, v13, vcc
	v_cndmask_b32_e32 v11, v11, v12, vcc
	v_add_u32_e32 v12, 1, v10
	v_cmp_le_u32_e32 vcc, s8, v11
	s_nop 1
	v_cndmask_b32_e32 v10, v10, v12, vcc
	v_mul_lo_u32 v11, v10, s8
	v_mul_lo_u32 v10, v10, s4
	v_sub_u32_e32 v9, v9, v11
	v_add3_u32 v8, v8, s7, v10
	v_mul_lo_u32 v9, v9, s2
	v_add3_u32 v6, v8, v6, v9
	v_lshl_add_u64 v[6:7], v[6:7], 1, s[12:13]
	s_waitcnt vmcnt(0)
	global_store_short v[6:7], v5, off
	s_andn2_b64 exec, exec, s[0:1]
	s_cbranch_execnz .LBB138_2
.LBB138_3:
	s_endpgm
	.section	.rodata,"a",@progbits
	.p2align	6, 0x0
	.amdhsa_kernel _ZN2at6native12_GLOBAL__N_126CatArrayBatchedCopy_contigINS1_10OpaqueTypeILj2EEEjLi4ELi64ELi64EEEvPT_NS1_25CatArrInputTensorMetadataIS5_T0_XT2_EXT3_EEENS1_16TensorSizeStrideIS8_Lj4EEEiS8_
		.amdhsa_group_segment_fixed_size 0
		.amdhsa_private_segment_fixed_size 0
		.amdhsa_kernarg_size 3696
		.amdhsa_user_sgpr_count 2
		.amdhsa_user_sgpr_dispatch_ptr 0
		.amdhsa_user_sgpr_queue_ptr 0
		.amdhsa_user_sgpr_kernarg_segment_ptr 1
		.amdhsa_user_sgpr_dispatch_id 0
		.amdhsa_user_sgpr_kernarg_preload_length 0
		.amdhsa_user_sgpr_kernarg_preload_offset 0
		.amdhsa_user_sgpr_private_segment_size 0
		.amdhsa_uses_dynamic_stack 0
		.amdhsa_enable_private_segment 0
		.amdhsa_system_sgpr_workgroup_id_x 1
		.amdhsa_system_sgpr_workgroup_id_y 1
		.amdhsa_system_sgpr_workgroup_id_z 0
		.amdhsa_system_sgpr_workgroup_info 0
		.amdhsa_system_vgpr_workitem_id 0
		.amdhsa_next_free_vgpr 14
		.amdhsa_next_free_sgpr 27
		.amdhsa_accum_offset 16
		.amdhsa_reserve_vcc 1
		.amdhsa_float_round_mode_32 0
		.amdhsa_float_round_mode_16_64 0
		.amdhsa_float_denorm_mode_32 3
		.amdhsa_float_denorm_mode_16_64 3
		.amdhsa_dx10_clamp 1
		.amdhsa_ieee_mode 1
		.amdhsa_fp16_overflow 0
		.amdhsa_tg_split 0
		.amdhsa_exception_fp_ieee_invalid_op 0
		.amdhsa_exception_fp_denorm_src 0
		.amdhsa_exception_fp_ieee_div_zero 0
		.amdhsa_exception_fp_ieee_overflow 0
		.amdhsa_exception_fp_ieee_underflow 0
		.amdhsa_exception_fp_ieee_inexact 0
		.amdhsa_exception_int_div_zero 0
	.end_amdhsa_kernel
	.section	.text._ZN2at6native12_GLOBAL__N_126CatArrayBatchedCopy_contigINS1_10OpaqueTypeILj2EEEjLi4ELi64ELi64EEEvPT_NS1_25CatArrInputTensorMetadataIS5_T0_XT2_EXT3_EEENS1_16TensorSizeStrideIS8_Lj4EEEiS8_,"axG",@progbits,_ZN2at6native12_GLOBAL__N_126CatArrayBatchedCopy_contigINS1_10OpaqueTypeILj2EEEjLi4ELi64ELi64EEEvPT_NS1_25CatArrInputTensorMetadataIS5_T0_XT2_EXT3_EEENS1_16TensorSizeStrideIS8_Lj4EEEiS8_,comdat
.Lfunc_end138:
	.size	_ZN2at6native12_GLOBAL__N_126CatArrayBatchedCopy_contigINS1_10OpaqueTypeILj2EEEjLi4ELi64ELi64EEEvPT_NS1_25CatArrInputTensorMetadataIS5_T0_XT2_EXT3_EEENS1_16TensorSizeStrideIS8_Lj4EEEiS8_, .Lfunc_end138-_ZN2at6native12_GLOBAL__N_126CatArrayBatchedCopy_contigINS1_10OpaqueTypeILj2EEEjLi4ELi64ELi64EEEvPT_NS1_25CatArrInputTensorMetadataIS5_T0_XT2_EXT3_EEENS1_16TensorSizeStrideIS8_Lj4EEEiS8_
                                        ; -- End function
	.set _ZN2at6native12_GLOBAL__N_126CatArrayBatchedCopy_contigINS1_10OpaqueTypeILj2EEEjLi4ELi64ELi64EEEvPT_NS1_25CatArrInputTensorMetadataIS5_T0_XT2_EXT3_EEENS1_16TensorSizeStrideIS8_Lj4EEEiS8_.num_vgpr, 14
	.set _ZN2at6native12_GLOBAL__N_126CatArrayBatchedCopy_contigINS1_10OpaqueTypeILj2EEEjLi4ELi64ELi64EEEvPT_NS1_25CatArrInputTensorMetadataIS5_T0_XT2_EXT3_EEENS1_16TensorSizeStrideIS8_Lj4EEEiS8_.num_agpr, 0
	.set _ZN2at6native12_GLOBAL__N_126CatArrayBatchedCopy_contigINS1_10OpaqueTypeILj2EEEjLi4ELi64ELi64EEEvPT_NS1_25CatArrInputTensorMetadataIS5_T0_XT2_EXT3_EEENS1_16TensorSizeStrideIS8_Lj4EEEiS8_.numbered_sgpr, 27
	.set _ZN2at6native12_GLOBAL__N_126CatArrayBatchedCopy_contigINS1_10OpaqueTypeILj2EEEjLi4ELi64ELi64EEEvPT_NS1_25CatArrInputTensorMetadataIS5_T0_XT2_EXT3_EEENS1_16TensorSizeStrideIS8_Lj4EEEiS8_.num_named_barrier, 0
	.set _ZN2at6native12_GLOBAL__N_126CatArrayBatchedCopy_contigINS1_10OpaqueTypeILj2EEEjLi4ELi64ELi64EEEvPT_NS1_25CatArrInputTensorMetadataIS5_T0_XT2_EXT3_EEENS1_16TensorSizeStrideIS8_Lj4EEEiS8_.private_seg_size, 0
	.set _ZN2at6native12_GLOBAL__N_126CatArrayBatchedCopy_contigINS1_10OpaqueTypeILj2EEEjLi4ELi64ELi64EEEvPT_NS1_25CatArrInputTensorMetadataIS5_T0_XT2_EXT3_EEENS1_16TensorSizeStrideIS8_Lj4EEEiS8_.uses_vcc, 1
	.set _ZN2at6native12_GLOBAL__N_126CatArrayBatchedCopy_contigINS1_10OpaqueTypeILj2EEEjLi4ELi64ELi64EEEvPT_NS1_25CatArrInputTensorMetadataIS5_T0_XT2_EXT3_EEENS1_16TensorSizeStrideIS8_Lj4EEEiS8_.uses_flat_scratch, 0
	.set _ZN2at6native12_GLOBAL__N_126CatArrayBatchedCopy_contigINS1_10OpaqueTypeILj2EEEjLi4ELi64ELi64EEEvPT_NS1_25CatArrInputTensorMetadataIS5_T0_XT2_EXT3_EEENS1_16TensorSizeStrideIS8_Lj4EEEiS8_.has_dyn_sized_stack, 0
	.set _ZN2at6native12_GLOBAL__N_126CatArrayBatchedCopy_contigINS1_10OpaqueTypeILj2EEEjLi4ELi64ELi64EEEvPT_NS1_25CatArrInputTensorMetadataIS5_T0_XT2_EXT3_EEENS1_16TensorSizeStrideIS8_Lj4EEEiS8_.has_recursion, 0
	.set _ZN2at6native12_GLOBAL__N_126CatArrayBatchedCopy_contigINS1_10OpaqueTypeILj2EEEjLi4ELi64ELi64EEEvPT_NS1_25CatArrInputTensorMetadataIS5_T0_XT2_EXT3_EEENS1_16TensorSizeStrideIS8_Lj4EEEiS8_.has_indirect_call, 0
	.section	.AMDGPU.csdata,"",@progbits
; Kernel info:
; codeLenInByte = 704
; TotalNumSgprs: 33
; NumVgprs: 14
; NumAgprs: 0
; TotalNumVgprs: 14
; ScratchSize: 0
; MemoryBound: 0
; FloatMode: 240
; IeeeMode: 1
; LDSByteSize: 0 bytes/workgroup (compile time only)
; SGPRBlocks: 4
; VGPRBlocks: 1
; NumSGPRsForWavesPerEU: 33
; NumVGPRsForWavesPerEU: 14
; AccumOffset: 16
; Occupancy: 8
; WaveLimiterHint : 1
; COMPUTE_PGM_RSRC2:SCRATCH_EN: 0
; COMPUTE_PGM_RSRC2:USER_SGPR: 2
; COMPUTE_PGM_RSRC2:TRAP_HANDLER: 0
; COMPUTE_PGM_RSRC2:TGID_X_EN: 1
; COMPUTE_PGM_RSRC2:TGID_Y_EN: 1
; COMPUTE_PGM_RSRC2:TGID_Z_EN: 0
; COMPUTE_PGM_RSRC2:TIDIG_COMP_CNT: 0
; COMPUTE_PGM_RSRC3_GFX90A:ACCUM_OFFSET: 3
; COMPUTE_PGM_RSRC3_GFX90A:TG_SPLIT: 0
	.section	.text._ZN2at6native12_GLOBAL__N_119CatArrayBatchedCopyINS1_10OpaqueTypeILj2EEEjLi4ELi64ELi64EEEvPT_NS1_25CatArrInputTensorMetadataIS5_T0_XT2_EXT3_EEENS1_16TensorSizeStrideIS8_Lj4EEEiS8_,"axG",@progbits,_ZN2at6native12_GLOBAL__N_119CatArrayBatchedCopyINS1_10OpaqueTypeILj2EEEjLi4ELi64ELi64EEEvPT_NS1_25CatArrInputTensorMetadataIS5_T0_XT2_EXT3_EEENS1_16TensorSizeStrideIS8_Lj4EEEiS8_,comdat
	.globl	_ZN2at6native12_GLOBAL__N_119CatArrayBatchedCopyINS1_10OpaqueTypeILj2EEEjLi4ELi64ELi64EEEvPT_NS1_25CatArrInputTensorMetadataIS5_T0_XT2_EXT3_EEENS1_16TensorSizeStrideIS8_Lj4EEEiS8_ ; -- Begin function _ZN2at6native12_GLOBAL__N_119CatArrayBatchedCopyINS1_10OpaqueTypeILj2EEEjLi4ELi64ELi64EEEvPT_NS1_25CatArrInputTensorMetadataIS5_T0_XT2_EXT3_EEENS1_16TensorSizeStrideIS8_Lj4EEEiS8_
	.p2align	8
	.type	_ZN2at6native12_GLOBAL__N_119CatArrayBatchedCopyINS1_10OpaqueTypeILj2EEEjLi4ELi64ELi64EEEvPT_NS1_25CatArrInputTensorMetadataIS5_T0_XT2_EXT3_EEENS1_16TensorSizeStrideIS8_Lj4EEEiS8_,@function
_ZN2at6native12_GLOBAL__N_119CatArrayBatchedCopyINS1_10OpaqueTypeILj2EEEjLi4ELi64ELi64EEEvPT_NS1_25CatArrInputTensorMetadataIS5_T0_XT2_EXT3_EEENS1_16TensorSizeStrideIS8_Lj4EEEiS8_: ; @_ZN2at6native12_GLOBAL__N_119CatArrayBatchedCopyINS1_10OpaqueTypeILj2EEEjLi4ELi64ELi64EEEvPT_NS1_25CatArrInputTensorMetadataIS5_T0_XT2_EXT3_EEENS1_16TensorSizeStrideIS8_Lj4EEEiS8_
; %bb.0:
	s_load_dword s4, s[0:1], 0xd7c
	s_mov_b32 s10, s3
	s_or_b32 s3, s0, 8
	s_add_u32 s16, s0, 0xd70
	s_mov_b32 s11, 0
	s_addc_u32 s17, s1, 0
	s_waitcnt lgkmcnt(0)
	s_and_b32 s18, s4, 0xffff
	s_lshl_b64 s[8:9], s[10:11], 2
	s_add_u32 s4, s3, s8
	s_addc_u32 s5, s1, s9
	s_load_dword s24, s[4:5], 0x400
	s_mul_i32 s2, s2, s18
	v_add_u32_e32 v0, s2, v0
	s_waitcnt lgkmcnt(0)
	v_cmp_gt_u32_e32 vcc, s24, v0
	s_and_saveexec_b64 s[12:13], vcc
	s_cbranch_execz .LBB139_5
; %bb.1:
	s_mul_i32 s7, s10, 28
	s_mul_hi_u32 s2, s10, 28
	s_add_u32 s20, s4, s7
	s_addc_u32 s21, s5, s2
	s_add_u32 s26, s3, s10
	s_addc_u32 s27, s1, 0
	v_mov_b32_e32 v1, 0
	global_load_ubyte v2, v1, s[26:27] offset:1280
	s_mul_hi_u32 s19, s10, 7
	s_mul_i32 s25, s10, 7
	s_load_dwordx4 s[4:7], s[0:1], 0xd58
	s_load_dwordx2 s[22:23], s[0:1], 0xd68
	s_load_dwordx2 s[2:3], s[0:1], 0x0
	s_load_dwordx4 s[12:15], s[0:1], 0xd4c
	s_waitcnt lgkmcnt(0)
	s_load_dword s15, s[16:17], 0x0
                                        ; kill: killed $sgpr0 killed $sgpr1
	s_load_dwordx2 s[0:1], s[20:21], 0x544
	s_load_dword s30, s[20:21], 0x54c
                                        ; kill: killed $sgpr16 killed $sgpr17
	s_mov_b64 s[16:17], 0
	s_waitcnt lgkmcnt(0)
	s_mul_i32 s15, s15, s18
	s_waitcnt vmcnt(0)
	v_and_b32_e32 v2, 1, v2
	v_cmp_eq_u32_e32 vcc, 1, v2
	s_xor_b64 s[10:11], vcc, -1
	s_add_u32 s26, s26, s25
	s_addc_u32 s27, s27, s19
	s_sub_u32 s8, 0, s8
	s_subb_u32 s9, 0, s9
	s_add_u32 s28, s26, s8
	s_addc_u32 s29, s27, s9
	v_cndmask_b32_e64 v2, 0, 1, s[10:11]
	s_load_dword s25, s[28:29], 0x200
	s_load_dword s31, s[28:29], 0x300
	s_load_dwordx4 s[8:11], s[20:21], 0x550
	s_load_dwordx2 s[18:19], s[26:27], 0x0
	s_cmp_eq_u32 s22, 3
	s_waitcnt lgkmcnt(0)
	s_mul_i32 s20, s25, s23
	s_cselect_b32 s14, s31, s14
	s_cselect_b32 s21, s31, s30
	s_cmp_eq_u32 s22, 2
	s_cselect_b32 s13, s31, s13
	s_cselect_b32 s23, s31, s1
	s_cmp_eq_u32 s22, 1
	v_cvt_f32_u32_e32 v3, s14
	v_cvt_f32_u32_e32 v4, s21
	s_cselect_b32 s12, s31, s12
	s_cselect_b32 s22, s31, s0
	v_cvt_f32_u32_e32 v5, s13
	v_cvt_f32_u32_e32 v6, s23
	;; [unrolled: 1-line block ×4, first 2 shown]
	v_rcp_iflag_f32_e32 v3, v3
	v_rcp_iflag_f32_e32 v4, v4
	;; [unrolled: 1-line block ×6, first 2 shown]
	v_mul_f32_e32 v3, 0x4f7ffffe, v3
	v_mul_f32_e32 v4, 0x4f7ffffe, v4
	v_cvt_u32_f32_e32 v3, v3
	v_mul_f32_e32 v5, 0x4f7ffffe, v5
	v_cvt_u32_f32_e32 v9, v4
	;; [unrolled: 2-line block ×5, first 2 shown]
	v_cvt_u32_f32_e32 v10, v4
	s_sub_i32 s25, 0, s14
	s_sub_i32 s26, 0, s21
	;; [unrolled: 1-line block ×4, first 2 shown]
	v_mul_lo_u32 v4, s25, v3
	v_mul_lo_u32 v5, s26, v9
	s_sub_i32 s27, 0, s12
	s_sub_i32 s28, 0, s22
	v_mul_hi_u32 v4, v3, v4
	v_mul_lo_u32 v11, s0, v6
	v_mul_hi_u32 v5, v9, v5
	v_mul_lo_u32 v12, s1, v7
	v_add_u32_e32 v4, v3, v4
	v_mul_hi_u32 v3, v6, v11
	v_mul_lo_u32 v11, s27, v8
	v_add_u32_e32 v5, v9, v5
	;; [unrolled: 3-line block ×3, first 2 shown]
	v_mul_hi_u32 v3, v8, v11
	v_add_u32_e32 v7, v7, v9
	v_mul_hi_u32 v9, v10, v12
	v_add_u32_e32 v8, v8, v3
	v_add_u32_e32 v9, v10, v9
	v_cmp_ne_u32_e64 s[0:1], 1, v2
	s_branch .LBB139_3
.LBB139_2:                              ;   in Loop: Header=BB139_3 Depth=1
	v_lshl_add_u64 v[2:3], v[2:3], 1, s[18:19]
	global_load_ushort v12, v[2:3], off
	v_mul_hi_u32 v10, v4, v0
	v_mad_u64_u32 v[2:3], s[28:29], s25, v10, v[0:1]
	v_not_b32_e32 v11, v10
	v_add_u32_e32 v3, 1, v10
	v_cmp_le_u32_e32 vcc, s14, v2
	s_nop 1
	v_cndmask_b32_e32 v3, v10, v3, vcc
	v_mad_u64_u32 v[10:11], s[28:29], s14, v11, v[0:1]
	v_cndmask_b32_e32 v2, v2, v10, vcc
	v_add_u32_e32 v10, 1, v3
	v_cmp_le_u32_e32 vcc, s14, v2
	s_nop 1
	v_cndmask_b32_e32 v2, v3, v10, vcc
	v_mul_hi_u32 v3, v2, v6
	v_mul_lo_u32 v10, v3, s13
	v_sub_u32_e32 v10, v2, v10
	v_add_u32_e32 v11, 1, v3
	v_cmp_le_u32_e32 vcc, s13, v10
	s_nop 1
	v_cndmask_b32_e32 v3, v3, v11, vcc
	v_subrev_u32_e32 v11, s13, v10
	v_cndmask_b32_e32 v10, v10, v11, vcc
	v_add_u32_e32 v11, 1, v3
	v_cmp_le_u32_e32 vcc, s13, v10
	s_nop 1
	v_cndmask_b32_e32 v10, v3, v11, vcc
	v_mul_lo_u32 v3, v10, s13
	v_sub_u32_e32 v3, v2, v3
	v_mul_lo_u32 v11, v3, s6
	v_mad_u64_u32 v[2:3], s[28:29], s25, v2, v[0:1]
	v_mul_hi_u32 v3, v10, v8
	v_mul_lo_u32 v13, v3, s12
	v_sub_u32_e32 v13, v10, v13
	v_add_u32_e32 v14, 1, v3
	v_cmp_le_u32_e32 vcc, s12, v13
	v_mul_lo_u32 v2, v2, s7
	v_add_u32_e32 v0, s15, v0
	v_cndmask_b32_e32 v3, v3, v14, vcc
	v_subrev_u32_e32 v14, s12, v13
	v_cndmask_b32_e32 v13, v13, v14, vcc
	v_add_u32_e32 v14, 1, v3
	v_cmp_le_u32_e32 vcc, s12, v13
	s_nop 1
	v_cndmask_b32_e32 v3, v3, v14, vcc
	v_mul_lo_u32 v13, v3, s12
	v_sub_u32_e32 v10, v10, v13
	v_mul_lo_u32 v3, v3, s4
	v_mul_lo_u32 v10, v10, s5
	v_add3_u32 v2, v3, v2, v11
	v_add3_u32 v2, v2, v10, s20
	v_mov_b32_e32 v3, v1
	v_cmp_le_u32_e32 vcc, s24, v0
	v_lshl_add_u64 v[2:3], v[2:3], 1, s[2:3]
	s_or_b64 s[16:17], vcc, s[16:17]
	s_waitcnt vmcnt(0)
	global_store_short v[2:3], v12, off
	s_andn2_b64 exec, exec, s[16:17]
	s_cbranch_execz .LBB139_5
.LBB139_3:                              ; =>This Inner Loop Header: Depth=1
	s_and_b64 vcc, exec, s[0:1]
	v_mov_b64_e32 v[2:3], v[0:1]
	s_cbranch_vccnz .LBB139_2
; %bb.4:                                ;   in Loop: Header=BB139_3 Depth=1
	v_mul_hi_u32 v10, v5, v0
	v_mad_u64_u32 v[2:3], s[28:29], s26, v10, v[0:1]
	v_not_b32_e32 v11, v10
	v_add_u32_e32 v3, 1, v10
	v_cmp_le_u32_e32 vcc, s21, v2
	s_nop 1
	v_cndmask_b32_e32 v3, v10, v3, vcc
	v_mad_u64_u32 v[10:11], s[28:29], s21, v11, v[0:1]
	v_cndmask_b32_e32 v2, v2, v10, vcc
	v_add_u32_e32 v10, 1, v3
	v_cmp_le_u32_e32 vcc, s21, v2
	s_nop 1
	v_cndmask_b32_e32 v2, v3, v10, vcc
	v_mul_hi_u32 v3, v2, v7
	v_mul_lo_u32 v10, v3, s23
	v_sub_u32_e32 v10, v2, v10
	v_add_u32_e32 v11, 1, v3
	v_cmp_le_u32_e32 vcc, s23, v10
	s_nop 1
	v_cndmask_b32_e32 v3, v3, v11, vcc
	v_subrev_u32_e32 v11, s23, v10
	v_cndmask_b32_e32 v10, v10, v11, vcc
	v_add_u32_e32 v11, 1, v3
	v_cmp_le_u32_e32 vcc, s23, v10
	s_nop 1
	v_cndmask_b32_e32 v10, v3, v11, vcc
	v_mul_lo_u32 v3, v10, s23
	v_sub_u32_e32 v3, v2, v3
	v_mul_lo_u32 v11, v3, s10
	v_mad_u64_u32 v[2:3], s[28:29], s26, v2, v[0:1]
	v_mul_hi_u32 v3, v10, v9
	v_mul_lo_u32 v12, v3, s22
	v_sub_u32_e32 v12, v10, v12
	v_add_u32_e32 v13, 1, v3
	v_cmp_le_u32_e32 vcc, s22, v12
	v_mul_lo_u32 v2, v2, s11
	s_nop 0
	v_cndmask_b32_e32 v3, v3, v13, vcc
	v_subrev_u32_e32 v13, s22, v12
	v_cndmask_b32_e32 v12, v12, v13, vcc
	v_add_u32_e32 v13, 1, v3
	v_cmp_le_u32_e32 vcc, s22, v12
	s_nop 1
	v_cndmask_b32_e32 v3, v3, v13, vcc
	v_mul_lo_u32 v12, v3, s22
	v_sub_u32_e32 v10, v10, v12
	v_mul_lo_u32 v10, v10, s9
	v_mad_u64_u32 v[2:3], s[28:29], v3, s8, v[2:3]
	v_add3_u32 v2, v2, v11, v10
	v_mov_b32_e32 v3, v1
	s_branch .LBB139_2
.LBB139_5:
	s_endpgm
	.section	.rodata,"a",@progbits
	.p2align	6, 0x0
	.amdhsa_kernel _ZN2at6native12_GLOBAL__N_119CatArrayBatchedCopyINS1_10OpaqueTypeILj2EEEjLi4ELi64ELi64EEEvPT_NS1_25CatArrInputTensorMetadataIS5_T0_XT2_EXT3_EEENS1_16TensorSizeStrideIS8_Lj4EEEiS8_
		.amdhsa_group_segment_fixed_size 0
		.amdhsa_private_segment_fixed_size 0
		.amdhsa_kernarg_size 3696
		.amdhsa_user_sgpr_count 2
		.amdhsa_user_sgpr_dispatch_ptr 0
		.amdhsa_user_sgpr_queue_ptr 0
		.amdhsa_user_sgpr_kernarg_segment_ptr 1
		.amdhsa_user_sgpr_dispatch_id 0
		.amdhsa_user_sgpr_kernarg_preload_length 0
		.amdhsa_user_sgpr_kernarg_preload_offset 0
		.amdhsa_user_sgpr_private_segment_size 0
		.amdhsa_uses_dynamic_stack 0
		.amdhsa_enable_private_segment 0
		.amdhsa_system_sgpr_workgroup_id_x 1
		.amdhsa_system_sgpr_workgroup_id_y 1
		.amdhsa_system_sgpr_workgroup_id_z 0
		.amdhsa_system_sgpr_workgroup_info 0
		.amdhsa_system_vgpr_workitem_id 0
		.amdhsa_next_free_vgpr 15
		.amdhsa_next_free_sgpr 32
		.amdhsa_accum_offset 16
		.amdhsa_reserve_vcc 1
		.amdhsa_float_round_mode_32 0
		.amdhsa_float_round_mode_16_64 0
		.amdhsa_float_denorm_mode_32 3
		.amdhsa_float_denorm_mode_16_64 3
		.amdhsa_dx10_clamp 1
		.amdhsa_ieee_mode 1
		.amdhsa_fp16_overflow 0
		.amdhsa_tg_split 0
		.amdhsa_exception_fp_ieee_invalid_op 0
		.amdhsa_exception_fp_denorm_src 0
		.amdhsa_exception_fp_ieee_div_zero 0
		.amdhsa_exception_fp_ieee_overflow 0
		.amdhsa_exception_fp_ieee_underflow 0
		.amdhsa_exception_fp_ieee_inexact 0
		.amdhsa_exception_int_div_zero 0
	.end_amdhsa_kernel
	.section	.text._ZN2at6native12_GLOBAL__N_119CatArrayBatchedCopyINS1_10OpaqueTypeILj2EEEjLi4ELi64ELi64EEEvPT_NS1_25CatArrInputTensorMetadataIS5_T0_XT2_EXT3_EEENS1_16TensorSizeStrideIS8_Lj4EEEiS8_,"axG",@progbits,_ZN2at6native12_GLOBAL__N_119CatArrayBatchedCopyINS1_10OpaqueTypeILj2EEEjLi4ELi64ELi64EEEvPT_NS1_25CatArrInputTensorMetadataIS5_T0_XT2_EXT3_EEENS1_16TensorSizeStrideIS8_Lj4EEEiS8_,comdat
.Lfunc_end139:
	.size	_ZN2at6native12_GLOBAL__N_119CatArrayBatchedCopyINS1_10OpaqueTypeILj2EEEjLi4ELi64ELi64EEEvPT_NS1_25CatArrInputTensorMetadataIS5_T0_XT2_EXT3_EEENS1_16TensorSizeStrideIS8_Lj4EEEiS8_, .Lfunc_end139-_ZN2at6native12_GLOBAL__N_119CatArrayBatchedCopyINS1_10OpaqueTypeILj2EEEjLi4ELi64ELi64EEEvPT_NS1_25CatArrInputTensorMetadataIS5_T0_XT2_EXT3_EEENS1_16TensorSizeStrideIS8_Lj4EEEiS8_
                                        ; -- End function
	.set _ZN2at6native12_GLOBAL__N_119CatArrayBatchedCopyINS1_10OpaqueTypeILj2EEEjLi4ELi64ELi64EEEvPT_NS1_25CatArrInputTensorMetadataIS5_T0_XT2_EXT3_EEENS1_16TensorSizeStrideIS8_Lj4EEEiS8_.num_vgpr, 15
	.set _ZN2at6native12_GLOBAL__N_119CatArrayBatchedCopyINS1_10OpaqueTypeILj2EEEjLi4ELi64ELi64EEEvPT_NS1_25CatArrInputTensorMetadataIS5_T0_XT2_EXT3_EEENS1_16TensorSizeStrideIS8_Lj4EEEiS8_.num_agpr, 0
	.set _ZN2at6native12_GLOBAL__N_119CatArrayBatchedCopyINS1_10OpaqueTypeILj2EEEjLi4ELi64ELi64EEEvPT_NS1_25CatArrInputTensorMetadataIS5_T0_XT2_EXT3_EEENS1_16TensorSizeStrideIS8_Lj4EEEiS8_.numbered_sgpr, 32
	.set _ZN2at6native12_GLOBAL__N_119CatArrayBatchedCopyINS1_10OpaqueTypeILj2EEEjLi4ELi64ELi64EEEvPT_NS1_25CatArrInputTensorMetadataIS5_T0_XT2_EXT3_EEENS1_16TensorSizeStrideIS8_Lj4EEEiS8_.num_named_barrier, 0
	.set _ZN2at6native12_GLOBAL__N_119CatArrayBatchedCopyINS1_10OpaqueTypeILj2EEEjLi4ELi64ELi64EEEvPT_NS1_25CatArrInputTensorMetadataIS5_T0_XT2_EXT3_EEENS1_16TensorSizeStrideIS8_Lj4EEEiS8_.private_seg_size, 0
	.set _ZN2at6native12_GLOBAL__N_119CatArrayBatchedCopyINS1_10OpaqueTypeILj2EEEjLi4ELi64ELi64EEEvPT_NS1_25CatArrInputTensorMetadataIS5_T0_XT2_EXT3_EEENS1_16TensorSizeStrideIS8_Lj4EEEiS8_.uses_vcc, 1
	.set _ZN2at6native12_GLOBAL__N_119CatArrayBatchedCopyINS1_10OpaqueTypeILj2EEEjLi4ELi64ELi64EEEvPT_NS1_25CatArrInputTensorMetadataIS5_T0_XT2_EXT3_EEENS1_16TensorSizeStrideIS8_Lj4EEEiS8_.uses_flat_scratch, 0
	.set _ZN2at6native12_GLOBAL__N_119CatArrayBatchedCopyINS1_10OpaqueTypeILj2EEEjLi4ELi64ELi64EEEvPT_NS1_25CatArrInputTensorMetadataIS5_T0_XT2_EXT3_EEENS1_16TensorSizeStrideIS8_Lj4EEEiS8_.has_dyn_sized_stack, 0
	.set _ZN2at6native12_GLOBAL__N_119CatArrayBatchedCopyINS1_10OpaqueTypeILj2EEEjLi4ELi64ELi64EEEvPT_NS1_25CatArrInputTensorMetadataIS5_T0_XT2_EXT3_EEENS1_16TensorSizeStrideIS8_Lj4EEEiS8_.has_recursion, 0
	.set _ZN2at6native12_GLOBAL__N_119CatArrayBatchedCopyINS1_10OpaqueTypeILj2EEEjLi4ELi64ELi64EEEvPT_NS1_25CatArrInputTensorMetadataIS5_T0_XT2_EXT3_EEENS1_16TensorSizeStrideIS8_Lj4EEEiS8_.has_indirect_call, 0
	.section	.AMDGPU.csdata,"",@progbits
; Kernel info:
; codeLenInByte = 1204
; TotalNumSgprs: 38
; NumVgprs: 15
; NumAgprs: 0
; TotalNumVgprs: 15
; ScratchSize: 0
; MemoryBound: 0
; FloatMode: 240
; IeeeMode: 1
; LDSByteSize: 0 bytes/workgroup (compile time only)
; SGPRBlocks: 4
; VGPRBlocks: 1
; NumSGPRsForWavesPerEU: 38
; NumVGPRsForWavesPerEU: 15
; AccumOffset: 16
; Occupancy: 8
; WaveLimiterHint : 1
; COMPUTE_PGM_RSRC2:SCRATCH_EN: 0
; COMPUTE_PGM_RSRC2:USER_SGPR: 2
; COMPUTE_PGM_RSRC2:TRAP_HANDLER: 0
; COMPUTE_PGM_RSRC2:TGID_X_EN: 1
; COMPUTE_PGM_RSRC2:TGID_Y_EN: 1
; COMPUTE_PGM_RSRC2:TGID_Z_EN: 0
; COMPUTE_PGM_RSRC2:TIDIG_COMP_CNT: 0
; COMPUTE_PGM_RSRC3_GFX90A:ACCUM_OFFSET: 3
; COMPUTE_PGM_RSRC3_GFX90A:TG_SPLIT: 0
	.section	.text._ZN2at6native12_GLOBAL__N_130CatArrayBatchedCopy_vectorizedINS1_10OpaqueTypeILj4EEEjLi1ELi64ELi64ELi16ELi4EEEvPcNS1_25CatArrInputTensorMetadataIT_T0_XT2_EXT3_EEENS1_16TensorSizeStrideIS8_Lj4EEEiS8_,"axG",@progbits,_ZN2at6native12_GLOBAL__N_130CatArrayBatchedCopy_vectorizedINS1_10OpaqueTypeILj4EEEjLi1ELi64ELi64ELi16ELi4EEEvPcNS1_25CatArrInputTensorMetadataIT_T0_XT2_EXT3_EEENS1_16TensorSizeStrideIS8_Lj4EEEiS8_,comdat
	.globl	_ZN2at6native12_GLOBAL__N_130CatArrayBatchedCopy_vectorizedINS1_10OpaqueTypeILj4EEEjLi1ELi64ELi64ELi16ELi4EEEvPcNS1_25CatArrInputTensorMetadataIT_T0_XT2_EXT3_EEENS1_16TensorSizeStrideIS8_Lj4EEEiS8_ ; -- Begin function _ZN2at6native12_GLOBAL__N_130CatArrayBatchedCopy_vectorizedINS1_10OpaqueTypeILj4EEEjLi1ELi64ELi64ELi16ELi4EEEvPcNS1_25CatArrInputTensorMetadataIT_T0_XT2_EXT3_EEENS1_16TensorSizeStrideIS8_Lj4EEEiS8_
	.p2align	8
	.type	_ZN2at6native12_GLOBAL__N_130CatArrayBatchedCopy_vectorizedINS1_10OpaqueTypeILj4EEEjLi1ELi64ELi64ELi16ELi4EEEvPcNS1_25CatArrInputTensorMetadataIT_T0_XT2_EXT3_EEENS1_16TensorSizeStrideIS8_Lj4EEEiS8_,@function
_ZN2at6native12_GLOBAL__N_130CatArrayBatchedCopy_vectorizedINS1_10OpaqueTypeILj4EEEjLi1ELi64ELi64ELi16ELi4EEEvPcNS1_25CatArrInputTensorMetadataIT_T0_XT2_EXT3_EEENS1_16TensorSizeStrideIS8_Lj4EEEiS8_: ; @_ZN2at6native12_GLOBAL__N_130CatArrayBatchedCopy_vectorizedINS1_10OpaqueTypeILj4EEEjLi1ELi64ELi64ELi16ELi4EEEvPcNS1_25CatArrInputTensorMetadataIT_T0_XT2_EXT3_EEENS1_16TensorSizeStrideIS8_Lj4EEEiS8_
; %bb.0:
	s_mov_b32 s4, s3
	s_load_dword s3, s[0:1], 0xd7c
	s_add_u32 s6, s0, 0xd70
	s_mov_b32 s5, 0
	s_addc_u32 s7, s1, 0
	s_lshl_b64 s[8:9], s[4:5], 2
	s_waitcnt lgkmcnt(0)
	s_and_b32 s11, s3, 0xffff
	s_add_u32 s12, s0, s8
	s_addc_u32 s13, s1, s9
	s_load_dword s4, s[12:13], 0x408
	s_mul_i32 s2, s2, s11
	v_add_u32_e32 v0, s2, v0
	s_add_u32 s2, s12, 8
	s_addc_u32 s3, s13, 0
	s_waitcnt lgkmcnt(0)
	s_lshr_b32 s10, s4, 2
	v_cmp_gt_u32_e32 vcc, s10, v0
	s_and_saveexec_b64 s[12:13], vcc
	s_cbranch_execz .LBB140_3
; %bb.1:
	s_add_u32 s12, s2, s8
	s_addc_u32 s13, s3, s9
	s_sub_u32 s2, 0, s8
	s_subb_u32 s3, 0, s9
	s_add_u32 s8, s12, s2
	s_addc_u32 s9, s13, s3
	s_load_dword s4, s[8:9], 0x200
	s_load_dwordx2 s[14:15], s[0:1], 0x0
	s_load_dword s16, s[0:1], 0xd6c
	s_load_dwordx2 s[2:3], s[12:13], 0x0
	s_load_dword s17, s[0:1], 0xd58
	s_load_dword s18, s[6:7], 0x0
	s_mov_b64 s[0:1], 0
	s_waitcnt lgkmcnt(0)
	s_mul_i32 s4, s4, s16
	s_lshr_b32 s4, s4, 2
	s_lshl_b64 s[4:5], s[4:5], 4
	s_mul_i32 s6, s18, s11
	s_add_u32 s4, s14, s4
	s_addc_u32 s5, s15, s5
	v_mul_lo_u32 v2, s17, v0
	s_mul_i32 s7, s6, s17
	v_mov_b32_e32 v3, 0
.LBB140_2:                              ; =>This Inner Loop Header: Depth=1
	v_mov_b32_e32 v1, v3
	v_lshl_add_u64 v[4:5], v[0:1], 4, s[2:3]
	global_load_dwordx4 v[4:7], v[4:5], off
	v_add_u32_e32 v0, s6, v0
	v_cmp_le_u32_e32 vcc, s10, v0
	v_lshl_add_u64 v[8:9], v[2:3], 4, s[4:5]
	v_add_u32_e32 v2, s7, v2
	s_or_b64 s[0:1], vcc, s[0:1]
	s_waitcnt vmcnt(0)
	global_store_dwordx4 v[8:9], v[4:7], off
	s_andn2_b64 exec, exec, s[0:1]
	s_cbranch_execnz .LBB140_2
.LBB140_3:
	s_endpgm
	.section	.rodata,"a",@progbits
	.p2align	6, 0x0
	.amdhsa_kernel _ZN2at6native12_GLOBAL__N_130CatArrayBatchedCopy_vectorizedINS1_10OpaqueTypeILj4EEEjLi1ELi64ELi64ELi16ELi4EEEvPcNS1_25CatArrInputTensorMetadataIT_T0_XT2_EXT3_EEENS1_16TensorSizeStrideIS8_Lj4EEEiS8_
		.amdhsa_group_segment_fixed_size 0
		.amdhsa_private_segment_fixed_size 0
		.amdhsa_kernarg_size 3696
		.amdhsa_user_sgpr_count 2
		.amdhsa_user_sgpr_dispatch_ptr 0
		.amdhsa_user_sgpr_queue_ptr 0
		.amdhsa_user_sgpr_kernarg_segment_ptr 1
		.amdhsa_user_sgpr_dispatch_id 0
		.amdhsa_user_sgpr_kernarg_preload_length 0
		.amdhsa_user_sgpr_kernarg_preload_offset 0
		.amdhsa_user_sgpr_private_segment_size 0
		.amdhsa_uses_dynamic_stack 0
		.amdhsa_enable_private_segment 0
		.amdhsa_system_sgpr_workgroup_id_x 1
		.amdhsa_system_sgpr_workgroup_id_y 1
		.amdhsa_system_sgpr_workgroup_id_z 0
		.amdhsa_system_sgpr_workgroup_info 0
		.amdhsa_system_vgpr_workitem_id 0
		.amdhsa_next_free_vgpr 10
		.amdhsa_next_free_sgpr 19
		.amdhsa_accum_offset 12
		.amdhsa_reserve_vcc 1
		.amdhsa_float_round_mode_32 0
		.amdhsa_float_round_mode_16_64 0
		.amdhsa_float_denorm_mode_32 3
		.amdhsa_float_denorm_mode_16_64 3
		.amdhsa_dx10_clamp 1
		.amdhsa_ieee_mode 1
		.amdhsa_fp16_overflow 0
		.amdhsa_tg_split 0
		.amdhsa_exception_fp_ieee_invalid_op 0
		.amdhsa_exception_fp_denorm_src 0
		.amdhsa_exception_fp_ieee_div_zero 0
		.amdhsa_exception_fp_ieee_overflow 0
		.amdhsa_exception_fp_ieee_underflow 0
		.amdhsa_exception_fp_ieee_inexact 0
		.amdhsa_exception_int_div_zero 0
	.end_amdhsa_kernel
	.section	.text._ZN2at6native12_GLOBAL__N_130CatArrayBatchedCopy_vectorizedINS1_10OpaqueTypeILj4EEEjLi1ELi64ELi64ELi16ELi4EEEvPcNS1_25CatArrInputTensorMetadataIT_T0_XT2_EXT3_EEENS1_16TensorSizeStrideIS8_Lj4EEEiS8_,"axG",@progbits,_ZN2at6native12_GLOBAL__N_130CatArrayBatchedCopy_vectorizedINS1_10OpaqueTypeILj4EEEjLi1ELi64ELi64ELi16ELi4EEEvPcNS1_25CatArrInputTensorMetadataIT_T0_XT2_EXT3_EEENS1_16TensorSizeStrideIS8_Lj4EEEiS8_,comdat
.Lfunc_end140:
	.size	_ZN2at6native12_GLOBAL__N_130CatArrayBatchedCopy_vectorizedINS1_10OpaqueTypeILj4EEEjLi1ELi64ELi64ELi16ELi4EEEvPcNS1_25CatArrInputTensorMetadataIT_T0_XT2_EXT3_EEENS1_16TensorSizeStrideIS8_Lj4EEEiS8_, .Lfunc_end140-_ZN2at6native12_GLOBAL__N_130CatArrayBatchedCopy_vectorizedINS1_10OpaqueTypeILj4EEEjLi1ELi64ELi64ELi16ELi4EEEvPcNS1_25CatArrInputTensorMetadataIT_T0_XT2_EXT3_EEENS1_16TensorSizeStrideIS8_Lj4EEEiS8_
                                        ; -- End function
	.set _ZN2at6native12_GLOBAL__N_130CatArrayBatchedCopy_vectorizedINS1_10OpaqueTypeILj4EEEjLi1ELi64ELi64ELi16ELi4EEEvPcNS1_25CatArrInputTensorMetadataIT_T0_XT2_EXT3_EEENS1_16TensorSizeStrideIS8_Lj4EEEiS8_.num_vgpr, 10
	.set _ZN2at6native12_GLOBAL__N_130CatArrayBatchedCopy_vectorizedINS1_10OpaqueTypeILj4EEEjLi1ELi64ELi64ELi16ELi4EEEvPcNS1_25CatArrInputTensorMetadataIT_T0_XT2_EXT3_EEENS1_16TensorSizeStrideIS8_Lj4EEEiS8_.num_agpr, 0
	.set _ZN2at6native12_GLOBAL__N_130CatArrayBatchedCopy_vectorizedINS1_10OpaqueTypeILj4EEEjLi1ELi64ELi64ELi16ELi4EEEvPcNS1_25CatArrInputTensorMetadataIT_T0_XT2_EXT3_EEENS1_16TensorSizeStrideIS8_Lj4EEEiS8_.numbered_sgpr, 19
	.set _ZN2at6native12_GLOBAL__N_130CatArrayBatchedCopy_vectorizedINS1_10OpaqueTypeILj4EEEjLi1ELi64ELi64ELi16ELi4EEEvPcNS1_25CatArrInputTensorMetadataIT_T0_XT2_EXT3_EEENS1_16TensorSizeStrideIS8_Lj4EEEiS8_.num_named_barrier, 0
	.set _ZN2at6native12_GLOBAL__N_130CatArrayBatchedCopy_vectorizedINS1_10OpaqueTypeILj4EEEjLi1ELi64ELi64ELi16ELi4EEEvPcNS1_25CatArrInputTensorMetadataIT_T0_XT2_EXT3_EEENS1_16TensorSizeStrideIS8_Lj4EEEiS8_.private_seg_size, 0
	.set _ZN2at6native12_GLOBAL__N_130CatArrayBatchedCopy_vectorizedINS1_10OpaqueTypeILj4EEEjLi1ELi64ELi64ELi16ELi4EEEvPcNS1_25CatArrInputTensorMetadataIT_T0_XT2_EXT3_EEENS1_16TensorSizeStrideIS8_Lj4EEEiS8_.uses_vcc, 1
	.set _ZN2at6native12_GLOBAL__N_130CatArrayBatchedCopy_vectorizedINS1_10OpaqueTypeILj4EEEjLi1ELi64ELi64ELi16ELi4EEEvPcNS1_25CatArrInputTensorMetadataIT_T0_XT2_EXT3_EEENS1_16TensorSizeStrideIS8_Lj4EEEiS8_.uses_flat_scratch, 0
	.set _ZN2at6native12_GLOBAL__N_130CatArrayBatchedCopy_vectorizedINS1_10OpaqueTypeILj4EEEjLi1ELi64ELi64ELi16ELi4EEEvPcNS1_25CatArrInputTensorMetadataIT_T0_XT2_EXT3_EEENS1_16TensorSizeStrideIS8_Lj4EEEiS8_.has_dyn_sized_stack, 0
	.set _ZN2at6native12_GLOBAL__N_130CatArrayBatchedCopy_vectorizedINS1_10OpaqueTypeILj4EEEjLi1ELi64ELi64ELi16ELi4EEEvPcNS1_25CatArrInputTensorMetadataIT_T0_XT2_EXT3_EEENS1_16TensorSizeStrideIS8_Lj4EEEiS8_.has_recursion, 0
	.set _ZN2at6native12_GLOBAL__N_130CatArrayBatchedCopy_vectorizedINS1_10OpaqueTypeILj4EEEjLi1ELi64ELi64ELi16ELi4EEEvPcNS1_25CatArrInputTensorMetadataIT_T0_XT2_EXT3_EEENS1_16TensorSizeStrideIS8_Lj4EEEiS8_.has_indirect_call, 0
	.section	.AMDGPU.csdata,"",@progbits
; Kernel info:
; codeLenInByte = 284
; TotalNumSgprs: 25
; NumVgprs: 10
; NumAgprs: 0
; TotalNumVgprs: 10
; ScratchSize: 0
; MemoryBound: 0
; FloatMode: 240
; IeeeMode: 1
; LDSByteSize: 0 bytes/workgroup (compile time only)
; SGPRBlocks: 3
; VGPRBlocks: 1
; NumSGPRsForWavesPerEU: 25
; NumVGPRsForWavesPerEU: 10
; AccumOffset: 12
; Occupancy: 8
; WaveLimiterHint : 1
; COMPUTE_PGM_RSRC2:SCRATCH_EN: 0
; COMPUTE_PGM_RSRC2:USER_SGPR: 2
; COMPUTE_PGM_RSRC2:TRAP_HANDLER: 0
; COMPUTE_PGM_RSRC2:TGID_X_EN: 1
; COMPUTE_PGM_RSRC2:TGID_Y_EN: 1
; COMPUTE_PGM_RSRC2:TGID_Z_EN: 0
; COMPUTE_PGM_RSRC2:TIDIG_COMP_CNT: 0
; COMPUTE_PGM_RSRC3_GFX90A:ACCUM_OFFSET: 2
; COMPUTE_PGM_RSRC3_GFX90A:TG_SPLIT: 0
	.section	.text._ZN2at6native12_GLOBAL__N_135CatArrayBatchedCopy_alignedK_contigINS1_10OpaqueTypeILj4EEEjLi1ELi64ELi64ELi16EEEvPT_NS1_25CatArrInputTensorMetadataIS5_T0_XT2_EXT3_EEENS1_16TensorSizeStrideIS8_Lj4EEEiS8_,"axG",@progbits,_ZN2at6native12_GLOBAL__N_135CatArrayBatchedCopy_alignedK_contigINS1_10OpaqueTypeILj4EEEjLi1ELi64ELi64ELi16EEEvPT_NS1_25CatArrInputTensorMetadataIS5_T0_XT2_EXT3_EEENS1_16TensorSizeStrideIS8_Lj4EEEiS8_,comdat
	.globl	_ZN2at6native12_GLOBAL__N_135CatArrayBatchedCopy_alignedK_contigINS1_10OpaqueTypeILj4EEEjLi1ELi64ELi64ELi16EEEvPT_NS1_25CatArrInputTensorMetadataIS5_T0_XT2_EXT3_EEENS1_16TensorSizeStrideIS8_Lj4EEEiS8_ ; -- Begin function _ZN2at6native12_GLOBAL__N_135CatArrayBatchedCopy_alignedK_contigINS1_10OpaqueTypeILj4EEEjLi1ELi64ELi64ELi16EEEvPT_NS1_25CatArrInputTensorMetadataIS5_T0_XT2_EXT3_EEENS1_16TensorSizeStrideIS8_Lj4EEEiS8_
	.p2align	8
	.type	_ZN2at6native12_GLOBAL__N_135CatArrayBatchedCopy_alignedK_contigINS1_10OpaqueTypeILj4EEEjLi1ELi64ELi64ELi16EEEvPT_NS1_25CatArrInputTensorMetadataIS5_T0_XT2_EXT3_EEENS1_16TensorSizeStrideIS8_Lj4EEEiS8_,@function
_ZN2at6native12_GLOBAL__N_135CatArrayBatchedCopy_alignedK_contigINS1_10OpaqueTypeILj4EEEjLi1ELi64ELi64ELi16EEEvPT_NS1_25CatArrInputTensorMetadataIS5_T0_XT2_EXT3_EEENS1_16TensorSizeStrideIS8_Lj4EEEiS8_: ; @_ZN2at6native12_GLOBAL__N_135CatArrayBatchedCopy_alignedK_contigINS1_10OpaqueTypeILj4EEEjLi1ELi64ELi64ELi16EEEvPT_NS1_25CatArrInputTensorMetadataIS5_T0_XT2_EXT3_EEENS1_16TensorSizeStrideIS8_Lj4EEEiS8_
; %bb.0:
	s_mov_b32 s4, s3
	s_load_dword s3, s[0:1], 0xd7c
	s_add_u32 s8, s0, 0xd70
	s_addc_u32 s9, s1, 0
	s_mov_b32 s5, 0
	s_waitcnt lgkmcnt(0)
	s_and_b32 s13, s3, 0xffff
	s_mul_i32 s6, s2, s13
	s_lshl_b64 s[2:3], s[4:5], 2
	s_add_u32 s4, s0, s2
	s_addc_u32 s5, s1, s3
	s_load_dword s10, s[4:5], 0x408
	v_add_u32_e32 v1, s6, v0
	v_lshlrev_b32_e32 v0, 2, v1
	s_add_u32 s4, s4, 8
	s_addc_u32 s5, s5, 0
	s_waitcnt lgkmcnt(0)
	v_cmp_gt_u32_e32 vcc, s10, v0
	s_and_saveexec_b64 s[6:7], vcc
	s_cbranch_execz .LBB141_8
; %bb.1:
	s_add_u32 s6, s4, s2
	s_addc_u32 s7, s5, s3
	s_sub_u32 s2, 0, s2
	s_subb_u32 s3, 0, s3
	s_add_u32 s14, s6, s2
	s_addc_u32 s15, s7, s3
	s_load_dword s12, s[14:15], 0x200
	s_load_dword s16, s[0:1], 0xd6c
	s_load_dwordx2 s[2:3], s[0:1], 0x0
	s_load_dwordx2 s[4:5], s[6:7], 0x0
	s_load_dword s11, s[0:1], 0xd58
	v_add_u32_e32 v2, 4, v0
	s_mov_b64 s[0:1], 0
	s_waitcnt lgkmcnt(0)
	s_mul_i32 s12, s12, s16
	v_cmp_ge_u32_e32 vcc, s10, v2
	s_and_saveexec_b64 s[6:7], vcc
	s_cbranch_execz .LBB141_5
; %bb.2:
	s_load_dword s8, s[8:9], 0x0
	v_mul_lo_u32 v2, s11, v0
	v_add_u32_e32 v3, 2, v0
	v_add_u32_e32 v4, 3, v0
	v_mul_lo_u32 v1, s11, v1
	s_waitcnt lgkmcnt(0)
	s_mul_i32 s9, s8, s13
	s_lshl_b32 s8, s9, 2
	s_mul_i32 s9, s9, s11
	v_add_u32_e32 v2, s11, v2
	s_lshl_b32 s9, s9, 2
	v_mul_lo_u32 v3, s11, v3
	v_mul_lo_u32 v4, s11, v4
	v_lshlrev_b32_e32 v5, 2, v1
	v_mov_b32_e32 v1, 0
	s_mov_b32 s13, s12
.LBB141_3:                              ; =>This Inner Loop Header: Depth=1
	v_lshl_add_u64 v[6:7], v[0:1], 2, s[4:5]
	global_load_dwordx4 v[6:9], v[6:7], off
	v_add_u32_e32 v0, s8, v0
	v_add_u32_e32 v18, 4, v0
	;; [unrolled: 1-line block ×3, first 2 shown]
	v_mov_b32_e32 v11, v1
	v_add_u32_e32 v12, s13, v2
	v_add_u32_e32 v14, s13, v3
	;; [unrolled: 1-line block ×3, first 2 shown]
	s_add_i32 s13, s13, s9
	v_cmp_lt_u32_e32 vcc, s10, v18
	v_mov_b32_e32 v13, v1
	v_mov_b32_e32 v15, v1
	;; [unrolled: 1-line block ×3, first 2 shown]
	v_lshl_add_u64 v[10:11], v[10:11], 2, s[2:3]
	s_or_b64 s[0:1], vcc, s[0:1]
	v_lshl_add_u64 v[12:13], v[12:13], 2, s[2:3]
	v_lshl_add_u64 v[14:15], v[14:15], 2, s[2:3]
	;; [unrolled: 1-line block ×3, first 2 shown]
	s_waitcnt vmcnt(0)
	global_store_dword v[10:11], v6, off
	global_store_dword v[12:13], v7, off
	;; [unrolled: 1-line block ×4, first 2 shown]
	s_andn2_b64 exec, exec, s[0:1]
	s_cbranch_execnz .LBB141_3
; %bb.4:
	s_or_b64 exec, exec, s[0:1]
.LBB141_5:
	s_or_b64 exec, exec, s[6:7]
	v_cmp_gt_u32_e32 vcc, s10, v0
	s_and_b64 exec, exec, vcc
	s_cbranch_execz .LBB141_8
; %bb.6:
	v_mov_b32_e32 v3, 0
	v_mov_b32_e32 v1, v3
	v_lshl_add_u64 v[4:5], v[0:1], 2, s[4:5]
	v_mul_lo_u32 v1, v0, s11
	v_add_u32_e32 v2, s12, v1
	s_mov_b64 s[0:1], 0
.LBB141_7:                              ; =>This Inner Loop Header: Depth=1
	global_load_dword v1, v[4:5], off
	v_add_u32_e32 v0, 1, v0
	v_cmp_le_u32_e32 vcc, s10, v0
	v_lshl_add_u64 v[6:7], v[2:3], 2, s[2:3]
	v_lshl_add_u64 v[4:5], v[4:5], 0, 4
	v_add_u32_e32 v2, s11, v2
	s_or_b64 s[0:1], vcc, s[0:1]
	s_waitcnt vmcnt(0)
	global_store_dword v[6:7], v1, off
	s_andn2_b64 exec, exec, s[0:1]
	s_cbranch_execnz .LBB141_7
.LBB141_8:
	s_endpgm
	.section	.rodata,"a",@progbits
	.p2align	6, 0x0
	.amdhsa_kernel _ZN2at6native12_GLOBAL__N_135CatArrayBatchedCopy_alignedK_contigINS1_10OpaqueTypeILj4EEEjLi1ELi64ELi64ELi16EEEvPT_NS1_25CatArrInputTensorMetadataIS5_T0_XT2_EXT3_EEENS1_16TensorSizeStrideIS8_Lj4EEEiS8_
		.amdhsa_group_segment_fixed_size 0
		.amdhsa_private_segment_fixed_size 0
		.amdhsa_kernarg_size 3696
		.amdhsa_user_sgpr_count 2
		.amdhsa_user_sgpr_dispatch_ptr 0
		.amdhsa_user_sgpr_queue_ptr 0
		.amdhsa_user_sgpr_kernarg_segment_ptr 1
		.amdhsa_user_sgpr_dispatch_id 0
		.amdhsa_user_sgpr_kernarg_preload_length 0
		.amdhsa_user_sgpr_kernarg_preload_offset 0
		.amdhsa_user_sgpr_private_segment_size 0
		.amdhsa_uses_dynamic_stack 0
		.amdhsa_enable_private_segment 0
		.amdhsa_system_sgpr_workgroup_id_x 1
		.amdhsa_system_sgpr_workgroup_id_y 1
		.amdhsa_system_sgpr_workgroup_id_z 0
		.amdhsa_system_sgpr_workgroup_info 0
		.amdhsa_system_vgpr_workitem_id 0
		.amdhsa_next_free_vgpr 19
		.amdhsa_next_free_sgpr 17
		.amdhsa_accum_offset 20
		.amdhsa_reserve_vcc 1
		.amdhsa_float_round_mode_32 0
		.amdhsa_float_round_mode_16_64 0
		.amdhsa_float_denorm_mode_32 3
		.amdhsa_float_denorm_mode_16_64 3
		.amdhsa_dx10_clamp 1
		.amdhsa_ieee_mode 1
		.amdhsa_fp16_overflow 0
		.amdhsa_tg_split 0
		.amdhsa_exception_fp_ieee_invalid_op 0
		.amdhsa_exception_fp_denorm_src 0
		.amdhsa_exception_fp_ieee_div_zero 0
		.amdhsa_exception_fp_ieee_overflow 0
		.amdhsa_exception_fp_ieee_underflow 0
		.amdhsa_exception_fp_ieee_inexact 0
		.amdhsa_exception_int_div_zero 0
	.end_amdhsa_kernel
	.section	.text._ZN2at6native12_GLOBAL__N_135CatArrayBatchedCopy_alignedK_contigINS1_10OpaqueTypeILj4EEEjLi1ELi64ELi64ELi16EEEvPT_NS1_25CatArrInputTensorMetadataIS5_T0_XT2_EXT3_EEENS1_16TensorSizeStrideIS8_Lj4EEEiS8_,"axG",@progbits,_ZN2at6native12_GLOBAL__N_135CatArrayBatchedCopy_alignedK_contigINS1_10OpaqueTypeILj4EEEjLi1ELi64ELi64ELi16EEEvPT_NS1_25CatArrInputTensorMetadataIS5_T0_XT2_EXT3_EEENS1_16TensorSizeStrideIS8_Lj4EEEiS8_,comdat
.Lfunc_end141:
	.size	_ZN2at6native12_GLOBAL__N_135CatArrayBatchedCopy_alignedK_contigINS1_10OpaqueTypeILj4EEEjLi1ELi64ELi64ELi16EEEvPT_NS1_25CatArrInputTensorMetadataIS5_T0_XT2_EXT3_EEENS1_16TensorSizeStrideIS8_Lj4EEEiS8_, .Lfunc_end141-_ZN2at6native12_GLOBAL__N_135CatArrayBatchedCopy_alignedK_contigINS1_10OpaqueTypeILj4EEEjLi1ELi64ELi64ELi16EEEvPT_NS1_25CatArrInputTensorMetadataIS5_T0_XT2_EXT3_EEENS1_16TensorSizeStrideIS8_Lj4EEEiS8_
                                        ; -- End function
	.set _ZN2at6native12_GLOBAL__N_135CatArrayBatchedCopy_alignedK_contigINS1_10OpaqueTypeILj4EEEjLi1ELi64ELi64ELi16EEEvPT_NS1_25CatArrInputTensorMetadataIS5_T0_XT2_EXT3_EEENS1_16TensorSizeStrideIS8_Lj4EEEiS8_.num_vgpr, 19
	.set _ZN2at6native12_GLOBAL__N_135CatArrayBatchedCopy_alignedK_contigINS1_10OpaqueTypeILj4EEEjLi1ELi64ELi64ELi16EEEvPT_NS1_25CatArrInputTensorMetadataIS5_T0_XT2_EXT3_EEENS1_16TensorSizeStrideIS8_Lj4EEEiS8_.num_agpr, 0
	.set _ZN2at6native12_GLOBAL__N_135CatArrayBatchedCopy_alignedK_contigINS1_10OpaqueTypeILj4EEEjLi1ELi64ELi64ELi16EEEvPT_NS1_25CatArrInputTensorMetadataIS5_T0_XT2_EXT3_EEENS1_16TensorSizeStrideIS8_Lj4EEEiS8_.numbered_sgpr, 17
	.set _ZN2at6native12_GLOBAL__N_135CatArrayBatchedCopy_alignedK_contigINS1_10OpaqueTypeILj4EEEjLi1ELi64ELi64ELi16EEEvPT_NS1_25CatArrInputTensorMetadataIS5_T0_XT2_EXT3_EEENS1_16TensorSizeStrideIS8_Lj4EEEiS8_.num_named_barrier, 0
	.set _ZN2at6native12_GLOBAL__N_135CatArrayBatchedCopy_alignedK_contigINS1_10OpaqueTypeILj4EEEjLi1ELi64ELi64ELi16EEEvPT_NS1_25CatArrInputTensorMetadataIS5_T0_XT2_EXT3_EEENS1_16TensorSizeStrideIS8_Lj4EEEiS8_.private_seg_size, 0
	.set _ZN2at6native12_GLOBAL__N_135CatArrayBatchedCopy_alignedK_contigINS1_10OpaqueTypeILj4EEEjLi1ELi64ELi64ELi16EEEvPT_NS1_25CatArrInputTensorMetadataIS5_T0_XT2_EXT3_EEENS1_16TensorSizeStrideIS8_Lj4EEEiS8_.uses_vcc, 1
	.set _ZN2at6native12_GLOBAL__N_135CatArrayBatchedCopy_alignedK_contigINS1_10OpaqueTypeILj4EEEjLi1ELi64ELi64ELi16EEEvPT_NS1_25CatArrInputTensorMetadataIS5_T0_XT2_EXT3_EEENS1_16TensorSizeStrideIS8_Lj4EEEiS8_.uses_flat_scratch, 0
	.set _ZN2at6native12_GLOBAL__N_135CatArrayBatchedCopy_alignedK_contigINS1_10OpaqueTypeILj4EEEjLi1ELi64ELi64ELi16EEEvPT_NS1_25CatArrInputTensorMetadataIS5_T0_XT2_EXT3_EEENS1_16TensorSizeStrideIS8_Lj4EEEiS8_.has_dyn_sized_stack, 0
	.set _ZN2at6native12_GLOBAL__N_135CatArrayBatchedCopy_alignedK_contigINS1_10OpaqueTypeILj4EEEjLi1ELi64ELi64ELi16EEEvPT_NS1_25CatArrInputTensorMetadataIS5_T0_XT2_EXT3_EEENS1_16TensorSizeStrideIS8_Lj4EEEiS8_.has_recursion, 0
	.set _ZN2at6native12_GLOBAL__N_135CatArrayBatchedCopy_alignedK_contigINS1_10OpaqueTypeILj4EEEjLi1ELi64ELi64ELi16EEEvPT_NS1_25CatArrInputTensorMetadataIS5_T0_XT2_EXT3_EEENS1_16TensorSizeStrideIS8_Lj4EEEiS8_.has_indirect_call, 0
	.section	.AMDGPU.csdata,"",@progbits
; Kernel info:
; codeLenInByte = 532
; TotalNumSgprs: 23
; NumVgprs: 19
; NumAgprs: 0
; TotalNumVgprs: 19
; ScratchSize: 0
; MemoryBound: 0
; FloatMode: 240
; IeeeMode: 1
; LDSByteSize: 0 bytes/workgroup (compile time only)
; SGPRBlocks: 2
; VGPRBlocks: 2
; NumSGPRsForWavesPerEU: 23
; NumVGPRsForWavesPerEU: 19
; AccumOffset: 20
; Occupancy: 8
; WaveLimiterHint : 1
; COMPUTE_PGM_RSRC2:SCRATCH_EN: 0
; COMPUTE_PGM_RSRC2:USER_SGPR: 2
; COMPUTE_PGM_RSRC2:TRAP_HANDLER: 0
; COMPUTE_PGM_RSRC2:TGID_X_EN: 1
; COMPUTE_PGM_RSRC2:TGID_Y_EN: 1
; COMPUTE_PGM_RSRC2:TGID_Z_EN: 0
; COMPUTE_PGM_RSRC2:TIDIG_COMP_CNT: 0
; COMPUTE_PGM_RSRC3_GFX90A:ACCUM_OFFSET: 4
; COMPUTE_PGM_RSRC3_GFX90A:TG_SPLIT: 0
	.section	.text._ZN2at6native12_GLOBAL__N_135CatArrayBatchedCopy_alignedK_contigINS1_10OpaqueTypeILj4EEEjLi1ELi64ELi64ELi8EEEvPT_NS1_25CatArrInputTensorMetadataIS5_T0_XT2_EXT3_EEENS1_16TensorSizeStrideIS8_Lj4EEEiS8_,"axG",@progbits,_ZN2at6native12_GLOBAL__N_135CatArrayBatchedCopy_alignedK_contigINS1_10OpaqueTypeILj4EEEjLi1ELi64ELi64ELi8EEEvPT_NS1_25CatArrInputTensorMetadataIS5_T0_XT2_EXT3_EEENS1_16TensorSizeStrideIS8_Lj4EEEiS8_,comdat
	.globl	_ZN2at6native12_GLOBAL__N_135CatArrayBatchedCopy_alignedK_contigINS1_10OpaqueTypeILj4EEEjLi1ELi64ELi64ELi8EEEvPT_NS1_25CatArrInputTensorMetadataIS5_T0_XT2_EXT3_EEENS1_16TensorSizeStrideIS8_Lj4EEEiS8_ ; -- Begin function _ZN2at6native12_GLOBAL__N_135CatArrayBatchedCopy_alignedK_contigINS1_10OpaqueTypeILj4EEEjLi1ELi64ELi64ELi8EEEvPT_NS1_25CatArrInputTensorMetadataIS5_T0_XT2_EXT3_EEENS1_16TensorSizeStrideIS8_Lj4EEEiS8_
	.p2align	8
	.type	_ZN2at6native12_GLOBAL__N_135CatArrayBatchedCopy_alignedK_contigINS1_10OpaqueTypeILj4EEEjLi1ELi64ELi64ELi8EEEvPT_NS1_25CatArrInputTensorMetadataIS5_T0_XT2_EXT3_EEENS1_16TensorSizeStrideIS8_Lj4EEEiS8_,@function
_ZN2at6native12_GLOBAL__N_135CatArrayBatchedCopy_alignedK_contigINS1_10OpaqueTypeILj4EEEjLi1ELi64ELi64ELi8EEEvPT_NS1_25CatArrInputTensorMetadataIS5_T0_XT2_EXT3_EEENS1_16TensorSizeStrideIS8_Lj4EEEiS8_: ; @_ZN2at6native12_GLOBAL__N_135CatArrayBatchedCopy_alignedK_contigINS1_10OpaqueTypeILj4EEEjLi1ELi64ELi64ELi8EEEvPT_NS1_25CatArrInputTensorMetadataIS5_T0_XT2_EXT3_EEENS1_16TensorSizeStrideIS8_Lj4EEEiS8_
; %bb.0:
	s_mov_b32 s4, s3
	s_load_dword s3, s[0:1], 0xd7c
	s_add_u32 s8, s0, 0xd70
	s_addc_u32 s9, s1, 0
	s_mov_b32 s5, 0
	s_waitcnt lgkmcnt(0)
	s_and_b32 s13, s3, 0xffff
	s_mul_i32 s6, s2, s13
	s_lshl_b64 s[2:3], s[4:5], 2
	s_add_u32 s4, s0, s2
	s_addc_u32 s5, s1, s3
	s_load_dword s10, s[4:5], 0x408
	v_add_u32_e32 v1, s6, v0
	v_lshlrev_b32_e32 v0, 1, v1
	s_add_u32 s4, s4, 8
	s_addc_u32 s5, s5, 0
	s_waitcnt lgkmcnt(0)
	v_cmp_gt_u32_e32 vcc, s10, v0
	s_and_saveexec_b64 s[6:7], vcc
	s_cbranch_execz .LBB142_8
; %bb.1:
	s_add_u32 s6, s4, s2
	s_addc_u32 s7, s5, s3
	s_sub_u32 s2, 0, s2
	s_subb_u32 s3, 0, s3
	s_add_u32 s14, s6, s2
	s_addc_u32 s15, s7, s3
	s_load_dword s12, s[14:15], 0x200
	s_load_dword s16, s[0:1], 0xd6c
	s_load_dwordx2 s[2:3], s[0:1], 0x0
	s_load_dwordx2 s[4:5], s[6:7], 0x0
	s_load_dword s11, s[0:1], 0xd58
	v_add_u32_e32 v2, 2, v0
	s_mov_b64 s[0:1], 0
	s_waitcnt lgkmcnt(0)
	s_mul_i32 s12, s12, s16
	v_cmp_ge_u32_e32 vcc, s10, v2
	s_and_saveexec_b64 s[6:7], vcc
	s_cbranch_execz .LBB142_5
; %bb.2:
	s_load_dword s8, s[8:9], 0x0
	v_mul_lo_u32 v2, s11, v0
	v_mul_lo_u32 v1, s11, v1
	v_add_u32_e32 v2, s11, v2
	v_lshlrev_b32_e32 v3, 1, v1
	s_waitcnt lgkmcnt(0)
	s_mul_i32 s9, s8, s13
	s_lshl_b32 s8, s9, 1
	s_mul_i32 s9, s9, s11
	s_lshl_b32 s9, s9, 1
	v_mov_b32_e32 v1, 0
	s_mov_b32 s13, s12
.LBB142_3:                              ; =>This Inner Loop Header: Depth=1
	v_lshl_add_u64 v[4:5], v[0:1], 2, s[4:5]
	global_load_dwordx2 v[4:5], v[4:5], off
	v_add_u32_e32 v0, s8, v0
	v_add_u32_e32 v10, 2, v0
	;; [unrolled: 1-line block ×3, first 2 shown]
	v_mov_b32_e32 v7, v1
	v_add_u32_e32 v8, s13, v2
	s_add_i32 s13, s13, s9
	v_cmp_lt_u32_e32 vcc, s10, v10
	v_mov_b32_e32 v9, v1
	v_lshl_add_u64 v[6:7], v[6:7], 2, s[2:3]
	s_or_b64 s[0:1], vcc, s[0:1]
	v_lshl_add_u64 v[8:9], v[8:9], 2, s[2:3]
	s_waitcnt vmcnt(0)
	global_store_dword v[6:7], v4, off
	global_store_dword v[8:9], v5, off
	s_andn2_b64 exec, exec, s[0:1]
	s_cbranch_execnz .LBB142_3
; %bb.4:
	s_or_b64 exec, exec, s[0:1]
.LBB142_5:
	s_or_b64 exec, exec, s[6:7]
	v_cmp_gt_u32_e32 vcc, s10, v0
	s_and_b64 exec, exec, vcc
	s_cbranch_execz .LBB142_8
; %bb.6:
	v_mov_b32_e32 v3, 0
	v_mov_b32_e32 v1, v3
	v_lshl_add_u64 v[4:5], v[0:1], 2, s[4:5]
	v_mul_lo_u32 v1, v0, s11
	v_add_u32_e32 v2, s12, v1
	s_mov_b64 s[0:1], 0
.LBB142_7:                              ; =>This Inner Loop Header: Depth=1
	global_load_dword v1, v[4:5], off
	v_add_u32_e32 v0, 1, v0
	v_cmp_le_u32_e32 vcc, s10, v0
	v_lshl_add_u64 v[6:7], v[2:3], 2, s[2:3]
	v_lshl_add_u64 v[4:5], v[4:5], 0, 4
	v_add_u32_e32 v2, s11, v2
	s_or_b64 s[0:1], vcc, s[0:1]
	s_waitcnt vmcnt(0)
	global_store_dword v[6:7], v1, off
	s_andn2_b64 exec, exec, s[0:1]
	s_cbranch_execnz .LBB142_7
.LBB142_8:
	s_endpgm
	.section	.rodata,"a",@progbits
	.p2align	6, 0x0
	.amdhsa_kernel _ZN2at6native12_GLOBAL__N_135CatArrayBatchedCopy_alignedK_contigINS1_10OpaqueTypeILj4EEEjLi1ELi64ELi64ELi8EEEvPT_NS1_25CatArrInputTensorMetadataIS5_T0_XT2_EXT3_EEENS1_16TensorSizeStrideIS8_Lj4EEEiS8_
		.amdhsa_group_segment_fixed_size 0
		.amdhsa_private_segment_fixed_size 0
		.amdhsa_kernarg_size 3696
		.amdhsa_user_sgpr_count 2
		.amdhsa_user_sgpr_dispatch_ptr 0
		.amdhsa_user_sgpr_queue_ptr 0
		.amdhsa_user_sgpr_kernarg_segment_ptr 1
		.amdhsa_user_sgpr_dispatch_id 0
		.amdhsa_user_sgpr_kernarg_preload_length 0
		.amdhsa_user_sgpr_kernarg_preload_offset 0
		.amdhsa_user_sgpr_private_segment_size 0
		.amdhsa_uses_dynamic_stack 0
		.amdhsa_enable_private_segment 0
		.amdhsa_system_sgpr_workgroup_id_x 1
		.amdhsa_system_sgpr_workgroup_id_y 1
		.amdhsa_system_sgpr_workgroup_id_z 0
		.amdhsa_system_sgpr_workgroup_info 0
		.amdhsa_system_vgpr_workitem_id 0
		.amdhsa_next_free_vgpr 11
		.amdhsa_next_free_sgpr 17
		.amdhsa_accum_offset 12
		.amdhsa_reserve_vcc 1
		.amdhsa_float_round_mode_32 0
		.amdhsa_float_round_mode_16_64 0
		.amdhsa_float_denorm_mode_32 3
		.amdhsa_float_denorm_mode_16_64 3
		.amdhsa_dx10_clamp 1
		.amdhsa_ieee_mode 1
		.amdhsa_fp16_overflow 0
		.amdhsa_tg_split 0
		.amdhsa_exception_fp_ieee_invalid_op 0
		.amdhsa_exception_fp_denorm_src 0
		.amdhsa_exception_fp_ieee_div_zero 0
		.amdhsa_exception_fp_ieee_overflow 0
		.amdhsa_exception_fp_ieee_underflow 0
		.amdhsa_exception_fp_ieee_inexact 0
		.amdhsa_exception_int_div_zero 0
	.end_amdhsa_kernel
	.section	.text._ZN2at6native12_GLOBAL__N_135CatArrayBatchedCopy_alignedK_contigINS1_10OpaqueTypeILj4EEEjLi1ELi64ELi64ELi8EEEvPT_NS1_25CatArrInputTensorMetadataIS5_T0_XT2_EXT3_EEENS1_16TensorSizeStrideIS8_Lj4EEEiS8_,"axG",@progbits,_ZN2at6native12_GLOBAL__N_135CatArrayBatchedCopy_alignedK_contigINS1_10OpaqueTypeILj4EEEjLi1ELi64ELi64ELi8EEEvPT_NS1_25CatArrInputTensorMetadataIS5_T0_XT2_EXT3_EEENS1_16TensorSizeStrideIS8_Lj4EEEiS8_,comdat
.Lfunc_end142:
	.size	_ZN2at6native12_GLOBAL__N_135CatArrayBatchedCopy_alignedK_contigINS1_10OpaqueTypeILj4EEEjLi1ELi64ELi64ELi8EEEvPT_NS1_25CatArrInputTensorMetadataIS5_T0_XT2_EXT3_EEENS1_16TensorSizeStrideIS8_Lj4EEEiS8_, .Lfunc_end142-_ZN2at6native12_GLOBAL__N_135CatArrayBatchedCopy_alignedK_contigINS1_10OpaqueTypeILj4EEEjLi1ELi64ELi64ELi8EEEvPT_NS1_25CatArrInputTensorMetadataIS5_T0_XT2_EXT3_EEENS1_16TensorSizeStrideIS8_Lj4EEEiS8_
                                        ; -- End function
	.set _ZN2at6native12_GLOBAL__N_135CatArrayBatchedCopy_alignedK_contigINS1_10OpaqueTypeILj4EEEjLi1ELi64ELi64ELi8EEEvPT_NS1_25CatArrInputTensorMetadataIS5_T0_XT2_EXT3_EEENS1_16TensorSizeStrideIS8_Lj4EEEiS8_.num_vgpr, 11
	.set _ZN2at6native12_GLOBAL__N_135CatArrayBatchedCopy_alignedK_contigINS1_10OpaqueTypeILj4EEEjLi1ELi64ELi64ELi8EEEvPT_NS1_25CatArrInputTensorMetadataIS5_T0_XT2_EXT3_EEENS1_16TensorSizeStrideIS8_Lj4EEEiS8_.num_agpr, 0
	.set _ZN2at6native12_GLOBAL__N_135CatArrayBatchedCopy_alignedK_contigINS1_10OpaqueTypeILj4EEEjLi1ELi64ELi64ELi8EEEvPT_NS1_25CatArrInputTensorMetadataIS5_T0_XT2_EXT3_EEENS1_16TensorSizeStrideIS8_Lj4EEEiS8_.numbered_sgpr, 17
	.set _ZN2at6native12_GLOBAL__N_135CatArrayBatchedCopy_alignedK_contigINS1_10OpaqueTypeILj4EEEjLi1ELi64ELi64ELi8EEEvPT_NS1_25CatArrInputTensorMetadataIS5_T0_XT2_EXT3_EEENS1_16TensorSizeStrideIS8_Lj4EEEiS8_.num_named_barrier, 0
	.set _ZN2at6native12_GLOBAL__N_135CatArrayBatchedCopy_alignedK_contigINS1_10OpaqueTypeILj4EEEjLi1ELi64ELi64ELi8EEEvPT_NS1_25CatArrInputTensorMetadataIS5_T0_XT2_EXT3_EEENS1_16TensorSizeStrideIS8_Lj4EEEiS8_.private_seg_size, 0
	.set _ZN2at6native12_GLOBAL__N_135CatArrayBatchedCopy_alignedK_contigINS1_10OpaqueTypeILj4EEEjLi1ELi64ELi64ELi8EEEvPT_NS1_25CatArrInputTensorMetadataIS5_T0_XT2_EXT3_EEENS1_16TensorSizeStrideIS8_Lj4EEEiS8_.uses_vcc, 1
	.set _ZN2at6native12_GLOBAL__N_135CatArrayBatchedCopy_alignedK_contigINS1_10OpaqueTypeILj4EEEjLi1ELi64ELi64ELi8EEEvPT_NS1_25CatArrInputTensorMetadataIS5_T0_XT2_EXT3_EEENS1_16TensorSizeStrideIS8_Lj4EEEiS8_.uses_flat_scratch, 0
	.set _ZN2at6native12_GLOBAL__N_135CatArrayBatchedCopy_alignedK_contigINS1_10OpaqueTypeILj4EEEjLi1ELi64ELi64ELi8EEEvPT_NS1_25CatArrInputTensorMetadataIS5_T0_XT2_EXT3_EEENS1_16TensorSizeStrideIS8_Lj4EEEiS8_.has_dyn_sized_stack, 0
	.set _ZN2at6native12_GLOBAL__N_135CatArrayBatchedCopy_alignedK_contigINS1_10OpaqueTypeILj4EEEjLi1ELi64ELi64ELi8EEEvPT_NS1_25CatArrInputTensorMetadataIS5_T0_XT2_EXT3_EEENS1_16TensorSizeStrideIS8_Lj4EEEiS8_.has_recursion, 0
	.set _ZN2at6native12_GLOBAL__N_135CatArrayBatchedCopy_alignedK_contigINS1_10OpaqueTypeILj4EEEjLi1ELi64ELi64ELi8EEEvPT_NS1_25CatArrInputTensorMetadataIS5_T0_XT2_EXT3_EEENS1_16TensorSizeStrideIS8_Lj4EEEiS8_.has_indirect_call, 0
	.section	.AMDGPU.csdata,"",@progbits
; Kernel info:
; codeLenInByte = 460
; TotalNumSgprs: 23
; NumVgprs: 11
; NumAgprs: 0
; TotalNumVgprs: 11
; ScratchSize: 0
; MemoryBound: 0
; FloatMode: 240
; IeeeMode: 1
; LDSByteSize: 0 bytes/workgroup (compile time only)
; SGPRBlocks: 2
; VGPRBlocks: 1
; NumSGPRsForWavesPerEU: 23
; NumVGPRsForWavesPerEU: 11
; AccumOffset: 12
; Occupancy: 8
; WaveLimiterHint : 1
; COMPUTE_PGM_RSRC2:SCRATCH_EN: 0
; COMPUTE_PGM_RSRC2:USER_SGPR: 2
; COMPUTE_PGM_RSRC2:TRAP_HANDLER: 0
; COMPUTE_PGM_RSRC2:TGID_X_EN: 1
; COMPUTE_PGM_RSRC2:TGID_Y_EN: 1
; COMPUTE_PGM_RSRC2:TGID_Z_EN: 0
; COMPUTE_PGM_RSRC2:TIDIG_COMP_CNT: 0
; COMPUTE_PGM_RSRC3_GFX90A:ACCUM_OFFSET: 2
; COMPUTE_PGM_RSRC3_GFX90A:TG_SPLIT: 0
	.section	.text._ZN2at6native12_GLOBAL__N_126CatArrayBatchedCopy_contigINS1_10OpaqueTypeILj4EEEjLi1ELi64ELi64EEEvPT_NS1_25CatArrInputTensorMetadataIS5_T0_XT2_EXT3_EEENS1_16TensorSizeStrideIS8_Lj4EEEiS8_,"axG",@progbits,_ZN2at6native12_GLOBAL__N_126CatArrayBatchedCopy_contigINS1_10OpaqueTypeILj4EEEjLi1ELi64ELi64EEEvPT_NS1_25CatArrInputTensorMetadataIS5_T0_XT2_EXT3_EEENS1_16TensorSizeStrideIS8_Lj4EEEiS8_,comdat
	.globl	_ZN2at6native12_GLOBAL__N_126CatArrayBatchedCopy_contigINS1_10OpaqueTypeILj4EEEjLi1ELi64ELi64EEEvPT_NS1_25CatArrInputTensorMetadataIS5_T0_XT2_EXT3_EEENS1_16TensorSizeStrideIS8_Lj4EEEiS8_ ; -- Begin function _ZN2at6native12_GLOBAL__N_126CatArrayBatchedCopy_contigINS1_10OpaqueTypeILj4EEEjLi1ELi64ELi64EEEvPT_NS1_25CatArrInputTensorMetadataIS5_T0_XT2_EXT3_EEENS1_16TensorSizeStrideIS8_Lj4EEEiS8_
	.p2align	8
	.type	_ZN2at6native12_GLOBAL__N_126CatArrayBatchedCopy_contigINS1_10OpaqueTypeILj4EEEjLi1ELi64ELi64EEEvPT_NS1_25CatArrInputTensorMetadataIS5_T0_XT2_EXT3_EEENS1_16TensorSizeStrideIS8_Lj4EEEiS8_,@function
_ZN2at6native12_GLOBAL__N_126CatArrayBatchedCopy_contigINS1_10OpaqueTypeILj4EEEjLi1ELi64ELi64EEEvPT_NS1_25CatArrInputTensorMetadataIS5_T0_XT2_EXT3_EEENS1_16TensorSizeStrideIS8_Lj4EEEiS8_: ; @_ZN2at6native12_GLOBAL__N_126CatArrayBatchedCopy_contigINS1_10OpaqueTypeILj4EEEjLi1ELi64ELi64EEEvPT_NS1_25CatArrInputTensorMetadataIS5_T0_XT2_EXT3_EEENS1_16TensorSizeStrideIS8_Lj4EEEiS8_
; %bb.0:
	s_mov_b32 s6, s3
	s_load_dword s3, s[0:1], 0xd7c
	s_add_u32 s4, s0, 0xd70
	s_mov_b32 s7, 0
	s_addc_u32 s5, s1, 0
	s_lshl_b64 s[6:7], s[6:7], 2
	s_waitcnt lgkmcnt(0)
	s_and_b32 s9, s3, 0xffff
	s_add_u32 s10, s0, s6
	s_addc_u32 s11, s1, s7
	s_load_dword s8, s[10:11], 0x408
	s_mul_i32 s2, s2, s9
	v_add_u32_e32 v0, s2, v0
	s_add_u32 s2, s10, 8
	s_addc_u32 s3, s11, 0
	s_waitcnt lgkmcnt(0)
	v_cmp_gt_u32_e32 vcc, s8, v0
	s_and_saveexec_b64 s[10:11], vcc
	s_cbranch_execz .LBB143_3
; %bb.1:
	s_add_u32 s10, s2, s6
	s_addc_u32 s11, s3, s7
	s_sub_u32 s2, 0, s6
	s_subb_u32 s3, 0, s7
	s_add_u32 s6, s10, s2
	s_load_dword s12, s[4:5], 0x0
	s_addc_u32 s7, s11, s3
	s_load_dword s13, s[6:7], 0x200
	s_load_dword s14, s[0:1], 0xd6c
	s_load_dwordx2 s[2:3], s[10:11], 0x0
	s_load_dword s15, s[0:1], 0xd58
	s_load_dwordx2 s[4:5], s[0:1], 0x0
	s_mov_b64 s[0:1], 0
	s_waitcnt lgkmcnt(0)
	s_mul_i32 s13, s13, s14
	s_mul_i32 s6, s12, s9
	v_mul_lo_u32 v1, s15, v0
	v_add_u32_e32 v2, s13, v1
	s_mul_i32 s7, s6, s15
	v_mov_b32_e32 v1, 0
.LBB143_2:                              ; =>This Inner Loop Header: Depth=1
	v_lshl_add_u64 v[4:5], v[0:1], 2, s[2:3]
	global_load_dword v6, v[4:5], off
	v_add_u32_e32 v0, s6, v0
	v_mov_b32_e32 v3, v1
	v_cmp_le_u32_e32 vcc, s8, v0
	v_lshl_add_u64 v[4:5], v[2:3], 2, s[4:5]
	v_add_u32_e32 v2, s7, v2
	s_or_b64 s[0:1], vcc, s[0:1]
	s_waitcnt vmcnt(0)
	global_store_dword v[4:5], v6, off
	s_andn2_b64 exec, exec, s[0:1]
	s_cbranch_execnz .LBB143_2
.LBB143_3:
	s_endpgm
	.section	.rodata,"a",@progbits
	.p2align	6, 0x0
	.amdhsa_kernel _ZN2at6native12_GLOBAL__N_126CatArrayBatchedCopy_contigINS1_10OpaqueTypeILj4EEEjLi1ELi64ELi64EEEvPT_NS1_25CatArrInputTensorMetadataIS5_T0_XT2_EXT3_EEENS1_16TensorSizeStrideIS8_Lj4EEEiS8_
		.amdhsa_group_segment_fixed_size 0
		.amdhsa_private_segment_fixed_size 0
		.amdhsa_kernarg_size 3696
		.amdhsa_user_sgpr_count 2
		.amdhsa_user_sgpr_dispatch_ptr 0
		.amdhsa_user_sgpr_queue_ptr 0
		.amdhsa_user_sgpr_kernarg_segment_ptr 1
		.amdhsa_user_sgpr_dispatch_id 0
		.amdhsa_user_sgpr_kernarg_preload_length 0
		.amdhsa_user_sgpr_kernarg_preload_offset 0
		.amdhsa_user_sgpr_private_segment_size 0
		.amdhsa_uses_dynamic_stack 0
		.amdhsa_enable_private_segment 0
		.amdhsa_system_sgpr_workgroup_id_x 1
		.amdhsa_system_sgpr_workgroup_id_y 1
		.amdhsa_system_sgpr_workgroup_id_z 0
		.amdhsa_system_sgpr_workgroup_info 0
		.amdhsa_system_vgpr_workitem_id 0
		.amdhsa_next_free_vgpr 7
		.amdhsa_next_free_sgpr 16
		.amdhsa_accum_offset 8
		.amdhsa_reserve_vcc 1
		.amdhsa_float_round_mode_32 0
		.amdhsa_float_round_mode_16_64 0
		.amdhsa_float_denorm_mode_32 3
		.amdhsa_float_denorm_mode_16_64 3
		.amdhsa_dx10_clamp 1
		.amdhsa_ieee_mode 1
		.amdhsa_fp16_overflow 0
		.amdhsa_tg_split 0
		.amdhsa_exception_fp_ieee_invalid_op 0
		.amdhsa_exception_fp_denorm_src 0
		.amdhsa_exception_fp_ieee_div_zero 0
		.amdhsa_exception_fp_ieee_overflow 0
		.amdhsa_exception_fp_ieee_underflow 0
		.amdhsa_exception_fp_ieee_inexact 0
		.amdhsa_exception_int_div_zero 0
	.end_amdhsa_kernel
	.section	.text._ZN2at6native12_GLOBAL__N_126CatArrayBatchedCopy_contigINS1_10OpaqueTypeILj4EEEjLi1ELi64ELi64EEEvPT_NS1_25CatArrInputTensorMetadataIS5_T0_XT2_EXT3_EEENS1_16TensorSizeStrideIS8_Lj4EEEiS8_,"axG",@progbits,_ZN2at6native12_GLOBAL__N_126CatArrayBatchedCopy_contigINS1_10OpaqueTypeILj4EEEjLi1ELi64ELi64EEEvPT_NS1_25CatArrInputTensorMetadataIS5_T0_XT2_EXT3_EEENS1_16TensorSizeStrideIS8_Lj4EEEiS8_,comdat
.Lfunc_end143:
	.size	_ZN2at6native12_GLOBAL__N_126CatArrayBatchedCopy_contigINS1_10OpaqueTypeILj4EEEjLi1ELi64ELi64EEEvPT_NS1_25CatArrInputTensorMetadataIS5_T0_XT2_EXT3_EEENS1_16TensorSizeStrideIS8_Lj4EEEiS8_, .Lfunc_end143-_ZN2at6native12_GLOBAL__N_126CatArrayBatchedCopy_contigINS1_10OpaqueTypeILj4EEEjLi1ELi64ELi64EEEvPT_NS1_25CatArrInputTensorMetadataIS5_T0_XT2_EXT3_EEENS1_16TensorSizeStrideIS8_Lj4EEEiS8_
                                        ; -- End function
	.set _ZN2at6native12_GLOBAL__N_126CatArrayBatchedCopy_contigINS1_10OpaqueTypeILj4EEEjLi1ELi64ELi64EEEvPT_NS1_25CatArrInputTensorMetadataIS5_T0_XT2_EXT3_EEENS1_16TensorSizeStrideIS8_Lj4EEEiS8_.num_vgpr, 7
	.set _ZN2at6native12_GLOBAL__N_126CatArrayBatchedCopy_contigINS1_10OpaqueTypeILj4EEEjLi1ELi64ELi64EEEvPT_NS1_25CatArrInputTensorMetadataIS5_T0_XT2_EXT3_EEENS1_16TensorSizeStrideIS8_Lj4EEEiS8_.num_agpr, 0
	.set _ZN2at6native12_GLOBAL__N_126CatArrayBatchedCopy_contigINS1_10OpaqueTypeILj4EEEjLi1ELi64ELi64EEEvPT_NS1_25CatArrInputTensorMetadataIS5_T0_XT2_EXT3_EEENS1_16TensorSizeStrideIS8_Lj4EEEiS8_.numbered_sgpr, 16
	.set _ZN2at6native12_GLOBAL__N_126CatArrayBatchedCopy_contigINS1_10OpaqueTypeILj4EEEjLi1ELi64ELi64EEEvPT_NS1_25CatArrInputTensorMetadataIS5_T0_XT2_EXT3_EEENS1_16TensorSizeStrideIS8_Lj4EEEiS8_.num_named_barrier, 0
	.set _ZN2at6native12_GLOBAL__N_126CatArrayBatchedCopy_contigINS1_10OpaqueTypeILj4EEEjLi1ELi64ELi64EEEvPT_NS1_25CatArrInputTensorMetadataIS5_T0_XT2_EXT3_EEENS1_16TensorSizeStrideIS8_Lj4EEEiS8_.private_seg_size, 0
	.set _ZN2at6native12_GLOBAL__N_126CatArrayBatchedCopy_contigINS1_10OpaqueTypeILj4EEEjLi1ELi64ELi64EEEvPT_NS1_25CatArrInputTensorMetadataIS5_T0_XT2_EXT3_EEENS1_16TensorSizeStrideIS8_Lj4EEEiS8_.uses_vcc, 1
	.set _ZN2at6native12_GLOBAL__N_126CatArrayBatchedCopy_contigINS1_10OpaqueTypeILj4EEEjLi1ELi64ELi64EEEvPT_NS1_25CatArrInputTensorMetadataIS5_T0_XT2_EXT3_EEENS1_16TensorSizeStrideIS8_Lj4EEEiS8_.uses_flat_scratch, 0
	.set _ZN2at6native12_GLOBAL__N_126CatArrayBatchedCopy_contigINS1_10OpaqueTypeILj4EEEjLi1ELi64ELi64EEEvPT_NS1_25CatArrInputTensorMetadataIS5_T0_XT2_EXT3_EEENS1_16TensorSizeStrideIS8_Lj4EEEiS8_.has_dyn_sized_stack, 0
	.set _ZN2at6native12_GLOBAL__N_126CatArrayBatchedCopy_contigINS1_10OpaqueTypeILj4EEEjLi1ELi64ELi64EEEvPT_NS1_25CatArrInputTensorMetadataIS5_T0_XT2_EXT3_EEENS1_16TensorSizeStrideIS8_Lj4EEEiS8_.has_recursion, 0
	.set _ZN2at6native12_GLOBAL__N_126CatArrayBatchedCopy_contigINS1_10OpaqueTypeILj4EEEjLi1ELi64ELi64EEEvPT_NS1_25CatArrInputTensorMetadataIS5_T0_XT2_EXT3_EEENS1_16TensorSizeStrideIS8_Lj4EEEiS8_.has_indirect_call, 0
	.section	.AMDGPU.csdata,"",@progbits
; Kernel info:
; codeLenInByte = 268
; TotalNumSgprs: 22
; NumVgprs: 7
; NumAgprs: 0
; TotalNumVgprs: 7
; ScratchSize: 0
; MemoryBound: 0
; FloatMode: 240
; IeeeMode: 1
; LDSByteSize: 0 bytes/workgroup (compile time only)
; SGPRBlocks: 2
; VGPRBlocks: 0
; NumSGPRsForWavesPerEU: 22
; NumVGPRsForWavesPerEU: 7
; AccumOffset: 8
; Occupancy: 8
; WaveLimiterHint : 1
; COMPUTE_PGM_RSRC2:SCRATCH_EN: 0
; COMPUTE_PGM_RSRC2:USER_SGPR: 2
; COMPUTE_PGM_RSRC2:TRAP_HANDLER: 0
; COMPUTE_PGM_RSRC2:TGID_X_EN: 1
; COMPUTE_PGM_RSRC2:TGID_Y_EN: 1
; COMPUTE_PGM_RSRC2:TGID_Z_EN: 0
; COMPUTE_PGM_RSRC2:TIDIG_COMP_CNT: 0
; COMPUTE_PGM_RSRC3_GFX90A:ACCUM_OFFSET: 1
; COMPUTE_PGM_RSRC3_GFX90A:TG_SPLIT: 0
	.section	.text._ZN2at6native12_GLOBAL__N_119CatArrayBatchedCopyINS1_10OpaqueTypeILj4EEEjLi1ELi64ELi64EEEvPT_NS1_25CatArrInputTensorMetadataIS5_T0_XT2_EXT3_EEENS1_16TensorSizeStrideIS8_Lj4EEEiS8_,"axG",@progbits,_ZN2at6native12_GLOBAL__N_119CatArrayBatchedCopyINS1_10OpaqueTypeILj4EEEjLi1ELi64ELi64EEEvPT_NS1_25CatArrInputTensorMetadataIS5_T0_XT2_EXT3_EEENS1_16TensorSizeStrideIS8_Lj4EEEiS8_,comdat
	.globl	_ZN2at6native12_GLOBAL__N_119CatArrayBatchedCopyINS1_10OpaqueTypeILj4EEEjLi1ELi64ELi64EEEvPT_NS1_25CatArrInputTensorMetadataIS5_T0_XT2_EXT3_EEENS1_16TensorSizeStrideIS8_Lj4EEEiS8_ ; -- Begin function _ZN2at6native12_GLOBAL__N_119CatArrayBatchedCopyINS1_10OpaqueTypeILj4EEEjLi1ELi64ELi64EEEvPT_NS1_25CatArrInputTensorMetadataIS5_T0_XT2_EXT3_EEENS1_16TensorSizeStrideIS8_Lj4EEEiS8_
	.p2align	8
	.type	_ZN2at6native12_GLOBAL__N_119CatArrayBatchedCopyINS1_10OpaqueTypeILj4EEEjLi1ELi64ELi64EEEvPT_NS1_25CatArrInputTensorMetadataIS5_T0_XT2_EXT3_EEENS1_16TensorSizeStrideIS8_Lj4EEEiS8_,@function
_ZN2at6native12_GLOBAL__N_119CatArrayBatchedCopyINS1_10OpaqueTypeILj4EEEjLi1ELi64ELi64EEEvPT_NS1_25CatArrInputTensorMetadataIS5_T0_XT2_EXT3_EEENS1_16TensorSizeStrideIS8_Lj4EEEiS8_: ; @_ZN2at6native12_GLOBAL__N_119CatArrayBatchedCopyINS1_10OpaqueTypeILj4EEEjLi1ELi64ELi64EEEvPT_NS1_25CatArrInputTensorMetadataIS5_T0_XT2_EXT3_EEENS1_16TensorSizeStrideIS8_Lj4EEEiS8_
; %bb.0:
	s_load_dword s5, s[0:1], 0xd7c
	s_mov_b32 s4, s3
	s_or_b32 s3, s0, 8
	s_add_u32 s8, s0, 0xd70
	s_addc_u32 s9, s1, 0
	s_waitcnt lgkmcnt(0)
	s_and_b32 s13, s5, 0xffff
	s_mov_b32 s5, 0
	s_lshl_b64 s[6:7], s[4:5], 2
	s_add_u32 s10, s3, s6
	s_addc_u32 s11, s1, s7
	s_load_dword s12, s[10:11], 0x400
	s_mul_i32 s2, s2, s13
	v_add_u32_e32 v4, s2, v0
	s_waitcnt lgkmcnt(0)
	v_cmp_gt_u32_e32 vcc, s12, v4
	s_and_saveexec_b64 s[14:15], vcc
	s_cbranch_execz .LBB144_3
; %bb.1:
	s_mul_i32 s14, s4, 28
	s_mul_hi_u32 s2, s4, 28
	s_add_u32 s10, s10, s14
	s_addc_u32 s11, s11, s2
	s_add_u32 s14, s3, s4
	s_addc_u32 s15, s1, 0
	v_mov_b32_e32 v1, 0
	global_load_ubyte v0, v1, s[14:15] offset:1280
	s_load_dword s5, s[8:9], 0x0
	s_load_dwordx2 s[2:3], s[0:1], 0x0
	s_load_dword s16, s[0:1], 0xd6c
	s_load_dword s17, s[10:11], 0x550
	;; [unrolled: 1-line block ×3, first 2 shown]
	s_waitcnt lgkmcnt(0)
	s_mul_i32 s8, s5, s13
	s_mul_hi_u32 s9, s4, 7
	s_mul_i32 s4, s4, 7
	s_mov_b64 s[0:1], 0
	v_mul_lo_u32 v2, s18, v4
	s_waitcnt vmcnt(0)
	v_readfirstlane_b32 s5, v0
	s_and_b32 s13, 1, s5
	s_add_u32 s10, s14, s4
	s_addc_u32 s11, s15, s9
	s_sub_u32 s4, 0, s6
	s_subb_u32 s5, 0, s7
	s_add_u32 s6, s10, s4
	s_addc_u32 s7, s11, s5
	s_load_dwordx2 s[4:5], s[10:11], 0x0
	s_load_dword s9, s[6:7], 0x200
	s_cmp_eq_u32 s13, 1
	s_cselect_b32 s6, 1, s17
	v_mul_lo_u32 v0, s6, v4
	s_mul_i32 s6, s8, s6
	s_waitcnt lgkmcnt(0)
	s_mul_i32 s9, s9, s16
	v_add_u32_e32 v2, s9, v2
	s_mul_i32 s7, s8, s18
.LBB144_2:                              ; =>This Inner Loop Header: Depth=1
	v_lshl_add_u64 v[6:7], v[0:1], 2, s[4:5]
	global_load_dword v5, v[6:7], off
	v_add_u32_e32 v4, s8, v4
	v_mov_b32_e32 v3, v1
	v_cmp_le_u32_e32 vcc, s12, v4
	v_add_u32_e32 v0, s6, v0
	v_lshl_add_u64 v[6:7], v[2:3], 2, s[2:3]
	v_add_u32_e32 v2, s7, v2
	s_or_b64 s[0:1], vcc, s[0:1]
	s_waitcnt vmcnt(0)
	global_store_dword v[6:7], v5, off
	s_andn2_b64 exec, exec, s[0:1]
	s_cbranch_execnz .LBB144_2
.LBB144_3:
	s_endpgm
	.section	.rodata,"a",@progbits
	.p2align	6, 0x0
	.amdhsa_kernel _ZN2at6native12_GLOBAL__N_119CatArrayBatchedCopyINS1_10OpaqueTypeILj4EEEjLi1ELi64ELi64EEEvPT_NS1_25CatArrInputTensorMetadataIS5_T0_XT2_EXT3_EEENS1_16TensorSizeStrideIS8_Lj4EEEiS8_
		.amdhsa_group_segment_fixed_size 0
		.amdhsa_private_segment_fixed_size 0
		.amdhsa_kernarg_size 3696
		.amdhsa_user_sgpr_count 2
		.amdhsa_user_sgpr_dispatch_ptr 0
		.amdhsa_user_sgpr_queue_ptr 0
		.amdhsa_user_sgpr_kernarg_segment_ptr 1
		.amdhsa_user_sgpr_dispatch_id 0
		.amdhsa_user_sgpr_kernarg_preload_length 0
		.amdhsa_user_sgpr_kernarg_preload_offset 0
		.amdhsa_user_sgpr_private_segment_size 0
		.amdhsa_uses_dynamic_stack 0
		.amdhsa_enable_private_segment 0
		.amdhsa_system_sgpr_workgroup_id_x 1
		.amdhsa_system_sgpr_workgroup_id_y 1
		.amdhsa_system_sgpr_workgroup_id_z 0
		.amdhsa_system_sgpr_workgroup_info 0
		.amdhsa_system_vgpr_workitem_id 0
		.amdhsa_next_free_vgpr 8
		.amdhsa_next_free_sgpr 19
		.amdhsa_accum_offset 8
		.amdhsa_reserve_vcc 1
		.amdhsa_float_round_mode_32 0
		.amdhsa_float_round_mode_16_64 0
		.amdhsa_float_denorm_mode_32 3
		.amdhsa_float_denorm_mode_16_64 3
		.amdhsa_dx10_clamp 1
		.amdhsa_ieee_mode 1
		.amdhsa_fp16_overflow 0
		.amdhsa_tg_split 0
		.amdhsa_exception_fp_ieee_invalid_op 0
		.amdhsa_exception_fp_denorm_src 0
		.amdhsa_exception_fp_ieee_div_zero 0
		.amdhsa_exception_fp_ieee_overflow 0
		.amdhsa_exception_fp_ieee_underflow 0
		.amdhsa_exception_fp_ieee_inexact 0
		.amdhsa_exception_int_div_zero 0
	.end_amdhsa_kernel
	.section	.text._ZN2at6native12_GLOBAL__N_119CatArrayBatchedCopyINS1_10OpaqueTypeILj4EEEjLi1ELi64ELi64EEEvPT_NS1_25CatArrInputTensorMetadataIS5_T0_XT2_EXT3_EEENS1_16TensorSizeStrideIS8_Lj4EEEiS8_,"axG",@progbits,_ZN2at6native12_GLOBAL__N_119CatArrayBatchedCopyINS1_10OpaqueTypeILj4EEEjLi1ELi64ELi64EEEvPT_NS1_25CatArrInputTensorMetadataIS5_T0_XT2_EXT3_EEENS1_16TensorSizeStrideIS8_Lj4EEEiS8_,comdat
.Lfunc_end144:
	.size	_ZN2at6native12_GLOBAL__N_119CatArrayBatchedCopyINS1_10OpaqueTypeILj4EEEjLi1ELi64ELi64EEEvPT_NS1_25CatArrInputTensorMetadataIS5_T0_XT2_EXT3_EEENS1_16TensorSizeStrideIS8_Lj4EEEiS8_, .Lfunc_end144-_ZN2at6native12_GLOBAL__N_119CatArrayBatchedCopyINS1_10OpaqueTypeILj4EEEjLi1ELi64ELi64EEEvPT_NS1_25CatArrInputTensorMetadataIS5_T0_XT2_EXT3_EEENS1_16TensorSizeStrideIS8_Lj4EEEiS8_
                                        ; -- End function
	.set _ZN2at6native12_GLOBAL__N_119CatArrayBatchedCopyINS1_10OpaqueTypeILj4EEEjLi1ELi64ELi64EEEvPT_NS1_25CatArrInputTensorMetadataIS5_T0_XT2_EXT3_EEENS1_16TensorSizeStrideIS8_Lj4EEEiS8_.num_vgpr, 8
	.set _ZN2at6native12_GLOBAL__N_119CatArrayBatchedCopyINS1_10OpaqueTypeILj4EEEjLi1ELi64ELi64EEEvPT_NS1_25CatArrInputTensorMetadataIS5_T0_XT2_EXT3_EEENS1_16TensorSizeStrideIS8_Lj4EEEiS8_.num_agpr, 0
	.set _ZN2at6native12_GLOBAL__N_119CatArrayBatchedCopyINS1_10OpaqueTypeILj4EEEjLi1ELi64ELi64EEEvPT_NS1_25CatArrInputTensorMetadataIS5_T0_XT2_EXT3_EEENS1_16TensorSizeStrideIS8_Lj4EEEiS8_.numbered_sgpr, 19
	.set _ZN2at6native12_GLOBAL__N_119CatArrayBatchedCopyINS1_10OpaqueTypeILj4EEEjLi1ELi64ELi64EEEvPT_NS1_25CatArrInputTensorMetadataIS5_T0_XT2_EXT3_EEENS1_16TensorSizeStrideIS8_Lj4EEEiS8_.num_named_barrier, 0
	.set _ZN2at6native12_GLOBAL__N_119CatArrayBatchedCopyINS1_10OpaqueTypeILj4EEEjLi1ELi64ELi64EEEvPT_NS1_25CatArrInputTensorMetadataIS5_T0_XT2_EXT3_EEENS1_16TensorSizeStrideIS8_Lj4EEEiS8_.private_seg_size, 0
	.set _ZN2at6native12_GLOBAL__N_119CatArrayBatchedCopyINS1_10OpaqueTypeILj4EEEjLi1ELi64ELi64EEEvPT_NS1_25CatArrInputTensorMetadataIS5_T0_XT2_EXT3_EEENS1_16TensorSizeStrideIS8_Lj4EEEiS8_.uses_vcc, 1
	.set _ZN2at6native12_GLOBAL__N_119CatArrayBatchedCopyINS1_10OpaqueTypeILj4EEEjLi1ELi64ELi64EEEvPT_NS1_25CatArrInputTensorMetadataIS5_T0_XT2_EXT3_EEENS1_16TensorSizeStrideIS8_Lj4EEEiS8_.uses_flat_scratch, 0
	.set _ZN2at6native12_GLOBAL__N_119CatArrayBatchedCopyINS1_10OpaqueTypeILj4EEEjLi1ELi64ELi64EEEvPT_NS1_25CatArrInputTensorMetadataIS5_T0_XT2_EXT3_EEENS1_16TensorSizeStrideIS8_Lj4EEEiS8_.has_dyn_sized_stack, 0
	.set _ZN2at6native12_GLOBAL__N_119CatArrayBatchedCopyINS1_10OpaqueTypeILj4EEEjLi1ELi64ELi64EEEvPT_NS1_25CatArrInputTensorMetadataIS5_T0_XT2_EXT3_EEENS1_16TensorSizeStrideIS8_Lj4EEEiS8_.has_recursion, 0
	.set _ZN2at6native12_GLOBAL__N_119CatArrayBatchedCopyINS1_10OpaqueTypeILj4EEEjLi1ELi64ELi64EEEvPT_NS1_25CatArrInputTensorMetadataIS5_T0_XT2_EXT3_EEENS1_16TensorSizeStrideIS8_Lj4EEEiS8_.has_indirect_call, 0
	.section	.AMDGPU.csdata,"",@progbits
; Kernel info:
; codeLenInByte = 352
; TotalNumSgprs: 25
; NumVgprs: 8
; NumAgprs: 0
; TotalNumVgprs: 8
; ScratchSize: 0
; MemoryBound: 0
; FloatMode: 240
; IeeeMode: 1
; LDSByteSize: 0 bytes/workgroup (compile time only)
; SGPRBlocks: 3
; VGPRBlocks: 0
; NumSGPRsForWavesPerEU: 25
; NumVGPRsForWavesPerEU: 8
; AccumOffset: 8
; Occupancy: 8
; WaveLimiterHint : 1
; COMPUTE_PGM_RSRC2:SCRATCH_EN: 0
; COMPUTE_PGM_RSRC2:USER_SGPR: 2
; COMPUTE_PGM_RSRC2:TRAP_HANDLER: 0
; COMPUTE_PGM_RSRC2:TGID_X_EN: 1
; COMPUTE_PGM_RSRC2:TGID_Y_EN: 1
; COMPUTE_PGM_RSRC2:TGID_Z_EN: 0
; COMPUTE_PGM_RSRC2:TIDIG_COMP_CNT: 0
; COMPUTE_PGM_RSRC3_GFX90A:ACCUM_OFFSET: 1
; COMPUTE_PGM_RSRC3_GFX90A:TG_SPLIT: 0
	.section	.text._ZN2at6native12_GLOBAL__N_130CatArrayBatchedCopy_vectorizedINS1_10OpaqueTypeILj4EEEjLi2ELi64ELi64ELi16ELi4EEEvPcNS1_25CatArrInputTensorMetadataIT_T0_XT2_EXT3_EEENS1_16TensorSizeStrideIS8_Lj4EEEiS8_,"axG",@progbits,_ZN2at6native12_GLOBAL__N_130CatArrayBatchedCopy_vectorizedINS1_10OpaqueTypeILj4EEEjLi2ELi64ELi64ELi16ELi4EEEvPcNS1_25CatArrInputTensorMetadataIT_T0_XT2_EXT3_EEENS1_16TensorSizeStrideIS8_Lj4EEEiS8_,comdat
	.globl	_ZN2at6native12_GLOBAL__N_130CatArrayBatchedCopy_vectorizedINS1_10OpaqueTypeILj4EEEjLi2ELi64ELi64ELi16ELi4EEEvPcNS1_25CatArrInputTensorMetadataIT_T0_XT2_EXT3_EEENS1_16TensorSizeStrideIS8_Lj4EEEiS8_ ; -- Begin function _ZN2at6native12_GLOBAL__N_130CatArrayBatchedCopy_vectorizedINS1_10OpaqueTypeILj4EEEjLi2ELi64ELi64ELi16ELi4EEEvPcNS1_25CatArrInputTensorMetadataIT_T0_XT2_EXT3_EEENS1_16TensorSizeStrideIS8_Lj4EEEiS8_
	.p2align	8
	.type	_ZN2at6native12_GLOBAL__N_130CatArrayBatchedCopy_vectorizedINS1_10OpaqueTypeILj4EEEjLi2ELi64ELi64ELi16ELi4EEEvPcNS1_25CatArrInputTensorMetadataIT_T0_XT2_EXT3_EEENS1_16TensorSizeStrideIS8_Lj4EEEiS8_,@function
_ZN2at6native12_GLOBAL__N_130CatArrayBatchedCopy_vectorizedINS1_10OpaqueTypeILj4EEEjLi2ELi64ELi64ELi16ELi4EEEvPcNS1_25CatArrInputTensorMetadataIT_T0_XT2_EXT3_EEENS1_16TensorSizeStrideIS8_Lj4EEEiS8_: ; @_ZN2at6native12_GLOBAL__N_130CatArrayBatchedCopy_vectorizedINS1_10OpaqueTypeILj4EEEjLi2ELi64ELi64ELi16ELi4EEEvPcNS1_25CatArrInputTensorMetadataIT_T0_XT2_EXT3_EEENS1_16TensorSizeStrideIS8_Lj4EEEiS8_
; %bb.0:
	s_mov_b32 s6, s3
	s_load_dword s3, s[0:1], 0xd7c
	s_add_u32 s4, s0, 0xd70
	s_mov_b32 s7, 0
	s_addc_u32 s5, s1, 0
	s_lshl_b64 s[8:9], s[6:7], 2
	s_waitcnt lgkmcnt(0)
	s_and_b32 s11, s3, 0xffff
	s_add_u32 s12, s0, s8
	s_addc_u32 s13, s1, s9
	s_load_dword s6, s[12:13], 0x408
	s_mul_i32 s2, s2, s11
	v_add_u32_e32 v0, s2, v0
	s_add_u32 s2, s12, 8
	s_addc_u32 s3, s13, 0
	s_waitcnt lgkmcnt(0)
	s_lshr_b32 s10, s6, 2
	v_cmp_gt_u32_e32 vcc, s10, v0
	s_and_saveexec_b64 s[12:13], vcc
	s_cbranch_execz .LBB145_3
; %bb.1:
	s_add_u32 s14, s2, s8
	s_addc_u32 s15, s3, s9
	s_sub_u32 s2, 0, s8
	s_load_dwordx2 s[12:13], s[0:1], 0xd68
	s_subb_u32 s3, 0, s9
	s_add_u32 s8, s14, s2
	s_addc_u32 s9, s15, s3
	s_load_dword s6, s[8:9], 0x200
	s_load_dword s16, s[8:9], 0x300
	s_load_dwordx2 s[2:3], s[0:1], 0xd58
	s_load_dword s17, s[0:1], 0xd4c
	s_waitcnt lgkmcnt(0)
	s_mul_i32 s6, s6, s13
	s_lshr_b32 s6, s6, 2
	s_mul_i32 s16, s16, s13
	s_lshr_b32 s8, s16, 2
	s_lshl_b64 s[6:7], s[6:7], 4
	s_cmp_eq_u32 s12, 1
	s_cselect_b32 s8, s8, s17
	v_cvt_f32_u32_e32 v1, s8
	s_load_dword s9, s[4:5], 0x0
	s_load_dwordx2 s[12:13], s[0:1], 0x0
	s_mov_b64 s[4:5], 0
	s_load_dwordx2 s[0:1], s[14:15], 0x0
	v_rcp_iflag_f32_e32 v1, v1
	s_waitcnt lgkmcnt(0)
	s_mul_i32 s9, s9, s11
	s_add_u32 s6, s12, s6
	s_addc_u32 s7, s13, s7
	v_mul_f32_e32 v1, 0x4f7ffffe, v1
	v_cvt_u32_f32_e32 v1, v1
	s_sub_i32 s11, 0, s8
	v_mul_lo_u32 v2, s11, v1
	v_mul_hi_u32 v2, v1, v2
	v_add_u32_e32 v2, v1, v2
	v_mov_b32_e32 v1, 0
.LBB145_2:                              ; =>This Inner Loop Header: Depth=1
	v_lshl_add_u64 v[4:5], v[0:1], 4, s[0:1]
	global_load_dwordx4 v[4:7], v[4:5], off
	v_mul_hi_u32 v3, v2, v0
	v_mul_lo_u32 v8, s8, v3
	v_not_b32_e32 v9, v3
	v_sub_u32_e32 v11, v0, v8
	v_add_u32_e32 v10, 1, v3
	v_mad_u64_u32 v[8:9], s[12:13], s8, v9, v[0:1]
	v_cmp_le_u32_e32 vcc, s8, v11
	s_nop 1
	v_cndmask_b32_e32 v3, v3, v10, vcc
	v_cndmask_b32_e32 v8, v11, v8, vcc
	v_add_u32_e32 v9, 1, v3
	v_cmp_le_u32_e32 vcc, s8, v8
	s_nop 1
	v_cndmask_b32_e32 v3, v3, v9, vcc
	v_mad_u64_u32 v[8:9], s[12:13], s11, v3, v[0:1]
	v_mul_lo_u32 v10, v3, s2
	v_add_u32_e32 v0, s9, v0
	v_mad_u64_u32 v[8:9], s[12:13], v8, s3, v[10:11]
	v_cmp_le_u32_e32 vcc, s10, v0
	v_mov_b32_e32 v9, v1
	s_or_b64 s[4:5], vcc, s[4:5]
	v_lshl_add_u64 v[8:9], v[8:9], 4, s[6:7]
	s_waitcnt vmcnt(0)
	global_store_dwordx4 v[8:9], v[4:7], off
	s_andn2_b64 exec, exec, s[4:5]
	s_cbranch_execnz .LBB145_2
.LBB145_3:
	s_endpgm
	.section	.rodata,"a",@progbits
	.p2align	6, 0x0
	.amdhsa_kernel _ZN2at6native12_GLOBAL__N_130CatArrayBatchedCopy_vectorizedINS1_10OpaqueTypeILj4EEEjLi2ELi64ELi64ELi16ELi4EEEvPcNS1_25CatArrInputTensorMetadataIT_T0_XT2_EXT3_EEENS1_16TensorSizeStrideIS8_Lj4EEEiS8_
		.amdhsa_group_segment_fixed_size 0
		.amdhsa_private_segment_fixed_size 0
		.amdhsa_kernarg_size 3696
		.amdhsa_user_sgpr_count 2
		.amdhsa_user_sgpr_dispatch_ptr 0
		.amdhsa_user_sgpr_queue_ptr 0
		.amdhsa_user_sgpr_kernarg_segment_ptr 1
		.amdhsa_user_sgpr_dispatch_id 0
		.amdhsa_user_sgpr_kernarg_preload_length 0
		.amdhsa_user_sgpr_kernarg_preload_offset 0
		.amdhsa_user_sgpr_private_segment_size 0
		.amdhsa_uses_dynamic_stack 0
		.amdhsa_enable_private_segment 0
		.amdhsa_system_sgpr_workgroup_id_x 1
		.amdhsa_system_sgpr_workgroup_id_y 1
		.amdhsa_system_sgpr_workgroup_id_z 0
		.amdhsa_system_sgpr_workgroup_info 0
		.amdhsa_system_vgpr_workitem_id 0
		.amdhsa_next_free_vgpr 12
		.amdhsa_next_free_sgpr 18
		.amdhsa_accum_offset 12
		.amdhsa_reserve_vcc 1
		.amdhsa_float_round_mode_32 0
		.amdhsa_float_round_mode_16_64 0
		.amdhsa_float_denorm_mode_32 3
		.amdhsa_float_denorm_mode_16_64 3
		.amdhsa_dx10_clamp 1
		.amdhsa_ieee_mode 1
		.amdhsa_fp16_overflow 0
		.amdhsa_tg_split 0
		.amdhsa_exception_fp_ieee_invalid_op 0
		.amdhsa_exception_fp_denorm_src 0
		.amdhsa_exception_fp_ieee_div_zero 0
		.amdhsa_exception_fp_ieee_overflow 0
		.amdhsa_exception_fp_ieee_underflow 0
		.amdhsa_exception_fp_ieee_inexact 0
		.amdhsa_exception_int_div_zero 0
	.end_amdhsa_kernel
	.section	.text._ZN2at6native12_GLOBAL__N_130CatArrayBatchedCopy_vectorizedINS1_10OpaqueTypeILj4EEEjLi2ELi64ELi64ELi16ELi4EEEvPcNS1_25CatArrInputTensorMetadataIT_T0_XT2_EXT3_EEENS1_16TensorSizeStrideIS8_Lj4EEEiS8_,"axG",@progbits,_ZN2at6native12_GLOBAL__N_130CatArrayBatchedCopy_vectorizedINS1_10OpaqueTypeILj4EEEjLi2ELi64ELi64ELi16ELi4EEEvPcNS1_25CatArrInputTensorMetadataIT_T0_XT2_EXT3_EEENS1_16TensorSizeStrideIS8_Lj4EEEiS8_,comdat
.Lfunc_end145:
	.size	_ZN2at6native12_GLOBAL__N_130CatArrayBatchedCopy_vectorizedINS1_10OpaqueTypeILj4EEEjLi2ELi64ELi64ELi16ELi4EEEvPcNS1_25CatArrInputTensorMetadataIT_T0_XT2_EXT3_EEENS1_16TensorSizeStrideIS8_Lj4EEEiS8_, .Lfunc_end145-_ZN2at6native12_GLOBAL__N_130CatArrayBatchedCopy_vectorizedINS1_10OpaqueTypeILj4EEEjLi2ELi64ELi64ELi16ELi4EEEvPcNS1_25CatArrInputTensorMetadataIT_T0_XT2_EXT3_EEENS1_16TensorSizeStrideIS8_Lj4EEEiS8_
                                        ; -- End function
	.set _ZN2at6native12_GLOBAL__N_130CatArrayBatchedCopy_vectorizedINS1_10OpaqueTypeILj4EEEjLi2ELi64ELi64ELi16ELi4EEEvPcNS1_25CatArrInputTensorMetadataIT_T0_XT2_EXT3_EEENS1_16TensorSizeStrideIS8_Lj4EEEiS8_.num_vgpr, 12
	.set _ZN2at6native12_GLOBAL__N_130CatArrayBatchedCopy_vectorizedINS1_10OpaqueTypeILj4EEEjLi2ELi64ELi64ELi16ELi4EEEvPcNS1_25CatArrInputTensorMetadataIT_T0_XT2_EXT3_EEENS1_16TensorSizeStrideIS8_Lj4EEEiS8_.num_agpr, 0
	.set _ZN2at6native12_GLOBAL__N_130CatArrayBatchedCopy_vectorizedINS1_10OpaqueTypeILj4EEEjLi2ELi64ELi64ELi16ELi4EEEvPcNS1_25CatArrInputTensorMetadataIT_T0_XT2_EXT3_EEENS1_16TensorSizeStrideIS8_Lj4EEEiS8_.numbered_sgpr, 18
	.set _ZN2at6native12_GLOBAL__N_130CatArrayBatchedCopy_vectorizedINS1_10OpaqueTypeILj4EEEjLi2ELi64ELi64ELi16ELi4EEEvPcNS1_25CatArrInputTensorMetadataIT_T0_XT2_EXT3_EEENS1_16TensorSizeStrideIS8_Lj4EEEiS8_.num_named_barrier, 0
	.set _ZN2at6native12_GLOBAL__N_130CatArrayBatchedCopy_vectorizedINS1_10OpaqueTypeILj4EEEjLi2ELi64ELi64ELi16ELi4EEEvPcNS1_25CatArrInputTensorMetadataIT_T0_XT2_EXT3_EEENS1_16TensorSizeStrideIS8_Lj4EEEiS8_.private_seg_size, 0
	.set _ZN2at6native12_GLOBAL__N_130CatArrayBatchedCopy_vectorizedINS1_10OpaqueTypeILj4EEEjLi2ELi64ELi64ELi16ELi4EEEvPcNS1_25CatArrInputTensorMetadataIT_T0_XT2_EXT3_EEENS1_16TensorSizeStrideIS8_Lj4EEEiS8_.uses_vcc, 1
	.set _ZN2at6native12_GLOBAL__N_130CatArrayBatchedCopy_vectorizedINS1_10OpaqueTypeILj4EEEjLi2ELi64ELi64ELi16ELi4EEEvPcNS1_25CatArrInputTensorMetadataIT_T0_XT2_EXT3_EEENS1_16TensorSizeStrideIS8_Lj4EEEiS8_.uses_flat_scratch, 0
	.set _ZN2at6native12_GLOBAL__N_130CatArrayBatchedCopy_vectorizedINS1_10OpaqueTypeILj4EEEjLi2ELi64ELi64ELi16ELi4EEEvPcNS1_25CatArrInputTensorMetadataIT_T0_XT2_EXT3_EEENS1_16TensorSizeStrideIS8_Lj4EEEiS8_.has_dyn_sized_stack, 0
	.set _ZN2at6native12_GLOBAL__N_130CatArrayBatchedCopy_vectorizedINS1_10OpaqueTypeILj4EEEjLi2ELi64ELi64ELi16ELi4EEEvPcNS1_25CatArrInputTensorMetadataIT_T0_XT2_EXT3_EEENS1_16TensorSizeStrideIS8_Lj4EEEiS8_.has_recursion, 0
	.set _ZN2at6native12_GLOBAL__N_130CatArrayBatchedCopy_vectorizedINS1_10OpaqueTypeILj4EEEjLi2ELi64ELi64ELi16ELi4EEEvPcNS1_25CatArrInputTensorMetadataIT_T0_XT2_EXT3_EEENS1_16TensorSizeStrideIS8_Lj4EEEiS8_.has_indirect_call, 0
	.section	.AMDGPU.csdata,"",@progbits
; Kernel info:
; codeLenInByte = 440
; TotalNumSgprs: 24
; NumVgprs: 12
; NumAgprs: 0
; TotalNumVgprs: 12
; ScratchSize: 0
; MemoryBound: 0
; FloatMode: 240
; IeeeMode: 1
; LDSByteSize: 0 bytes/workgroup (compile time only)
; SGPRBlocks: 2
; VGPRBlocks: 1
; NumSGPRsForWavesPerEU: 24
; NumVGPRsForWavesPerEU: 12
; AccumOffset: 12
; Occupancy: 8
; WaveLimiterHint : 1
; COMPUTE_PGM_RSRC2:SCRATCH_EN: 0
; COMPUTE_PGM_RSRC2:USER_SGPR: 2
; COMPUTE_PGM_RSRC2:TRAP_HANDLER: 0
; COMPUTE_PGM_RSRC2:TGID_X_EN: 1
; COMPUTE_PGM_RSRC2:TGID_Y_EN: 1
; COMPUTE_PGM_RSRC2:TGID_Z_EN: 0
; COMPUTE_PGM_RSRC2:TIDIG_COMP_CNT: 0
; COMPUTE_PGM_RSRC3_GFX90A:ACCUM_OFFSET: 2
; COMPUTE_PGM_RSRC3_GFX90A:TG_SPLIT: 0
	.section	.text._ZN2at6native12_GLOBAL__N_135CatArrayBatchedCopy_alignedK_contigINS1_10OpaqueTypeILj4EEEjLi2ELi64ELi64ELi16EEEvPT_NS1_25CatArrInputTensorMetadataIS5_T0_XT2_EXT3_EEENS1_16TensorSizeStrideIS8_Lj4EEEiS8_,"axG",@progbits,_ZN2at6native12_GLOBAL__N_135CatArrayBatchedCopy_alignedK_contigINS1_10OpaqueTypeILj4EEEjLi2ELi64ELi64ELi16EEEvPT_NS1_25CatArrInputTensorMetadataIS5_T0_XT2_EXT3_EEENS1_16TensorSizeStrideIS8_Lj4EEEiS8_,comdat
	.globl	_ZN2at6native12_GLOBAL__N_135CatArrayBatchedCopy_alignedK_contigINS1_10OpaqueTypeILj4EEEjLi2ELi64ELi64ELi16EEEvPT_NS1_25CatArrInputTensorMetadataIS5_T0_XT2_EXT3_EEENS1_16TensorSizeStrideIS8_Lj4EEEiS8_ ; -- Begin function _ZN2at6native12_GLOBAL__N_135CatArrayBatchedCopy_alignedK_contigINS1_10OpaqueTypeILj4EEEjLi2ELi64ELi64ELi16EEEvPT_NS1_25CatArrInputTensorMetadataIS5_T0_XT2_EXT3_EEENS1_16TensorSizeStrideIS8_Lj4EEEiS8_
	.p2align	8
	.type	_ZN2at6native12_GLOBAL__N_135CatArrayBatchedCopy_alignedK_contigINS1_10OpaqueTypeILj4EEEjLi2ELi64ELi64ELi16EEEvPT_NS1_25CatArrInputTensorMetadataIS5_T0_XT2_EXT3_EEENS1_16TensorSizeStrideIS8_Lj4EEEiS8_,@function
_ZN2at6native12_GLOBAL__N_135CatArrayBatchedCopy_alignedK_contigINS1_10OpaqueTypeILj4EEEjLi2ELi64ELi64ELi16EEEvPT_NS1_25CatArrInputTensorMetadataIS5_T0_XT2_EXT3_EEENS1_16TensorSizeStrideIS8_Lj4EEEiS8_: ; @_ZN2at6native12_GLOBAL__N_135CatArrayBatchedCopy_alignedK_contigINS1_10OpaqueTypeILj4EEEjLi2ELi64ELi64ELi16EEEvPT_NS1_25CatArrInputTensorMetadataIS5_T0_XT2_EXT3_EEENS1_16TensorSizeStrideIS8_Lj4EEEiS8_
; %bb.0:
	s_mov_b32 s6, s3
	s_load_dword s3, s[0:1], 0xd7c
	s_add_u32 s4, s0, 0xd70
	s_mov_b32 s7, 0
	s_addc_u32 s5, s1, 0
	s_lshl_b64 s[6:7], s[6:7], 2
	s_waitcnt lgkmcnt(0)
	s_and_b32 s3, s3, 0xffff
	s_add_u32 s8, s0, s6
	s_addc_u32 s9, s1, s7
	s_load_dword s18, s[8:9], 0x408
	s_mul_i32 s2, s2, s3
	v_add_lshl_u32 v0, s2, v0, 2
	s_add_u32 s2, s8, 8
	s_addc_u32 s8, s9, 0
	s_waitcnt lgkmcnt(0)
	v_cmp_gt_u32_e32 vcc, s18, v0
	s_and_saveexec_b64 s[10:11], vcc
	s_cbranch_execz .LBB146_8
; %bb.1:
	s_add_u32 s14, s2, s6
	s_addc_u32 s15, s8, s7
	s_sub_u32 s2, 0, s6
	s_subb_u32 s6, 0, s7
	s_add_u32 s16, s14, s2
	s_addc_u32 s17, s15, s6
	s_load_dword s2, s[16:17], 0x200
	s_load_dwordx2 s[6:7], s[0:1], 0x0
	s_load_dwordx2 s[12:13], s[0:1], 0xd68
	s_load_dword s19, s[0:1], 0xd4c
	s_load_dwordx2 s[8:9], s[0:1], 0xd58
	s_load_dwordx2 s[10:11], s[14:15], 0x0
	s_load_dword s20, s[16:17], 0x300
	v_add_u32_e32 v1, 4, v0
	s_mov_b64 s[14:15], 0
	s_waitcnt lgkmcnt(0)
	s_mul_i32 s13, s2, s13
	v_cmp_ge_u32_e32 vcc, s18, v1
	s_and_saveexec_b64 s[16:17], vcc
	s_cbranch_execz .LBB146_5
; %bb.2:
	s_load_dword s0, s[4:5], 0x0
	v_add_u32_e32 v3, 2, v0
	s_waitcnt lgkmcnt(0)
	s_mul_i32 s0, s0, s3
	s_lshl_b32 s21, s0, 2
	s_cmp_eq_u32 s12, 1
	s_cselect_b32 s22, s20, s19
	v_cvt_f32_u32_e32 v1, s22
	s_sub_i32 s23, 0, s22
	v_rcp_iflag_f32_e32 v2, v1
	v_mov_b32_e32 v1, 0
	v_mul_f32_e32 v2, 0x4f7ffffe, v2
	v_cvt_u32_f32_e32 v4, v2
	v_add_u32_e32 v2, 3, v0
	v_mul_lo_u32 v5, s23, v4
	v_mul_hi_u32 v5, v4, v5
	v_add_u32_e32 v4, v4, v5
	v_add_u32_e32 v5, 1, v0
.LBB146_3:                              ; =>This Inner Loop Header: Depth=1
	v_lshl_add_u64 v[6:7], v[0:1], 2, s[10:11]
	global_load_dwordx4 v[6:9], v[6:7], off
	v_mul_hi_u32 v16, v4, v0
	v_mul_hi_u32 v24, v4, v2
	;; [unrolled: 1-line block ×4, first 2 shown]
	v_add_u32_e32 v10, 1, v0
	v_add_u32_e32 v12, 2, v0
	;; [unrolled: 1-line block ×3, first 2 shown]
	v_mov_b32_e32 v11, v1
	v_mov_b32_e32 v13, v1
	;; [unrolled: 1-line block ×3, first 2 shown]
	v_not_b32_e32 v26, v16
	v_mad_u64_u32 v[18:19], s[0:1], s23, v16, v[0:1]
	v_not_b32_e32 v32, v24
	v_not_b32_e32 v30, v22
	;; [unrolled: 1-line block ×3, first 2 shown]
	v_add_u32_e32 v19, 1, v16
	v_mul_hi_u32 v34, v10, v4
	v_mad_u64_u32 v[20:21], s[0:1], s23, v20, v[10:11]
	v_mad_u64_u32 v[22:23], s[0:1], s23, v22, v[12:13]
	;; [unrolled: 1-line block ×3, first 2 shown]
	v_cmp_le_u32_e32 vcc, s22, v18
	v_mad_u64_u32 v[26:27], s[0:1], s22, v26, v[0:1]
	v_mul_hi_u32 v21, v12, v4
	v_mul_hi_u32 v23, v14, v4
	v_cndmask_b32_e32 v16, v16, v19, vcc
	v_add_u32_e32 v19, 1, v34
	v_cmp_le_u32_e64 s[0:1], s22, v20
	v_mad_u64_u32 v[28:29], s[2:3], s22, v28, v[10:11]
	v_mad_u64_u32 v[30:31], s[4:5], s22, v30, v[12:13]
	v_cndmask_b32_e32 v18, v18, v26, vcc
	v_add_u32_e32 v10, 1, v21
	v_cmp_le_u32_e64 s[2:3], s22, v22
	v_add_u32_e32 v25, 1, v23
	v_cmp_le_u32_e64 s[4:5], s22, v24
	v_mad_u64_u32 v[32:33], s[24:25], s22, v32, v[14:15]
	v_add_u32_e32 v26, 1, v16
	v_cndmask_b32_e64 v27, v34, v19, s[0:1]
	v_cndmask_b32_e64 v19, v20, v28, s[0:1]
	v_cmp_le_u32_e32 vcc, s22, v18
	v_cndmask_b32_e64 v10, v21, v10, s[2:3]
	v_cndmask_b32_e64 v20, v22, v30, s[2:3]
	;; [unrolled: 1-line block ×4, first 2 shown]
	v_cndmask_b32_e32 v16, v16, v26, vcc
	v_add_u32_e32 v23, 1, v27
	v_cmp_le_u32_e32 vcc, s22, v19
	v_add_u32_e32 v24, 1, v10
	v_cmp_le_u32_e64 s[0:1], s22, v20
	v_add_u32_e32 v20, 1, v21
	v_cmp_le_u32_e64 s[2:3], s22, v22
	v_mad_u64_u32 v[18:19], s[4:5], s23, v16, v[0:1]
	v_cndmask_b32_e32 v22, v27, v23, vcc
	v_cndmask_b32_e64 v10, v10, v24, s[0:1]
	v_cndmask_b32_e64 v24, v21, v20, s[2:3]
	v_mul_lo_u32 v25, v18, s9
	v_mad_u64_u32 v[18:19], s[0:1], s23, v22, v[0:1]
	v_mul_lo_u32 v19, v22, s8
	v_mad_u64_u32 v[20:21], s[0:1], s23, v10, v[12:13]
	v_mad_u64_u32 v[22:23], s[0:1], s23, v24, v[14:15]
	v_add_u32_e32 v0, s21, v0
	v_mul_lo_u32 v16, v16, s8
	v_mul_lo_u32 v14, s9, v18
	;; [unrolled: 1-line block ×4, first 2 shown]
	v_add_u32_e32 v22, 4, v0
	v_mul_lo_u32 v12, v10, s8
	v_mul_lo_u32 v21, v24, s8
	v_add3_u32 v10, v25, v16, s13
	v_add_u32_e32 v23, s9, v14
	v_cmp_lt_u32_e32 vcc, s18, v22
	v_mov_b32_e32 v17, v1
	v_add_u32_e32 v2, s21, v2
	v_add_u32_e32 v3, s21, v3
	;; [unrolled: 1-line block ×3, first 2 shown]
	v_lshl_add_u64 v[10:11], v[10:11], 2, s[6:7]
	v_add3_u32 v14, v18, v12, s13
	v_add3_u32 v16, v20, v21, s13
	;; [unrolled: 1-line block ×3, first 2 shown]
	s_or_b64 s[14:15], vcc, s[14:15]
	v_lshl_add_u64 v[14:15], v[14:15], 2, s[6:7]
	v_lshl_add_u64 v[16:17], v[16:17], 2, s[6:7]
	;; [unrolled: 1-line block ×3, first 2 shown]
	s_waitcnt vmcnt(0)
	global_store_dword v[10:11], v6, off
	global_store_dword v[12:13], v7, off
	global_store_dword v[14:15], v8, off
	global_store_dword v[16:17], v9, off
	s_andn2_b64 exec, exec, s[14:15]
	s_cbranch_execnz .LBB146_3
; %bb.4:
	s_or_b64 exec, exec, s[14:15]
.LBB146_5:
	s_or_b64 exec, exec, s[16:17]
	v_cmp_gt_u32_e32 vcc, s18, v0
	s_and_b64 exec, exec, vcc
	s_cbranch_execz .LBB146_8
; %bb.6:
	s_cmp_eq_u32 s12, 1
	s_cselect_b32 s2, s20, s19
	v_cvt_f32_u32_e32 v1, s2
	v_mov_b32_e32 v3, 0
	s_sub_i32 s3, 0, s2
	v_mov_b32_e32 v5, v3
	v_rcp_iflag_f32_e32 v1, v1
	s_nop 0
	v_mul_f32_e32 v1, 0x4f7ffffe, v1
	v_cvt_u32_f32_e32 v2, v1
	v_mov_b32_e32 v1, v3
	v_lshl_add_u64 v[6:7], v[0:1], 2, s[10:11]
	v_mul_lo_u32 v1, s3, v2
	v_mul_hi_u32 v1, v2, v1
	v_add_u32_e32 v4, v2, v1
	v_mad_u64_u32 v[8:9], s[0:1], v0, v4, 0
	s_mov_b64 s[0:1], 0
.LBB146_7:                              ; =>This Inner Loop Header: Depth=1
	global_load_dword v1, v[6:7], off
	v_mul_lo_u32 v2, s2, v9
	v_not_b32_e32 v10, v9
	v_sub_u32_e32 v2, v0, v2
	v_add_u32_e32 v12, 1, v9
	v_cmp_le_u32_e32 vcc, s2, v2
	v_lshl_add_u64 v[6:7], v[6:7], 0, 4
	s_waitcnt vmcnt(0)
	v_mad_u64_u32 v[10:11], s[4:5], s2, v10, v[0:1]
	v_cndmask_b32_e32 v11, v9, v12, vcc
	v_cndmask_b32_e32 v2, v2, v10, vcc
	v_add_u32_e32 v10, 1, v11
	v_cmp_le_u32_e32 vcc, s2, v2
	v_lshl_add_u64 v[8:9], v[8:9], 0, v[4:5]
	s_nop 0
	v_cndmask_b32_e32 v2, v11, v10, vcc
	v_mad_u64_u32 v[10:11], s[4:5], s3, v2, v[0:1]
	v_mul_lo_u32 v2, v2, s8
	v_add_u32_e32 v0, 1, v0
	v_mul_lo_u32 v10, v10, s9
	v_cmp_le_u32_e32 vcc, s18, v0
	v_add3_u32 v2, v10, v2, s13
	s_or_b64 s[0:1], vcc, s[0:1]
	v_lshl_add_u64 v[10:11], v[2:3], 2, s[6:7]
	global_store_dword v[10:11], v1, off
	s_andn2_b64 exec, exec, s[0:1]
	s_cbranch_execnz .LBB146_7
.LBB146_8:
	s_endpgm
	.section	.rodata,"a",@progbits
	.p2align	6, 0x0
	.amdhsa_kernel _ZN2at6native12_GLOBAL__N_135CatArrayBatchedCopy_alignedK_contigINS1_10OpaqueTypeILj4EEEjLi2ELi64ELi64ELi16EEEvPT_NS1_25CatArrInputTensorMetadataIS5_T0_XT2_EXT3_EEENS1_16TensorSizeStrideIS8_Lj4EEEiS8_
		.amdhsa_group_segment_fixed_size 0
		.amdhsa_private_segment_fixed_size 0
		.amdhsa_kernarg_size 3696
		.amdhsa_user_sgpr_count 2
		.amdhsa_user_sgpr_dispatch_ptr 0
		.amdhsa_user_sgpr_queue_ptr 0
		.amdhsa_user_sgpr_kernarg_segment_ptr 1
		.amdhsa_user_sgpr_dispatch_id 0
		.amdhsa_user_sgpr_kernarg_preload_length 0
		.amdhsa_user_sgpr_kernarg_preload_offset 0
		.amdhsa_user_sgpr_private_segment_size 0
		.amdhsa_uses_dynamic_stack 0
		.amdhsa_enable_private_segment 0
		.amdhsa_system_sgpr_workgroup_id_x 1
		.amdhsa_system_sgpr_workgroup_id_y 1
		.amdhsa_system_sgpr_workgroup_id_z 0
		.amdhsa_system_sgpr_workgroup_info 0
		.amdhsa_system_vgpr_workitem_id 0
		.amdhsa_next_free_vgpr 35
		.amdhsa_next_free_sgpr 26
		.amdhsa_accum_offset 36
		.amdhsa_reserve_vcc 1
		.amdhsa_float_round_mode_32 0
		.amdhsa_float_round_mode_16_64 0
		.amdhsa_float_denorm_mode_32 3
		.amdhsa_float_denorm_mode_16_64 3
		.amdhsa_dx10_clamp 1
		.amdhsa_ieee_mode 1
		.amdhsa_fp16_overflow 0
		.amdhsa_tg_split 0
		.amdhsa_exception_fp_ieee_invalid_op 0
		.amdhsa_exception_fp_denorm_src 0
		.amdhsa_exception_fp_ieee_div_zero 0
		.amdhsa_exception_fp_ieee_overflow 0
		.amdhsa_exception_fp_ieee_underflow 0
		.amdhsa_exception_fp_ieee_inexact 0
		.amdhsa_exception_int_div_zero 0
	.end_amdhsa_kernel
	.section	.text._ZN2at6native12_GLOBAL__N_135CatArrayBatchedCopy_alignedK_contigINS1_10OpaqueTypeILj4EEEjLi2ELi64ELi64ELi16EEEvPT_NS1_25CatArrInputTensorMetadataIS5_T0_XT2_EXT3_EEENS1_16TensorSizeStrideIS8_Lj4EEEiS8_,"axG",@progbits,_ZN2at6native12_GLOBAL__N_135CatArrayBatchedCopy_alignedK_contigINS1_10OpaqueTypeILj4EEEjLi2ELi64ELi64ELi16EEEvPT_NS1_25CatArrInputTensorMetadataIS5_T0_XT2_EXT3_EEENS1_16TensorSizeStrideIS8_Lj4EEEiS8_,comdat
.Lfunc_end146:
	.size	_ZN2at6native12_GLOBAL__N_135CatArrayBatchedCopy_alignedK_contigINS1_10OpaqueTypeILj4EEEjLi2ELi64ELi64ELi16EEEvPT_NS1_25CatArrInputTensorMetadataIS5_T0_XT2_EXT3_EEENS1_16TensorSizeStrideIS8_Lj4EEEiS8_, .Lfunc_end146-_ZN2at6native12_GLOBAL__N_135CatArrayBatchedCopy_alignedK_contigINS1_10OpaqueTypeILj4EEEjLi2ELi64ELi64ELi16EEEvPT_NS1_25CatArrInputTensorMetadataIS5_T0_XT2_EXT3_EEENS1_16TensorSizeStrideIS8_Lj4EEEiS8_
                                        ; -- End function
	.set _ZN2at6native12_GLOBAL__N_135CatArrayBatchedCopy_alignedK_contigINS1_10OpaqueTypeILj4EEEjLi2ELi64ELi64ELi16EEEvPT_NS1_25CatArrInputTensorMetadataIS5_T0_XT2_EXT3_EEENS1_16TensorSizeStrideIS8_Lj4EEEiS8_.num_vgpr, 35
	.set _ZN2at6native12_GLOBAL__N_135CatArrayBatchedCopy_alignedK_contigINS1_10OpaqueTypeILj4EEEjLi2ELi64ELi64ELi16EEEvPT_NS1_25CatArrInputTensorMetadataIS5_T0_XT2_EXT3_EEENS1_16TensorSizeStrideIS8_Lj4EEEiS8_.num_agpr, 0
	.set _ZN2at6native12_GLOBAL__N_135CatArrayBatchedCopy_alignedK_contigINS1_10OpaqueTypeILj4EEEjLi2ELi64ELi64ELi16EEEvPT_NS1_25CatArrInputTensorMetadataIS5_T0_XT2_EXT3_EEENS1_16TensorSizeStrideIS8_Lj4EEEiS8_.numbered_sgpr, 26
	.set _ZN2at6native12_GLOBAL__N_135CatArrayBatchedCopy_alignedK_contigINS1_10OpaqueTypeILj4EEEjLi2ELi64ELi64ELi16EEEvPT_NS1_25CatArrInputTensorMetadataIS5_T0_XT2_EXT3_EEENS1_16TensorSizeStrideIS8_Lj4EEEiS8_.num_named_barrier, 0
	.set _ZN2at6native12_GLOBAL__N_135CatArrayBatchedCopy_alignedK_contigINS1_10OpaqueTypeILj4EEEjLi2ELi64ELi64ELi16EEEvPT_NS1_25CatArrInputTensorMetadataIS5_T0_XT2_EXT3_EEENS1_16TensorSizeStrideIS8_Lj4EEEiS8_.private_seg_size, 0
	.set _ZN2at6native12_GLOBAL__N_135CatArrayBatchedCopy_alignedK_contigINS1_10OpaqueTypeILj4EEEjLi2ELi64ELi64ELi16EEEvPT_NS1_25CatArrInputTensorMetadataIS5_T0_XT2_EXT3_EEENS1_16TensorSizeStrideIS8_Lj4EEEiS8_.uses_vcc, 1
	.set _ZN2at6native12_GLOBAL__N_135CatArrayBatchedCopy_alignedK_contigINS1_10OpaqueTypeILj4EEEjLi2ELi64ELi64ELi16EEEvPT_NS1_25CatArrInputTensorMetadataIS5_T0_XT2_EXT3_EEENS1_16TensorSizeStrideIS8_Lj4EEEiS8_.uses_flat_scratch, 0
	.set _ZN2at6native12_GLOBAL__N_135CatArrayBatchedCopy_alignedK_contigINS1_10OpaqueTypeILj4EEEjLi2ELi64ELi64ELi16EEEvPT_NS1_25CatArrInputTensorMetadataIS5_T0_XT2_EXT3_EEENS1_16TensorSizeStrideIS8_Lj4EEEiS8_.has_dyn_sized_stack, 0
	.set _ZN2at6native12_GLOBAL__N_135CatArrayBatchedCopy_alignedK_contigINS1_10OpaqueTypeILj4EEEjLi2ELi64ELi64ELi16EEEvPT_NS1_25CatArrInputTensorMetadataIS5_T0_XT2_EXT3_EEENS1_16TensorSizeStrideIS8_Lj4EEEiS8_.has_recursion, 0
	.set _ZN2at6native12_GLOBAL__N_135CatArrayBatchedCopy_alignedK_contigINS1_10OpaqueTypeILj4EEEjLi2ELi64ELi64ELi16EEEvPT_NS1_25CatArrInputTensorMetadataIS5_T0_XT2_EXT3_EEENS1_16TensorSizeStrideIS8_Lj4EEEiS8_.has_indirect_call, 0
	.section	.AMDGPU.csdata,"",@progbits
; Kernel info:
; codeLenInByte = 1136
; TotalNumSgprs: 32
; NumVgprs: 35
; NumAgprs: 0
; TotalNumVgprs: 35
; ScratchSize: 0
; MemoryBound: 0
; FloatMode: 240
; IeeeMode: 1
; LDSByteSize: 0 bytes/workgroup (compile time only)
; SGPRBlocks: 3
; VGPRBlocks: 4
; NumSGPRsForWavesPerEU: 32
; NumVGPRsForWavesPerEU: 35
; AccumOffset: 36
; Occupancy: 8
; WaveLimiterHint : 1
; COMPUTE_PGM_RSRC2:SCRATCH_EN: 0
; COMPUTE_PGM_RSRC2:USER_SGPR: 2
; COMPUTE_PGM_RSRC2:TRAP_HANDLER: 0
; COMPUTE_PGM_RSRC2:TGID_X_EN: 1
; COMPUTE_PGM_RSRC2:TGID_Y_EN: 1
; COMPUTE_PGM_RSRC2:TGID_Z_EN: 0
; COMPUTE_PGM_RSRC2:TIDIG_COMP_CNT: 0
; COMPUTE_PGM_RSRC3_GFX90A:ACCUM_OFFSET: 8
; COMPUTE_PGM_RSRC3_GFX90A:TG_SPLIT: 0
	.section	.text._ZN2at6native12_GLOBAL__N_135CatArrayBatchedCopy_alignedK_contigINS1_10OpaqueTypeILj4EEEjLi2ELi64ELi64ELi8EEEvPT_NS1_25CatArrInputTensorMetadataIS5_T0_XT2_EXT3_EEENS1_16TensorSizeStrideIS8_Lj4EEEiS8_,"axG",@progbits,_ZN2at6native12_GLOBAL__N_135CatArrayBatchedCopy_alignedK_contigINS1_10OpaqueTypeILj4EEEjLi2ELi64ELi64ELi8EEEvPT_NS1_25CatArrInputTensorMetadataIS5_T0_XT2_EXT3_EEENS1_16TensorSizeStrideIS8_Lj4EEEiS8_,comdat
	.globl	_ZN2at6native12_GLOBAL__N_135CatArrayBatchedCopy_alignedK_contigINS1_10OpaqueTypeILj4EEEjLi2ELi64ELi64ELi8EEEvPT_NS1_25CatArrInputTensorMetadataIS5_T0_XT2_EXT3_EEENS1_16TensorSizeStrideIS8_Lj4EEEiS8_ ; -- Begin function _ZN2at6native12_GLOBAL__N_135CatArrayBatchedCopy_alignedK_contigINS1_10OpaqueTypeILj4EEEjLi2ELi64ELi64ELi8EEEvPT_NS1_25CatArrInputTensorMetadataIS5_T0_XT2_EXT3_EEENS1_16TensorSizeStrideIS8_Lj4EEEiS8_
	.p2align	8
	.type	_ZN2at6native12_GLOBAL__N_135CatArrayBatchedCopy_alignedK_contigINS1_10OpaqueTypeILj4EEEjLi2ELi64ELi64ELi8EEEvPT_NS1_25CatArrInputTensorMetadataIS5_T0_XT2_EXT3_EEENS1_16TensorSizeStrideIS8_Lj4EEEiS8_,@function
_ZN2at6native12_GLOBAL__N_135CatArrayBatchedCopy_alignedK_contigINS1_10OpaqueTypeILj4EEEjLi2ELi64ELi64ELi8EEEvPT_NS1_25CatArrInputTensorMetadataIS5_T0_XT2_EXT3_EEENS1_16TensorSizeStrideIS8_Lj4EEEiS8_: ; @_ZN2at6native12_GLOBAL__N_135CatArrayBatchedCopy_alignedK_contigINS1_10OpaqueTypeILj4EEEjLi2ELi64ELi64ELi8EEEvPT_NS1_25CatArrInputTensorMetadataIS5_T0_XT2_EXT3_EEENS1_16TensorSizeStrideIS8_Lj4EEEiS8_
; %bb.0:
	s_mov_b32 s4, s3
	s_load_dword s3, s[0:1], 0xd7c
	s_add_u32 s14, s0, 0xd70
	s_mov_b32 s5, 0
	s_addc_u32 s15, s1, 0
	s_lshl_b64 s[4:5], s[4:5], 2
	s_waitcnt lgkmcnt(0)
	s_and_b32 s19, s3, 0xffff
	s_add_u32 s6, s0, s4
	s_addc_u32 s7, s1, s5
	s_load_dword s16, s[6:7], 0x408
	s_mul_i32 s2, s2, s19
	v_add_lshl_u32 v0, s2, v0, 1
	s_add_u32 s2, s6, 8
	s_addc_u32 s3, s7, 0
	s_waitcnt lgkmcnt(0)
	v_cmp_gt_u32_e32 vcc, s16, v0
	s_and_saveexec_b64 s[6:7], vcc
	s_cbranch_execz .LBB147_8
; %bb.1:
	s_add_u32 s10, s2, s4
	s_addc_u32 s11, s3, s5
	s_sub_u32 s2, 0, s4
	s_subb_u32 s3, 0, s5
	s_add_u32 s12, s10, s2
	s_addc_u32 s13, s11, s3
	s_load_dword s20, s[12:13], 0x200
	s_load_dwordx2 s[2:3], s[0:1], 0x0
	s_load_dwordx2 s[8:9], s[0:1], 0xd68
	s_load_dword s17, s[0:1], 0xd4c
	s_load_dwordx2 s[4:5], s[0:1], 0xd58
	s_load_dwordx2 s[6:7], s[10:11], 0x0
	s_load_dword s18, s[12:13], 0x300
	v_add_u32_e32 v1, 2, v0
	s_mov_b64 s[10:11], 0
	s_waitcnt lgkmcnt(0)
	s_mul_i32 s9, s20, s9
	v_cmp_ge_u32_e32 vcc, s16, v1
	s_and_saveexec_b64 s[12:13], vcc
	s_cbranch_execz .LBB147_5
; %bb.2:
	s_load_dword s0, s[14:15], 0x0
	s_waitcnt lgkmcnt(0)
	s_mul_i32 s0, s0, s19
	s_lshl_b32 s14, s0, 1
	s_cmp_eq_u32 s8, 1
	s_cselect_b32 s15, s18, s17
	v_cvt_f32_u32_e32 v1, s15
	s_sub_i32 s19, 0, s15
	v_rcp_iflag_f32_e32 v1, v1
	s_nop 0
	v_mul_f32_e32 v1, 0x4f7ffffe, v1
	v_cvt_u32_f32_e32 v2, v1
	v_mov_b32_e32 v1, 0
	v_mul_lo_u32 v3, s19, v2
	v_mul_hi_u32 v3, v2, v3
	v_add_u32_e32 v2, v2, v3
	v_add_u32_e32 v3, 1, v0
.LBB147_3:                              ; =>This Inner Loop Header: Depth=1
	v_lshl_add_u64 v[4:5], v[0:1], 2, s[6:7]
	global_load_dwordx2 v[4:5], v[4:5], off
	v_mul_hi_u32 v8, v2, v0
	v_mul_hi_u32 v12, v2, v3
	v_add_u32_e32 v6, 1, v0
	v_mov_b32_e32 v7, v1
	v_not_b32_e32 v14, v8
	v_mad_u64_u32 v[10:11], s[0:1], s19, v8, v[0:1]
	v_not_b32_e32 v16, v12
	v_add_u32_e32 v11, 1, v8
	v_mul_hi_u32 v18, v6, v2
	v_mad_u64_u32 v[12:13], s[0:1], s19, v12, v[6:7]
	v_cmp_le_u32_e32 vcc, s15, v10
	v_mad_u64_u32 v[14:15], s[0:1], s15, v14, v[0:1]
	s_nop 0
	v_cndmask_b32_e32 v8, v8, v11, vcc
	v_add_u32_e32 v11, 1, v18
	v_cmp_le_u32_e64 s[0:1], s15, v12
	v_mad_u64_u32 v[16:17], s[20:21], s15, v16, v[6:7]
	v_cndmask_b32_e32 v6, v10, v14, vcc
	v_add_u32_e32 v10, 1, v8
	v_cndmask_b32_e64 v13, v18, v11, s[0:1]
	v_cndmask_b32_e64 v11, v12, v16, s[0:1]
	v_cmp_le_u32_e32 vcc, s15, v6
	v_mov_b32_e32 v9, v1
	v_add_u32_e32 v3, s14, v3
	v_cndmask_b32_e32 v6, v8, v10, vcc
	v_add_u32_e32 v8, 1, v13
	v_cmp_le_u32_e32 vcc, s15, v11
	v_mad_u64_u32 v[10:11], s[0:1], s19, v6, v[0:1]
	s_nop 0
	v_cndmask_b32_e32 v8, v13, v8, vcc
	v_mul_lo_u32 v12, v10, s5
	v_mad_u64_u32 v[10:11], s[0:1], s19, v8, v[0:1]
	v_add_u32_e32 v0, s14, v0
	v_mul_lo_u32 v6, v6, s4
	v_mul_lo_u32 v10, s5, v10
	v_add_u32_e32 v11, 2, v0
	v_mul_lo_u32 v8, v8, s4
	v_add3_u32 v6, v12, v6, s9
	v_add_u32_e32 v10, s5, v10
	v_cmp_lt_u32_e32 vcc, s16, v11
	v_lshl_add_u64 v[6:7], v[6:7], 2, s[2:3]
	v_add3_u32 v8, v10, v8, s9
	s_or_b64 s[10:11], vcc, s[10:11]
	v_lshl_add_u64 v[8:9], v[8:9], 2, s[2:3]
	s_waitcnt vmcnt(0)
	global_store_dword v[6:7], v4, off
	global_store_dword v[8:9], v5, off
	s_andn2_b64 exec, exec, s[10:11]
	s_cbranch_execnz .LBB147_3
; %bb.4:
	s_or_b64 exec, exec, s[10:11]
.LBB147_5:
	s_or_b64 exec, exec, s[12:13]
	v_cmp_gt_u32_e32 vcc, s16, v0
	s_and_b64 exec, exec, vcc
	s_cbranch_execz .LBB147_8
; %bb.6:
	s_cmp_eq_u32 s8, 1
	s_cselect_b32 s8, s18, s17
	v_cvt_f32_u32_e32 v1, s8
	v_mov_b32_e32 v3, 0
	s_sub_i32 s10, 0, s8
	v_mov_b32_e32 v5, v3
	v_rcp_iflag_f32_e32 v1, v1
	s_nop 0
	v_mul_f32_e32 v1, 0x4f7ffffe, v1
	v_cvt_u32_f32_e32 v2, v1
	v_mov_b32_e32 v1, v3
	v_lshl_add_u64 v[6:7], v[0:1], 2, s[6:7]
	v_mul_lo_u32 v1, s10, v2
	v_mul_hi_u32 v1, v2, v1
	v_add_u32_e32 v4, v2, v1
	v_mad_u64_u32 v[8:9], s[0:1], v0, v4, 0
	s_mov_b64 s[0:1], 0
.LBB147_7:                              ; =>This Inner Loop Header: Depth=1
	global_load_dword v1, v[6:7], off
	v_mul_lo_u32 v2, s8, v9
	v_not_b32_e32 v10, v9
	v_sub_u32_e32 v2, v0, v2
	v_add_u32_e32 v12, 1, v9
	v_cmp_le_u32_e32 vcc, s8, v2
	v_lshl_add_u64 v[6:7], v[6:7], 0, 4
	s_waitcnt vmcnt(0)
	v_mad_u64_u32 v[10:11], s[6:7], s8, v10, v[0:1]
	v_cndmask_b32_e32 v11, v9, v12, vcc
	v_cndmask_b32_e32 v2, v2, v10, vcc
	v_add_u32_e32 v10, 1, v11
	v_cmp_le_u32_e32 vcc, s8, v2
	v_lshl_add_u64 v[8:9], v[8:9], 0, v[4:5]
	s_nop 0
	v_cndmask_b32_e32 v2, v11, v10, vcc
	v_mad_u64_u32 v[10:11], s[6:7], s10, v2, v[0:1]
	v_mul_lo_u32 v2, v2, s4
	v_add_u32_e32 v0, 1, v0
	v_mul_lo_u32 v10, v10, s5
	v_cmp_le_u32_e32 vcc, s16, v0
	v_add3_u32 v2, v10, v2, s9
	s_or_b64 s[0:1], vcc, s[0:1]
	v_lshl_add_u64 v[10:11], v[2:3], 2, s[2:3]
	global_store_dword v[10:11], v1, off
	s_andn2_b64 exec, exec, s[0:1]
	s_cbranch_execnz .LBB147_7
.LBB147_8:
	s_endpgm
	.section	.rodata,"a",@progbits
	.p2align	6, 0x0
	.amdhsa_kernel _ZN2at6native12_GLOBAL__N_135CatArrayBatchedCopy_alignedK_contigINS1_10OpaqueTypeILj4EEEjLi2ELi64ELi64ELi8EEEvPT_NS1_25CatArrInputTensorMetadataIS5_T0_XT2_EXT3_EEENS1_16TensorSizeStrideIS8_Lj4EEEiS8_
		.amdhsa_group_segment_fixed_size 0
		.amdhsa_private_segment_fixed_size 0
		.amdhsa_kernarg_size 3696
		.amdhsa_user_sgpr_count 2
		.amdhsa_user_sgpr_dispatch_ptr 0
		.amdhsa_user_sgpr_queue_ptr 0
		.amdhsa_user_sgpr_kernarg_segment_ptr 1
		.amdhsa_user_sgpr_dispatch_id 0
		.amdhsa_user_sgpr_kernarg_preload_length 0
		.amdhsa_user_sgpr_kernarg_preload_offset 0
		.amdhsa_user_sgpr_private_segment_size 0
		.amdhsa_uses_dynamic_stack 0
		.amdhsa_enable_private_segment 0
		.amdhsa_system_sgpr_workgroup_id_x 1
		.amdhsa_system_sgpr_workgroup_id_y 1
		.amdhsa_system_sgpr_workgroup_id_z 0
		.amdhsa_system_sgpr_workgroup_info 0
		.amdhsa_system_vgpr_workitem_id 0
		.amdhsa_next_free_vgpr 19
		.amdhsa_next_free_sgpr 22
		.amdhsa_accum_offset 20
		.amdhsa_reserve_vcc 1
		.amdhsa_float_round_mode_32 0
		.amdhsa_float_round_mode_16_64 0
		.amdhsa_float_denorm_mode_32 3
		.amdhsa_float_denorm_mode_16_64 3
		.amdhsa_dx10_clamp 1
		.amdhsa_ieee_mode 1
		.amdhsa_fp16_overflow 0
		.amdhsa_tg_split 0
		.amdhsa_exception_fp_ieee_invalid_op 0
		.amdhsa_exception_fp_denorm_src 0
		.amdhsa_exception_fp_ieee_div_zero 0
		.amdhsa_exception_fp_ieee_overflow 0
		.amdhsa_exception_fp_ieee_underflow 0
		.amdhsa_exception_fp_ieee_inexact 0
		.amdhsa_exception_int_div_zero 0
	.end_amdhsa_kernel
	.section	.text._ZN2at6native12_GLOBAL__N_135CatArrayBatchedCopy_alignedK_contigINS1_10OpaqueTypeILj4EEEjLi2ELi64ELi64ELi8EEEvPT_NS1_25CatArrInputTensorMetadataIS5_T0_XT2_EXT3_EEENS1_16TensorSizeStrideIS8_Lj4EEEiS8_,"axG",@progbits,_ZN2at6native12_GLOBAL__N_135CatArrayBatchedCopy_alignedK_contigINS1_10OpaqueTypeILj4EEEjLi2ELi64ELi64ELi8EEEvPT_NS1_25CatArrInputTensorMetadataIS5_T0_XT2_EXT3_EEENS1_16TensorSizeStrideIS8_Lj4EEEiS8_,comdat
.Lfunc_end147:
	.size	_ZN2at6native12_GLOBAL__N_135CatArrayBatchedCopy_alignedK_contigINS1_10OpaqueTypeILj4EEEjLi2ELi64ELi64ELi8EEEvPT_NS1_25CatArrInputTensorMetadataIS5_T0_XT2_EXT3_EEENS1_16TensorSizeStrideIS8_Lj4EEEiS8_, .Lfunc_end147-_ZN2at6native12_GLOBAL__N_135CatArrayBatchedCopy_alignedK_contigINS1_10OpaqueTypeILj4EEEjLi2ELi64ELi64ELi8EEEvPT_NS1_25CatArrInputTensorMetadataIS5_T0_XT2_EXT3_EEENS1_16TensorSizeStrideIS8_Lj4EEEiS8_
                                        ; -- End function
	.set _ZN2at6native12_GLOBAL__N_135CatArrayBatchedCopy_alignedK_contigINS1_10OpaqueTypeILj4EEEjLi2ELi64ELi64ELi8EEEvPT_NS1_25CatArrInputTensorMetadataIS5_T0_XT2_EXT3_EEENS1_16TensorSizeStrideIS8_Lj4EEEiS8_.num_vgpr, 19
	.set _ZN2at6native12_GLOBAL__N_135CatArrayBatchedCopy_alignedK_contigINS1_10OpaqueTypeILj4EEEjLi2ELi64ELi64ELi8EEEvPT_NS1_25CatArrInputTensorMetadataIS5_T0_XT2_EXT3_EEENS1_16TensorSizeStrideIS8_Lj4EEEiS8_.num_agpr, 0
	.set _ZN2at6native12_GLOBAL__N_135CatArrayBatchedCopy_alignedK_contigINS1_10OpaqueTypeILj4EEEjLi2ELi64ELi64ELi8EEEvPT_NS1_25CatArrInputTensorMetadataIS5_T0_XT2_EXT3_EEENS1_16TensorSizeStrideIS8_Lj4EEEiS8_.numbered_sgpr, 22
	.set _ZN2at6native12_GLOBAL__N_135CatArrayBatchedCopy_alignedK_contigINS1_10OpaqueTypeILj4EEEjLi2ELi64ELi64ELi8EEEvPT_NS1_25CatArrInputTensorMetadataIS5_T0_XT2_EXT3_EEENS1_16TensorSizeStrideIS8_Lj4EEEiS8_.num_named_barrier, 0
	.set _ZN2at6native12_GLOBAL__N_135CatArrayBatchedCopy_alignedK_contigINS1_10OpaqueTypeILj4EEEjLi2ELi64ELi64ELi8EEEvPT_NS1_25CatArrInputTensorMetadataIS5_T0_XT2_EXT3_EEENS1_16TensorSizeStrideIS8_Lj4EEEiS8_.private_seg_size, 0
	.set _ZN2at6native12_GLOBAL__N_135CatArrayBatchedCopy_alignedK_contigINS1_10OpaqueTypeILj4EEEjLi2ELi64ELi64ELi8EEEvPT_NS1_25CatArrInputTensorMetadataIS5_T0_XT2_EXT3_EEENS1_16TensorSizeStrideIS8_Lj4EEEiS8_.uses_vcc, 1
	.set _ZN2at6native12_GLOBAL__N_135CatArrayBatchedCopy_alignedK_contigINS1_10OpaqueTypeILj4EEEjLi2ELi64ELi64ELi8EEEvPT_NS1_25CatArrInputTensorMetadataIS5_T0_XT2_EXT3_EEENS1_16TensorSizeStrideIS8_Lj4EEEiS8_.uses_flat_scratch, 0
	.set _ZN2at6native12_GLOBAL__N_135CatArrayBatchedCopy_alignedK_contigINS1_10OpaqueTypeILj4EEEjLi2ELi64ELi64ELi8EEEvPT_NS1_25CatArrInputTensorMetadataIS5_T0_XT2_EXT3_EEENS1_16TensorSizeStrideIS8_Lj4EEEiS8_.has_dyn_sized_stack, 0
	.set _ZN2at6native12_GLOBAL__N_135CatArrayBatchedCopy_alignedK_contigINS1_10OpaqueTypeILj4EEEjLi2ELi64ELi64ELi8EEEvPT_NS1_25CatArrInputTensorMetadataIS5_T0_XT2_EXT3_EEENS1_16TensorSizeStrideIS8_Lj4EEEiS8_.has_recursion, 0
	.set _ZN2at6native12_GLOBAL__N_135CatArrayBatchedCopy_alignedK_contigINS1_10OpaqueTypeILj4EEEjLi2ELi64ELi64ELi8EEEvPT_NS1_25CatArrInputTensorMetadataIS5_T0_XT2_EXT3_EEENS1_16TensorSizeStrideIS8_Lj4EEEiS8_.has_indirect_call, 0
	.section	.AMDGPU.csdata,"",@progbits
; Kernel info:
; codeLenInByte = 852
; TotalNumSgprs: 28
; NumVgprs: 19
; NumAgprs: 0
; TotalNumVgprs: 19
; ScratchSize: 0
; MemoryBound: 0
; FloatMode: 240
; IeeeMode: 1
; LDSByteSize: 0 bytes/workgroup (compile time only)
; SGPRBlocks: 3
; VGPRBlocks: 2
; NumSGPRsForWavesPerEU: 28
; NumVGPRsForWavesPerEU: 19
; AccumOffset: 20
; Occupancy: 8
; WaveLimiterHint : 1
; COMPUTE_PGM_RSRC2:SCRATCH_EN: 0
; COMPUTE_PGM_RSRC2:USER_SGPR: 2
; COMPUTE_PGM_RSRC2:TRAP_HANDLER: 0
; COMPUTE_PGM_RSRC2:TGID_X_EN: 1
; COMPUTE_PGM_RSRC2:TGID_Y_EN: 1
; COMPUTE_PGM_RSRC2:TGID_Z_EN: 0
; COMPUTE_PGM_RSRC2:TIDIG_COMP_CNT: 0
; COMPUTE_PGM_RSRC3_GFX90A:ACCUM_OFFSET: 4
; COMPUTE_PGM_RSRC3_GFX90A:TG_SPLIT: 0
	.section	.text._ZN2at6native12_GLOBAL__N_126CatArrayBatchedCopy_contigINS1_10OpaqueTypeILj4EEEjLi2ELi64ELi64EEEvPT_NS1_25CatArrInputTensorMetadataIS5_T0_XT2_EXT3_EEENS1_16TensorSizeStrideIS8_Lj4EEEiS8_,"axG",@progbits,_ZN2at6native12_GLOBAL__N_126CatArrayBatchedCopy_contigINS1_10OpaqueTypeILj4EEEjLi2ELi64ELi64EEEvPT_NS1_25CatArrInputTensorMetadataIS5_T0_XT2_EXT3_EEENS1_16TensorSizeStrideIS8_Lj4EEEiS8_,comdat
	.globl	_ZN2at6native12_GLOBAL__N_126CatArrayBatchedCopy_contigINS1_10OpaqueTypeILj4EEEjLi2ELi64ELi64EEEvPT_NS1_25CatArrInputTensorMetadataIS5_T0_XT2_EXT3_EEENS1_16TensorSizeStrideIS8_Lj4EEEiS8_ ; -- Begin function _ZN2at6native12_GLOBAL__N_126CatArrayBatchedCopy_contigINS1_10OpaqueTypeILj4EEEjLi2ELi64ELi64EEEvPT_NS1_25CatArrInputTensorMetadataIS5_T0_XT2_EXT3_EEENS1_16TensorSizeStrideIS8_Lj4EEEiS8_
	.p2align	8
	.type	_ZN2at6native12_GLOBAL__N_126CatArrayBatchedCopy_contigINS1_10OpaqueTypeILj4EEEjLi2ELi64ELi64EEEvPT_NS1_25CatArrInputTensorMetadataIS5_T0_XT2_EXT3_EEENS1_16TensorSizeStrideIS8_Lj4EEEiS8_,@function
_ZN2at6native12_GLOBAL__N_126CatArrayBatchedCopy_contigINS1_10OpaqueTypeILj4EEEjLi2ELi64ELi64EEEvPT_NS1_25CatArrInputTensorMetadataIS5_T0_XT2_EXT3_EEENS1_16TensorSizeStrideIS8_Lj4EEEiS8_: ; @_ZN2at6native12_GLOBAL__N_126CatArrayBatchedCopy_contigINS1_10OpaqueTypeILj4EEEjLi2ELi64ELi64EEEvPT_NS1_25CatArrInputTensorMetadataIS5_T0_XT2_EXT3_EEENS1_16TensorSizeStrideIS8_Lj4EEEiS8_
; %bb.0:
	s_mov_b32 s4, s3
	s_load_dword s3, s[0:1], 0xd7c
	s_add_u32 s6, s0, 0xd70
	s_mov_b32 s5, 0
	s_addc_u32 s7, s1, 0
	s_lshl_b64 s[4:5], s[4:5], 2
	s_waitcnt lgkmcnt(0)
	s_and_b32 s10, s3, 0xffff
	s_add_u32 s12, s0, s4
	s_addc_u32 s13, s1, s5
	s_load_dword s8, s[12:13], 0x408
	s_mul_i32 s2, s2, s10
	v_add_u32_e32 v0, s2, v0
	s_add_u32 s2, s12, 8
	s_addc_u32 s3, s13, 0
	s_waitcnt lgkmcnt(0)
	v_cmp_gt_u32_e32 vcc, s8, v0
	s_and_saveexec_b64 s[12:13], vcc
	s_cbranch_execz .LBB148_3
; %bb.1:
	s_add_u32 s12, s2, s4
	s_addc_u32 s13, s3, s5
	s_sub_u32 s2, 0, s4
	s_subb_u32 s3, 0, s5
	s_add_u32 s14, s12, s2
	s_addc_u32 s15, s13, s3
	s_load_dword s4, s[14:15], 0x300
	s_load_dwordx2 s[16:17], s[0:1], 0xd68
	s_load_dword s5, s[0:1], 0xd4c
	s_load_dwordx2 s[2:3], s[0:1], 0xd58
	s_waitcnt lgkmcnt(0)
	s_cmp_eq_u32 s16, 1
	s_cselect_b32 s9, s4, s5
	v_cvt_f32_u32_e32 v1, s9
	s_load_dwordx2 s[4:5], s[0:1], 0x0
	s_load_dword s11, s[6:7], 0x0
	s_nop 0
	s_load_dwordx2 s[0:1], s[12:13], 0x0
	s_load_dword s16, s[14:15], 0x200
	s_sub_i32 s12, 0, s9
	v_rcp_iflag_f32_e32 v1, v1
	s_mov_b64 s[6:7], 0
	s_waitcnt lgkmcnt(0)
	s_mul_i32 s10, s11, s10
	s_mul_i32 s11, s16, s17
	v_mul_f32_e32 v1, 0x4f7ffffe, v1
	v_cvt_u32_f32_e32 v1, v1
	v_mul_lo_u32 v2, s12, v1
	v_mul_hi_u32 v2, v1, v2
	v_add_u32_e32 v2, v1, v2
	v_mov_b32_e32 v1, 0
.LBB148_2:                              ; =>This Inner Loop Header: Depth=1
	v_lshl_add_u64 v[4:5], v[0:1], 2, s[0:1]
	global_load_dword v3, v[4:5], off
	v_mul_hi_u32 v4, v2, v0
	v_mul_lo_u32 v6, s9, v4
	v_not_b32_e32 v7, v4
	v_sub_u32_e32 v9, v0, v6
	v_add_u32_e32 v8, 1, v4
	v_mad_u64_u32 v[6:7], s[14:15], s9, v7, v[0:1]
	v_cmp_le_u32_e32 vcc, s9, v9
	v_mov_b32_e32 v5, v1
	s_nop 0
	v_cndmask_b32_e32 v4, v4, v8, vcc
	v_cndmask_b32_e32 v6, v9, v6, vcc
	v_add_u32_e32 v7, 1, v4
	v_cmp_le_u32_e32 vcc, s9, v6
	s_nop 1
	v_cndmask_b32_e32 v4, v4, v7, vcc
	v_mad_u64_u32 v[6:7], s[14:15], s12, v4, v[0:1]
	v_mul_lo_u32 v4, v4, s2
	v_add_u32_e32 v0, s10, v0
	v_mul_lo_u32 v6, v6, s3
	v_cmp_le_u32_e32 vcc, s8, v0
	v_add3_u32 v4, v4, s11, v6
	s_or_b64 s[6:7], vcc, s[6:7]
	v_lshl_add_u64 v[4:5], v[4:5], 2, s[4:5]
	s_waitcnt vmcnt(0)
	global_store_dword v[4:5], v3, off
	s_andn2_b64 exec, exec, s[6:7]
	s_cbranch_execnz .LBB148_2
.LBB148_3:
	s_endpgm
	.section	.rodata,"a",@progbits
	.p2align	6, 0x0
	.amdhsa_kernel _ZN2at6native12_GLOBAL__N_126CatArrayBatchedCopy_contigINS1_10OpaqueTypeILj4EEEjLi2ELi64ELi64EEEvPT_NS1_25CatArrInputTensorMetadataIS5_T0_XT2_EXT3_EEENS1_16TensorSizeStrideIS8_Lj4EEEiS8_
		.amdhsa_group_segment_fixed_size 0
		.amdhsa_private_segment_fixed_size 0
		.amdhsa_kernarg_size 3696
		.amdhsa_user_sgpr_count 2
		.amdhsa_user_sgpr_dispatch_ptr 0
		.amdhsa_user_sgpr_queue_ptr 0
		.amdhsa_user_sgpr_kernarg_segment_ptr 1
		.amdhsa_user_sgpr_dispatch_id 0
		.amdhsa_user_sgpr_kernarg_preload_length 0
		.amdhsa_user_sgpr_kernarg_preload_offset 0
		.amdhsa_user_sgpr_private_segment_size 0
		.amdhsa_uses_dynamic_stack 0
		.amdhsa_enable_private_segment 0
		.amdhsa_system_sgpr_workgroup_id_x 1
		.amdhsa_system_sgpr_workgroup_id_y 1
		.amdhsa_system_sgpr_workgroup_id_z 0
		.amdhsa_system_sgpr_workgroup_info 0
		.amdhsa_system_vgpr_workitem_id 0
		.amdhsa_next_free_vgpr 10
		.amdhsa_next_free_sgpr 18
		.amdhsa_accum_offset 12
		.amdhsa_reserve_vcc 1
		.amdhsa_float_round_mode_32 0
		.amdhsa_float_round_mode_16_64 0
		.amdhsa_float_denorm_mode_32 3
		.amdhsa_float_denorm_mode_16_64 3
		.amdhsa_dx10_clamp 1
		.amdhsa_ieee_mode 1
		.amdhsa_fp16_overflow 0
		.amdhsa_tg_split 0
		.amdhsa_exception_fp_ieee_invalid_op 0
		.amdhsa_exception_fp_denorm_src 0
		.amdhsa_exception_fp_ieee_div_zero 0
		.amdhsa_exception_fp_ieee_overflow 0
		.amdhsa_exception_fp_ieee_underflow 0
		.amdhsa_exception_fp_ieee_inexact 0
		.amdhsa_exception_int_div_zero 0
	.end_amdhsa_kernel
	.section	.text._ZN2at6native12_GLOBAL__N_126CatArrayBatchedCopy_contigINS1_10OpaqueTypeILj4EEEjLi2ELi64ELi64EEEvPT_NS1_25CatArrInputTensorMetadataIS5_T0_XT2_EXT3_EEENS1_16TensorSizeStrideIS8_Lj4EEEiS8_,"axG",@progbits,_ZN2at6native12_GLOBAL__N_126CatArrayBatchedCopy_contigINS1_10OpaqueTypeILj4EEEjLi2ELi64ELi64EEEvPT_NS1_25CatArrInputTensorMetadataIS5_T0_XT2_EXT3_EEENS1_16TensorSizeStrideIS8_Lj4EEEiS8_,comdat
.Lfunc_end148:
	.size	_ZN2at6native12_GLOBAL__N_126CatArrayBatchedCopy_contigINS1_10OpaqueTypeILj4EEEjLi2ELi64ELi64EEEvPT_NS1_25CatArrInputTensorMetadataIS5_T0_XT2_EXT3_EEENS1_16TensorSizeStrideIS8_Lj4EEEiS8_, .Lfunc_end148-_ZN2at6native12_GLOBAL__N_126CatArrayBatchedCopy_contigINS1_10OpaqueTypeILj4EEEjLi2ELi64ELi64EEEvPT_NS1_25CatArrInputTensorMetadataIS5_T0_XT2_EXT3_EEENS1_16TensorSizeStrideIS8_Lj4EEEiS8_
                                        ; -- End function
	.set _ZN2at6native12_GLOBAL__N_126CatArrayBatchedCopy_contigINS1_10OpaqueTypeILj4EEEjLi2ELi64ELi64EEEvPT_NS1_25CatArrInputTensorMetadataIS5_T0_XT2_EXT3_EEENS1_16TensorSizeStrideIS8_Lj4EEEiS8_.num_vgpr, 10
	.set _ZN2at6native12_GLOBAL__N_126CatArrayBatchedCopy_contigINS1_10OpaqueTypeILj4EEEjLi2ELi64ELi64EEEvPT_NS1_25CatArrInputTensorMetadataIS5_T0_XT2_EXT3_EEENS1_16TensorSizeStrideIS8_Lj4EEEiS8_.num_agpr, 0
	.set _ZN2at6native12_GLOBAL__N_126CatArrayBatchedCopy_contigINS1_10OpaqueTypeILj4EEEjLi2ELi64ELi64EEEvPT_NS1_25CatArrInputTensorMetadataIS5_T0_XT2_EXT3_EEENS1_16TensorSizeStrideIS8_Lj4EEEiS8_.numbered_sgpr, 18
	.set _ZN2at6native12_GLOBAL__N_126CatArrayBatchedCopy_contigINS1_10OpaqueTypeILj4EEEjLi2ELi64ELi64EEEvPT_NS1_25CatArrInputTensorMetadataIS5_T0_XT2_EXT3_EEENS1_16TensorSizeStrideIS8_Lj4EEEiS8_.num_named_barrier, 0
	.set _ZN2at6native12_GLOBAL__N_126CatArrayBatchedCopy_contigINS1_10OpaqueTypeILj4EEEjLi2ELi64ELi64EEEvPT_NS1_25CatArrInputTensorMetadataIS5_T0_XT2_EXT3_EEENS1_16TensorSizeStrideIS8_Lj4EEEiS8_.private_seg_size, 0
	.set _ZN2at6native12_GLOBAL__N_126CatArrayBatchedCopy_contigINS1_10OpaqueTypeILj4EEEjLi2ELi64ELi64EEEvPT_NS1_25CatArrInputTensorMetadataIS5_T0_XT2_EXT3_EEENS1_16TensorSizeStrideIS8_Lj4EEEiS8_.uses_vcc, 1
	.set _ZN2at6native12_GLOBAL__N_126CatArrayBatchedCopy_contigINS1_10OpaqueTypeILj4EEEjLi2ELi64ELi64EEEvPT_NS1_25CatArrInputTensorMetadataIS5_T0_XT2_EXT3_EEENS1_16TensorSizeStrideIS8_Lj4EEEiS8_.uses_flat_scratch, 0
	.set _ZN2at6native12_GLOBAL__N_126CatArrayBatchedCopy_contigINS1_10OpaqueTypeILj4EEEjLi2ELi64ELi64EEEvPT_NS1_25CatArrInputTensorMetadataIS5_T0_XT2_EXT3_EEENS1_16TensorSizeStrideIS8_Lj4EEEiS8_.has_dyn_sized_stack, 0
	.set _ZN2at6native12_GLOBAL__N_126CatArrayBatchedCopy_contigINS1_10OpaqueTypeILj4EEEjLi2ELi64ELi64EEEvPT_NS1_25CatArrInputTensorMetadataIS5_T0_XT2_EXT3_EEENS1_16TensorSizeStrideIS8_Lj4EEEiS8_.has_recursion, 0
	.set _ZN2at6native12_GLOBAL__N_126CatArrayBatchedCopy_contigINS1_10OpaqueTypeILj4EEEjLi2ELi64ELi64EEEvPT_NS1_25CatArrInputTensorMetadataIS5_T0_XT2_EXT3_EEENS1_16TensorSizeStrideIS8_Lj4EEEiS8_.has_indirect_call, 0
	.section	.AMDGPU.csdata,"",@progbits
; Kernel info:
; codeLenInByte = 424
; TotalNumSgprs: 24
; NumVgprs: 10
; NumAgprs: 0
; TotalNumVgprs: 10
; ScratchSize: 0
; MemoryBound: 0
; FloatMode: 240
; IeeeMode: 1
; LDSByteSize: 0 bytes/workgroup (compile time only)
; SGPRBlocks: 2
; VGPRBlocks: 1
; NumSGPRsForWavesPerEU: 24
; NumVGPRsForWavesPerEU: 10
; AccumOffset: 12
; Occupancy: 8
; WaveLimiterHint : 1
; COMPUTE_PGM_RSRC2:SCRATCH_EN: 0
; COMPUTE_PGM_RSRC2:USER_SGPR: 2
; COMPUTE_PGM_RSRC2:TRAP_HANDLER: 0
; COMPUTE_PGM_RSRC2:TGID_X_EN: 1
; COMPUTE_PGM_RSRC2:TGID_Y_EN: 1
; COMPUTE_PGM_RSRC2:TGID_Z_EN: 0
; COMPUTE_PGM_RSRC2:TIDIG_COMP_CNT: 0
; COMPUTE_PGM_RSRC3_GFX90A:ACCUM_OFFSET: 2
; COMPUTE_PGM_RSRC3_GFX90A:TG_SPLIT: 0
	.section	.text._ZN2at6native12_GLOBAL__N_119CatArrayBatchedCopyINS1_10OpaqueTypeILj4EEEjLi2ELi64ELi64EEEvPT_NS1_25CatArrInputTensorMetadataIS5_T0_XT2_EXT3_EEENS1_16TensorSizeStrideIS8_Lj4EEEiS8_,"axG",@progbits,_ZN2at6native12_GLOBAL__N_119CatArrayBatchedCopyINS1_10OpaqueTypeILj4EEEjLi2ELi64ELi64EEEvPT_NS1_25CatArrInputTensorMetadataIS5_T0_XT2_EXT3_EEENS1_16TensorSizeStrideIS8_Lj4EEEiS8_,comdat
	.globl	_ZN2at6native12_GLOBAL__N_119CatArrayBatchedCopyINS1_10OpaqueTypeILj4EEEjLi2ELi64ELi64EEEvPT_NS1_25CatArrInputTensorMetadataIS5_T0_XT2_EXT3_EEENS1_16TensorSizeStrideIS8_Lj4EEEiS8_ ; -- Begin function _ZN2at6native12_GLOBAL__N_119CatArrayBatchedCopyINS1_10OpaqueTypeILj4EEEjLi2ELi64ELi64EEEvPT_NS1_25CatArrInputTensorMetadataIS5_T0_XT2_EXT3_EEENS1_16TensorSizeStrideIS8_Lj4EEEiS8_
	.p2align	8
	.type	_ZN2at6native12_GLOBAL__N_119CatArrayBatchedCopyINS1_10OpaqueTypeILj4EEEjLi2ELi64ELi64EEEvPT_NS1_25CatArrInputTensorMetadataIS5_T0_XT2_EXT3_EEENS1_16TensorSizeStrideIS8_Lj4EEEiS8_,@function
_ZN2at6native12_GLOBAL__N_119CatArrayBatchedCopyINS1_10OpaqueTypeILj4EEEjLi2ELi64ELi64EEEvPT_NS1_25CatArrInputTensorMetadataIS5_T0_XT2_EXT3_EEENS1_16TensorSizeStrideIS8_Lj4EEEiS8_: ; @_ZN2at6native12_GLOBAL__N_119CatArrayBatchedCopyINS1_10OpaqueTypeILj4EEEjLi2ELi64ELi64EEEvPT_NS1_25CatArrInputTensorMetadataIS5_T0_XT2_EXT3_EEENS1_16TensorSizeStrideIS8_Lj4EEEiS8_
; %bb.0:
	s_load_dword s4, s[0:1], 0xd7c
	s_mov_b32 s6, s3
	s_or_b32 s3, s0, 8
	s_add_u32 s10, s0, 0xd70
	s_mov_b32 s7, 0
	s_addc_u32 s11, s1, 0
	s_waitcnt lgkmcnt(0)
	s_and_b32 s15, s4, 0xffff
	s_lshl_b64 s[8:9], s[6:7], 2
	s_add_u32 s4, s3, s8
	s_addc_u32 s5, s1, s9
	s_load_dword s12, s[4:5], 0x400
	s_mul_i32 s2, s2, s15
	v_add_u32_e32 v0, s2, v0
	s_waitcnt lgkmcnt(0)
	v_cmp_gt_u32_e32 vcc, s12, v0
	s_and_saveexec_b64 s[16:17], vcc
	s_cbranch_execz .LBB149_5
; %bb.1:
	s_mul_i32 s13, s6, 28
	s_mul_hi_u32 s2, s6, 28
	s_add_u32 s16, s4, s13
	s_addc_u32 s17, s5, s2
	s_add_u32 s18, s3, s6
	s_addc_u32 s19, s1, 0
	v_mov_b32_e32 v1, 0
	global_load_ubyte v2, v1, s[18:19] offset:1280
	s_load_dwordx2 s[2:3], s[0:1], 0x0
	s_load_dwordx2 s[20:21], s[0:1], 0xd68
	;; [unrolled: 1-line block ×3, first 2 shown]
	s_load_dword s13, s[0:1], 0xd4c
	s_load_dword s22, s[10:11], 0x0
	s_mul_hi_u32 s7, s6, 7
	s_mul_i32 s6, s6, 7
	s_waitcnt lgkmcnt(0)
	s_mul_i32 s15, s22, s15
	s_waitcnt vmcnt(0)
	v_and_b32_e32 v2, 1, v2
	v_cmp_eq_u32_e32 vcc, 1, v2
	s_xor_b64 s[0:1], vcc, -1
	s_add_u32 s10, s18, s6
	s_addc_u32 s11, s19, s7
	s_sub_u32 s6, 0, s8
	s_subb_u32 s7, 0, s9
	s_add_u32 s18, s10, s6
	s_addc_u32 s19, s11, s7
	s_load_dword s14, s[18:19], 0x300
	s_load_dword s23, s[16:17], 0x544
	s_load_dwordx2 s[6:7], s[16:17], 0x550
	s_load_dwordx2 s[8:9], s[10:11], 0x0
	s_load_dword s24, s[18:19], 0x200
	s_cmp_eq_u32 s20, 1
	s_waitcnt lgkmcnt(0)
	s_cselect_b32 s13, s14, s13
	s_cselect_b32 s14, s14, s23
	v_cvt_f32_u32_e32 v2, s13
	v_cvt_f32_u32_e32 v3, s14
	s_sub_i32 s17, 0, s13
	s_sub_i32 s18, 0, s14
	v_rcp_iflag_f32_e32 v2, v2
	v_rcp_iflag_f32_e32 v3, v3
	v_cndmask_b32_e64 v6, 0, 1, s[0:1]
	s_mov_b64 s[10:11], 0
	v_mul_f32_e32 v2, 0x4f7ffffe, v2
	v_mul_f32_e32 v3, 0x4f7ffffe, v3
	v_cvt_u32_f32_e32 v2, v2
	v_cvt_u32_f32_e32 v3, v3
	s_mul_i32 s16, s24, s21
	v_cmp_ne_u32_e64 s[0:1], 1, v6
	v_mul_lo_u32 v4, s17, v2
	v_mul_lo_u32 v5, s18, v3
	v_mul_hi_u32 v4, v2, v4
	v_mul_hi_u32 v5, v3, v5
	v_add_u32_e32 v4, v2, v4
	v_add_u32_e32 v5, v3, v5
	s_branch .LBB149_3
.LBB149_2:                              ;   in Loop: Header=BB149_3 Depth=1
	v_lshl_add_u64 v[2:3], v[2:3], 2, s[8:9]
	global_load_dword v8, v[2:3], off
	v_mul_hi_u32 v6, v4, v0
	v_mad_u64_u32 v[2:3], s[20:21], s17, v6, v[0:1]
	v_not_b32_e32 v7, v6
	v_add_u32_e32 v3, 1, v6
	v_cmp_le_u32_e32 vcc, s13, v2
	s_nop 1
	v_cndmask_b32_e32 v3, v6, v3, vcc
	v_mad_u64_u32 v[6:7], s[20:21], s13, v7, v[0:1]
	v_cndmask_b32_e32 v2, v2, v6, vcc
	v_add_u32_e32 v6, 1, v3
	v_cmp_le_u32_e32 vcc, s13, v2
	s_nop 1
	v_cndmask_b32_e32 v6, v3, v6, vcc
	v_mad_u64_u32 v[2:3], s[20:21], s17, v6, v[0:1]
	v_mul_lo_u32 v2, v2, s5
	v_mul_lo_u32 v3, v6, s4
	v_add_u32_e32 v0, s15, v0
	v_add3_u32 v2, v2, v3, s16
	v_mov_b32_e32 v3, v1
	v_cmp_le_u32_e32 vcc, s12, v0
	v_lshl_add_u64 v[2:3], v[2:3], 2, s[2:3]
	s_or_b64 s[10:11], vcc, s[10:11]
	s_waitcnt vmcnt(0)
	global_store_dword v[2:3], v8, off
	s_andn2_b64 exec, exec, s[10:11]
	s_cbranch_execz .LBB149_5
.LBB149_3:                              ; =>This Inner Loop Header: Depth=1
	s_and_b64 vcc, exec, s[0:1]
	v_mov_b64_e32 v[2:3], v[0:1]
	s_cbranch_vccnz .LBB149_2
; %bb.4:                                ;   in Loop: Header=BB149_3 Depth=1
	v_mul_hi_u32 v6, v5, v0
	v_mad_u64_u32 v[2:3], s[20:21], s18, v6, v[0:1]
	v_not_b32_e32 v7, v6
	v_add_u32_e32 v3, 1, v6
	v_cmp_le_u32_e32 vcc, s14, v2
	s_nop 1
	v_cndmask_b32_e32 v3, v6, v3, vcc
	v_mad_u64_u32 v[6:7], s[20:21], s14, v7, v[0:1]
	v_cndmask_b32_e32 v2, v2, v6, vcc
	v_add_u32_e32 v6, 1, v3
	v_cmp_le_u32_e32 vcc, s14, v2
	s_nop 1
	v_cndmask_b32_e32 v6, v3, v6, vcc
	v_mad_u64_u32 v[2:3], s[20:21], s18, v6, v[0:1]
	v_mul_lo_u32 v6, v6, s6
	v_mad_u64_u32 v[2:3], s[20:21], v2, s7, v[6:7]
	v_mov_b32_e32 v3, v1
	s_branch .LBB149_2
.LBB149_5:
	s_endpgm
	.section	.rodata,"a",@progbits
	.p2align	6, 0x0
	.amdhsa_kernel _ZN2at6native12_GLOBAL__N_119CatArrayBatchedCopyINS1_10OpaqueTypeILj4EEEjLi2ELi64ELi64EEEvPT_NS1_25CatArrInputTensorMetadataIS5_T0_XT2_EXT3_EEENS1_16TensorSizeStrideIS8_Lj4EEEiS8_
		.amdhsa_group_segment_fixed_size 0
		.amdhsa_private_segment_fixed_size 0
		.amdhsa_kernarg_size 3696
		.amdhsa_user_sgpr_count 2
		.amdhsa_user_sgpr_dispatch_ptr 0
		.amdhsa_user_sgpr_queue_ptr 0
		.amdhsa_user_sgpr_kernarg_segment_ptr 1
		.amdhsa_user_sgpr_dispatch_id 0
		.amdhsa_user_sgpr_kernarg_preload_length 0
		.amdhsa_user_sgpr_kernarg_preload_offset 0
		.amdhsa_user_sgpr_private_segment_size 0
		.amdhsa_uses_dynamic_stack 0
		.amdhsa_enable_private_segment 0
		.amdhsa_system_sgpr_workgroup_id_x 1
		.amdhsa_system_sgpr_workgroup_id_y 1
		.amdhsa_system_sgpr_workgroup_id_z 0
		.amdhsa_system_sgpr_workgroup_info 0
		.amdhsa_system_vgpr_workitem_id 0
		.amdhsa_next_free_vgpr 9
		.amdhsa_next_free_sgpr 25
		.amdhsa_accum_offset 12
		.amdhsa_reserve_vcc 1
		.amdhsa_float_round_mode_32 0
		.amdhsa_float_round_mode_16_64 0
		.amdhsa_float_denorm_mode_32 3
		.amdhsa_float_denorm_mode_16_64 3
		.amdhsa_dx10_clamp 1
		.amdhsa_ieee_mode 1
		.amdhsa_fp16_overflow 0
		.amdhsa_tg_split 0
		.amdhsa_exception_fp_ieee_invalid_op 0
		.amdhsa_exception_fp_denorm_src 0
		.amdhsa_exception_fp_ieee_div_zero 0
		.amdhsa_exception_fp_ieee_overflow 0
		.amdhsa_exception_fp_ieee_underflow 0
		.amdhsa_exception_fp_ieee_inexact 0
		.amdhsa_exception_int_div_zero 0
	.end_amdhsa_kernel
	.section	.text._ZN2at6native12_GLOBAL__N_119CatArrayBatchedCopyINS1_10OpaqueTypeILj4EEEjLi2ELi64ELi64EEEvPT_NS1_25CatArrInputTensorMetadataIS5_T0_XT2_EXT3_EEENS1_16TensorSizeStrideIS8_Lj4EEEiS8_,"axG",@progbits,_ZN2at6native12_GLOBAL__N_119CatArrayBatchedCopyINS1_10OpaqueTypeILj4EEEjLi2ELi64ELi64EEEvPT_NS1_25CatArrInputTensorMetadataIS5_T0_XT2_EXT3_EEENS1_16TensorSizeStrideIS8_Lj4EEEiS8_,comdat
.Lfunc_end149:
	.size	_ZN2at6native12_GLOBAL__N_119CatArrayBatchedCopyINS1_10OpaqueTypeILj4EEEjLi2ELi64ELi64EEEvPT_NS1_25CatArrInputTensorMetadataIS5_T0_XT2_EXT3_EEENS1_16TensorSizeStrideIS8_Lj4EEEiS8_, .Lfunc_end149-_ZN2at6native12_GLOBAL__N_119CatArrayBatchedCopyINS1_10OpaqueTypeILj4EEEjLi2ELi64ELi64EEEvPT_NS1_25CatArrInputTensorMetadataIS5_T0_XT2_EXT3_EEENS1_16TensorSizeStrideIS8_Lj4EEEiS8_
                                        ; -- End function
	.set _ZN2at6native12_GLOBAL__N_119CatArrayBatchedCopyINS1_10OpaqueTypeILj4EEEjLi2ELi64ELi64EEEvPT_NS1_25CatArrInputTensorMetadataIS5_T0_XT2_EXT3_EEENS1_16TensorSizeStrideIS8_Lj4EEEiS8_.num_vgpr, 9
	.set _ZN2at6native12_GLOBAL__N_119CatArrayBatchedCopyINS1_10OpaqueTypeILj4EEEjLi2ELi64ELi64EEEvPT_NS1_25CatArrInputTensorMetadataIS5_T0_XT2_EXT3_EEENS1_16TensorSizeStrideIS8_Lj4EEEiS8_.num_agpr, 0
	.set _ZN2at6native12_GLOBAL__N_119CatArrayBatchedCopyINS1_10OpaqueTypeILj4EEEjLi2ELi64ELi64EEEvPT_NS1_25CatArrInputTensorMetadataIS5_T0_XT2_EXT3_EEENS1_16TensorSizeStrideIS8_Lj4EEEiS8_.numbered_sgpr, 25
	.set _ZN2at6native12_GLOBAL__N_119CatArrayBatchedCopyINS1_10OpaqueTypeILj4EEEjLi2ELi64ELi64EEEvPT_NS1_25CatArrInputTensorMetadataIS5_T0_XT2_EXT3_EEENS1_16TensorSizeStrideIS8_Lj4EEEiS8_.num_named_barrier, 0
	.set _ZN2at6native12_GLOBAL__N_119CatArrayBatchedCopyINS1_10OpaqueTypeILj4EEEjLi2ELi64ELi64EEEvPT_NS1_25CatArrInputTensorMetadataIS5_T0_XT2_EXT3_EEENS1_16TensorSizeStrideIS8_Lj4EEEiS8_.private_seg_size, 0
	.set _ZN2at6native12_GLOBAL__N_119CatArrayBatchedCopyINS1_10OpaqueTypeILj4EEEjLi2ELi64ELi64EEEvPT_NS1_25CatArrInputTensorMetadataIS5_T0_XT2_EXT3_EEENS1_16TensorSizeStrideIS8_Lj4EEEiS8_.uses_vcc, 1
	.set _ZN2at6native12_GLOBAL__N_119CatArrayBatchedCopyINS1_10OpaqueTypeILj4EEEjLi2ELi64ELi64EEEvPT_NS1_25CatArrInputTensorMetadataIS5_T0_XT2_EXT3_EEENS1_16TensorSizeStrideIS8_Lj4EEEiS8_.uses_flat_scratch, 0
	.set _ZN2at6native12_GLOBAL__N_119CatArrayBatchedCopyINS1_10OpaqueTypeILj4EEEjLi2ELi64ELi64EEEvPT_NS1_25CatArrInputTensorMetadataIS5_T0_XT2_EXT3_EEENS1_16TensorSizeStrideIS8_Lj4EEEiS8_.has_dyn_sized_stack, 0
	.set _ZN2at6native12_GLOBAL__N_119CatArrayBatchedCopyINS1_10OpaqueTypeILj4EEEjLi2ELi64ELi64EEEvPT_NS1_25CatArrInputTensorMetadataIS5_T0_XT2_EXT3_EEENS1_16TensorSizeStrideIS8_Lj4EEEiS8_.has_recursion, 0
	.set _ZN2at6native12_GLOBAL__N_119CatArrayBatchedCopyINS1_10OpaqueTypeILj4EEEjLi2ELi64ELi64EEEvPT_NS1_25CatArrInputTensorMetadataIS5_T0_XT2_EXT3_EEENS1_16TensorSizeStrideIS8_Lj4EEEiS8_.has_indirect_call, 0
	.section	.AMDGPU.csdata,"",@progbits
; Kernel info:
; codeLenInByte = 660
; TotalNumSgprs: 31
; NumVgprs: 9
; NumAgprs: 0
; TotalNumVgprs: 9
; ScratchSize: 0
; MemoryBound: 0
; FloatMode: 240
; IeeeMode: 1
; LDSByteSize: 0 bytes/workgroup (compile time only)
; SGPRBlocks: 3
; VGPRBlocks: 1
; NumSGPRsForWavesPerEU: 31
; NumVGPRsForWavesPerEU: 9
; AccumOffset: 12
; Occupancy: 8
; WaveLimiterHint : 1
; COMPUTE_PGM_RSRC2:SCRATCH_EN: 0
; COMPUTE_PGM_RSRC2:USER_SGPR: 2
; COMPUTE_PGM_RSRC2:TRAP_HANDLER: 0
; COMPUTE_PGM_RSRC2:TGID_X_EN: 1
; COMPUTE_PGM_RSRC2:TGID_Y_EN: 1
; COMPUTE_PGM_RSRC2:TGID_Z_EN: 0
; COMPUTE_PGM_RSRC2:TIDIG_COMP_CNT: 0
; COMPUTE_PGM_RSRC3_GFX90A:ACCUM_OFFSET: 2
; COMPUTE_PGM_RSRC3_GFX90A:TG_SPLIT: 0
	.section	.text._ZN2at6native12_GLOBAL__N_130CatArrayBatchedCopy_vectorizedINS1_10OpaqueTypeILj4EEEjLi3ELi64ELi64ELi16ELi4EEEvPcNS1_25CatArrInputTensorMetadataIT_T0_XT2_EXT3_EEENS1_16TensorSizeStrideIS8_Lj4EEEiS8_,"axG",@progbits,_ZN2at6native12_GLOBAL__N_130CatArrayBatchedCopy_vectorizedINS1_10OpaqueTypeILj4EEEjLi3ELi64ELi64ELi16ELi4EEEvPcNS1_25CatArrInputTensorMetadataIT_T0_XT2_EXT3_EEENS1_16TensorSizeStrideIS8_Lj4EEEiS8_,comdat
	.globl	_ZN2at6native12_GLOBAL__N_130CatArrayBatchedCopy_vectorizedINS1_10OpaqueTypeILj4EEEjLi3ELi64ELi64ELi16ELi4EEEvPcNS1_25CatArrInputTensorMetadataIT_T0_XT2_EXT3_EEENS1_16TensorSizeStrideIS8_Lj4EEEiS8_ ; -- Begin function _ZN2at6native12_GLOBAL__N_130CatArrayBatchedCopy_vectorizedINS1_10OpaqueTypeILj4EEEjLi3ELi64ELi64ELi16ELi4EEEvPcNS1_25CatArrInputTensorMetadataIT_T0_XT2_EXT3_EEENS1_16TensorSizeStrideIS8_Lj4EEEiS8_
	.p2align	8
	.type	_ZN2at6native12_GLOBAL__N_130CatArrayBatchedCopy_vectorizedINS1_10OpaqueTypeILj4EEEjLi3ELi64ELi64ELi16ELi4EEEvPcNS1_25CatArrInputTensorMetadataIT_T0_XT2_EXT3_EEENS1_16TensorSizeStrideIS8_Lj4EEEiS8_,@function
_ZN2at6native12_GLOBAL__N_130CatArrayBatchedCopy_vectorizedINS1_10OpaqueTypeILj4EEEjLi3ELi64ELi64ELi16ELi4EEEvPcNS1_25CatArrInputTensorMetadataIT_T0_XT2_EXT3_EEENS1_16TensorSizeStrideIS8_Lj4EEEiS8_: ; @_ZN2at6native12_GLOBAL__N_130CatArrayBatchedCopy_vectorizedINS1_10OpaqueTypeILj4EEEjLi3ELi64ELi64ELi16ELi4EEEvPcNS1_25CatArrInputTensorMetadataIT_T0_XT2_EXT3_EEENS1_16TensorSizeStrideIS8_Lj4EEEiS8_
; %bb.0:
	s_mov_b32 s8, s3
	s_load_dword s3, s[0:1], 0xd7c
	s_add_u32 s10, s0, 0xd70
	s_mov_b32 s9, 0
	s_addc_u32 s11, s1, 0
	s_lshl_b64 s[12:13], s[8:9], 2
	s_waitcnt lgkmcnt(0)
	s_and_b32 s15, s3, 0xffff
	s_add_u32 s4, s0, s12
	s_addc_u32 s5, s1, s13
	s_load_dword s6, s[4:5], 0x408
	s_mul_i32 s2, s2, s15
	v_add_u32_e32 v0, s2, v0
	s_add_u32 s2, s4, 8
	s_addc_u32 s3, s5, 0
	s_waitcnt lgkmcnt(0)
	s_lshr_b32 s14, s6, 2
	v_cmp_gt_u32_e32 vcc, s14, v0
	s_and_saveexec_b64 s[4:5], vcc
	s_cbranch_execz .LBB150_3
; %bb.1:
	s_add_u32 s18, s2, s12
	s_addc_u32 s19, s3, s13
	s_load_dwordx2 s[16:17], s[0:1], 0xd68
	s_load_dwordx4 s[4:7], s[0:1], 0xd58
	s_sub_u32 s2, 0, s12
	s_subb_u32 s3, 0, s13
	s_add_u32 s12, s18, s2
	s_addc_u32 s13, s19, s3
	s_load_dwordx2 s[2:3], s[18:19], 0x0
	s_waitcnt lgkmcnt(0)
	s_load_dword s7, s[12:13], 0x200
	s_load_dword s24, s[12:13], 0x300
	s_load_dwordx2 s[20:21], s[0:1], 0x0
	s_load_dwordx2 s[22:23], s[0:1], 0xd4c
	s_load_dword s25, s[10:11], 0x0
	s_waitcnt lgkmcnt(0)
	s_mul_i32 s7, s7, s17
	s_lshr_b32 s8, s7, 2
	s_mul_i32 s24, s24, s17
	s_lshr_b32 s11, s24, 2
	s_lshl_b64 s[8:9], s[8:9], 4
	s_cmp_eq_u32 s16, 2
	s_cselect_b32 s7, s11, s23
	v_cvt_f32_u32_e32 v1, s7
	s_cmp_eq_u32 s16, 1
	s_cselect_b32 s11, s11, s22
	v_cvt_f32_u32_e32 v2, s11
	v_rcp_iflag_f32_e32 v1, v1
	s_add_u32 s8, s20, s8
	s_addc_u32 s9, s21, s9
	v_rcp_iflag_f32_e32 v2, v2
	v_mul_f32_e32 v1, 0x4f7ffffe, v1
	v_cvt_u32_f32_e32 v1, v1
	s_sub_i32 s12, 0, s7
	v_mul_f32_e32 v2, 0x4f7ffffe, v2
	v_cvt_u32_f32_e32 v4, v2
	v_mul_lo_u32 v3, s12, v1
	v_mul_hi_u32 v3, v1, v3
	s_sub_i32 s13, 0, s11
	v_add_u32_e32 v2, v1, v3
	v_mul_lo_u32 v3, s13, v4
	v_mul_hi_u32 v3, v4, v3
	s_mov_b64 s[0:1], 0
	s_mul_i32 s10, s25, s15
	v_mov_b32_e32 v1, 0
	v_add_u32_e32 v3, v4, v3
.LBB150_2:                              ; =>This Inner Loop Header: Depth=1
	v_lshl_add_u64 v[4:5], v[0:1], 4, s[2:3]
	global_load_dwordx4 v[4:7], v[4:5], off
	v_mul_hi_u32 v8, v2, v0
	v_mul_lo_u32 v10, s7, v8
	v_not_b32_e32 v11, v8
	v_sub_u32_e32 v13, v0, v10
	v_add_u32_e32 v12, 1, v8
	v_mad_u64_u32 v[10:11], s[16:17], s7, v11, v[0:1]
	v_cmp_le_u32_e32 vcc, s7, v13
	v_mov_b32_e32 v9, v1
	s_nop 0
	v_cndmask_b32_e32 v8, v8, v12, vcc
	v_cndmask_b32_e32 v10, v13, v10, vcc
	v_add_u32_e32 v11, 1, v8
	v_cmp_le_u32_e32 vcc, s7, v10
	s_nop 1
	v_cndmask_b32_e32 v8, v8, v11, vcc
	v_mad_u64_u32 v[10:11], s[16:17], s12, v8, v[0:1]
	v_mul_hi_u32 v11, v8, v3
	v_add_u32_e32 v0, s10, v0
	v_mul_lo_u32 v12, v11, s11
	v_cmp_le_u32_e32 vcc, s14, v0
	v_sub_u32_e32 v12, v8, v12
	v_add_u32_e32 v13, 1, v11
	s_or_b64 s[0:1], vcc, s[0:1]
	v_cmp_le_u32_e32 vcc, s11, v12
	v_mul_lo_u32 v10, v10, s6
	s_nop 0
	v_cndmask_b32_e32 v11, v11, v13, vcc
	v_subrev_u32_e32 v13, s11, v12
	v_cndmask_b32_e32 v12, v12, v13, vcc
	v_add_u32_e32 v13, 1, v11
	v_cmp_le_u32_e32 vcc, s11, v12
	s_nop 1
	v_cndmask_b32_e32 v11, v11, v13, vcc
	v_mul_lo_u32 v12, v11, s11
	v_sub_u32_e32 v8, v8, v12
	v_mul_lo_u32 v11, v11, s4
	v_mul_lo_u32 v8, v8, s5
	v_add3_u32 v8, v10, v11, v8
	v_lshl_add_u64 v[8:9], v[8:9], 4, s[8:9]
	s_waitcnt vmcnt(0)
	global_store_dwordx4 v[8:9], v[4:7], off
	s_andn2_b64 exec, exec, s[0:1]
	s_cbranch_execnz .LBB150_2
.LBB150_3:
	s_endpgm
	.section	.rodata,"a",@progbits
	.p2align	6, 0x0
	.amdhsa_kernel _ZN2at6native12_GLOBAL__N_130CatArrayBatchedCopy_vectorizedINS1_10OpaqueTypeILj4EEEjLi3ELi64ELi64ELi16ELi4EEEvPcNS1_25CatArrInputTensorMetadataIT_T0_XT2_EXT3_EEENS1_16TensorSizeStrideIS8_Lj4EEEiS8_
		.amdhsa_group_segment_fixed_size 0
		.amdhsa_private_segment_fixed_size 0
		.amdhsa_kernarg_size 3696
		.amdhsa_user_sgpr_count 2
		.amdhsa_user_sgpr_dispatch_ptr 0
		.amdhsa_user_sgpr_queue_ptr 0
		.amdhsa_user_sgpr_kernarg_segment_ptr 1
		.amdhsa_user_sgpr_dispatch_id 0
		.amdhsa_user_sgpr_kernarg_preload_length 0
		.amdhsa_user_sgpr_kernarg_preload_offset 0
		.amdhsa_user_sgpr_private_segment_size 0
		.amdhsa_uses_dynamic_stack 0
		.amdhsa_enable_private_segment 0
		.amdhsa_system_sgpr_workgroup_id_x 1
		.amdhsa_system_sgpr_workgroup_id_y 1
		.amdhsa_system_sgpr_workgroup_id_z 0
		.amdhsa_system_sgpr_workgroup_info 0
		.amdhsa_system_vgpr_workitem_id 0
		.amdhsa_next_free_vgpr 14
		.amdhsa_next_free_sgpr 26
		.amdhsa_accum_offset 16
		.amdhsa_reserve_vcc 1
		.amdhsa_float_round_mode_32 0
		.amdhsa_float_round_mode_16_64 0
		.amdhsa_float_denorm_mode_32 3
		.amdhsa_float_denorm_mode_16_64 3
		.amdhsa_dx10_clamp 1
		.amdhsa_ieee_mode 1
		.amdhsa_fp16_overflow 0
		.amdhsa_tg_split 0
		.amdhsa_exception_fp_ieee_invalid_op 0
		.amdhsa_exception_fp_denorm_src 0
		.amdhsa_exception_fp_ieee_div_zero 0
		.amdhsa_exception_fp_ieee_overflow 0
		.amdhsa_exception_fp_ieee_underflow 0
		.amdhsa_exception_fp_ieee_inexact 0
		.amdhsa_exception_int_div_zero 0
	.end_amdhsa_kernel
	.section	.text._ZN2at6native12_GLOBAL__N_130CatArrayBatchedCopy_vectorizedINS1_10OpaqueTypeILj4EEEjLi3ELi64ELi64ELi16ELi4EEEvPcNS1_25CatArrInputTensorMetadataIT_T0_XT2_EXT3_EEENS1_16TensorSizeStrideIS8_Lj4EEEiS8_,"axG",@progbits,_ZN2at6native12_GLOBAL__N_130CatArrayBatchedCopy_vectorizedINS1_10OpaqueTypeILj4EEEjLi3ELi64ELi64ELi16ELi4EEEvPcNS1_25CatArrInputTensorMetadataIT_T0_XT2_EXT3_EEENS1_16TensorSizeStrideIS8_Lj4EEEiS8_,comdat
.Lfunc_end150:
	.size	_ZN2at6native12_GLOBAL__N_130CatArrayBatchedCopy_vectorizedINS1_10OpaqueTypeILj4EEEjLi3ELi64ELi64ELi16ELi4EEEvPcNS1_25CatArrInputTensorMetadataIT_T0_XT2_EXT3_EEENS1_16TensorSizeStrideIS8_Lj4EEEiS8_, .Lfunc_end150-_ZN2at6native12_GLOBAL__N_130CatArrayBatchedCopy_vectorizedINS1_10OpaqueTypeILj4EEEjLi3ELi64ELi64ELi16ELi4EEEvPcNS1_25CatArrInputTensorMetadataIT_T0_XT2_EXT3_EEENS1_16TensorSizeStrideIS8_Lj4EEEiS8_
                                        ; -- End function
	.set _ZN2at6native12_GLOBAL__N_130CatArrayBatchedCopy_vectorizedINS1_10OpaqueTypeILj4EEEjLi3ELi64ELi64ELi16ELi4EEEvPcNS1_25CatArrInputTensorMetadataIT_T0_XT2_EXT3_EEENS1_16TensorSizeStrideIS8_Lj4EEEiS8_.num_vgpr, 14
	.set _ZN2at6native12_GLOBAL__N_130CatArrayBatchedCopy_vectorizedINS1_10OpaqueTypeILj4EEEjLi3ELi64ELi64ELi16ELi4EEEvPcNS1_25CatArrInputTensorMetadataIT_T0_XT2_EXT3_EEENS1_16TensorSizeStrideIS8_Lj4EEEiS8_.num_agpr, 0
	.set _ZN2at6native12_GLOBAL__N_130CatArrayBatchedCopy_vectorizedINS1_10OpaqueTypeILj4EEEjLi3ELi64ELi64ELi16ELi4EEEvPcNS1_25CatArrInputTensorMetadataIT_T0_XT2_EXT3_EEENS1_16TensorSizeStrideIS8_Lj4EEEiS8_.numbered_sgpr, 26
	.set _ZN2at6native12_GLOBAL__N_130CatArrayBatchedCopy_vectorizedINS1_10OpaqueTypeILj4EEEjLi3ELi64ELi64ELi16ELi4EEEvPcNS1_25CatArrInputTensorMetadataIT_T0_XT2_EXT3_EEENS1_16TensorSizeStrideIS8_Lj4EEEiS8_.num_named_barrier, 0
	.set _ZN2at6native12_GLOBAL__N_130CatArrayBatchedCopy_vectorizedINS1_10OpaqueTypeILj4EEEjLi3ELi64ELi64ELi16ELi4EEEvPcNS1_25CatArrInputTensorMetadataIT_T0_XT2_EXT3_EEENS1_16TensorSizeStrideIS8_Lj4EEEiS8_.private_seg_size, 0
	.set _ZN2at6native12_GLOBAL__N_130CatArrayBatchedCopy_vectorizedINS1_10OpaqueTypeILj4EEEjLi3ELi64ELi64ELi16ELi4EEEvPcNS1_25CatArrInputTensorMetadataIT_T0_XT2_EXT3_EEENS1_16TensorSizeStrideIS8_Lj4EEEiS8_.uses_vcc, 1
	.set _ZN2at6native12_GLOBAL__N_130CatArrayBatchedCopy_vectorizedINS1_10OpaqueTypeILj4EEEjLi3ELi64ELi64ELi16ELi4EEEvPcNS1_25CatArrInputTensorMetadataIT_T0_XT2_EXT3_EEENS1_16TensorSizeStrideIS8_Lj4EEEiS8_.uses_flat_scratch, 0
	.set _ZN2at6native12_GLOBAL__N_130CatArrayBatchedCopy_vectorizedINS1_10OpaqueTypeILj4EEEjLi3ELi64ELi64ELi16ELi4EEEvPcNS1_25CatArrInputTensorMetadataIT_T0_XT2_EXT3_EEENS1_16TensorSizeStrideIS8_Lj4EEEiS8_.has_dyn_sized_stack, 0
	.set _ZN2at6native12_GLOBAL__N_130CatArrayBatchedCopy_vectorizedINS1_10OpaqueTypeILj4EEEjLi3ELi64ELi64ELi16ELi4EEEvPcNS1_25CatArrInputTensorMetadataIT_T0_XT2_EXT3_EEENS1_16TensorSizeStrideIS8_Lj4EEEiS8_.has_recursion, 0
	.set _ZN2at6native12_GLOBAL__N_130CatArrayBatchedCopy_vectorizedINS1_10OpaqueTypeILj4EEEjLi3ELi64ELi64ELi16ELi4EEEvPcNS1_25CatArrInputTensorMetadataIT_T0_XT2_EXT3_EEENS1_16TensorSizeStrideIS8_Lj4EEEiS8_.has_indirect_call, 0
	.section	.AMDGPU.csdata,"",@progbits
; Kernel info:
; codeLenInByte = 580
; TotalNumSgprs: 32
; NumVgprs: 14
; NumAgprs: 0
; TotalNumVgprs: 14
; ScratchSize: 0
; MemoryBound: 0
; FloatMode: 240
; IeeeMode: 1
; LDSByteSize: 0 bytes/workgroup (compile time only)
; SGPRBlocks: 3
; VGPRBlocks: 1
; NumSGPRsForWavesPerEU: 32
; NumVGPRsForWavesPerEU: 14
; AccumOffset: 16
; Occupancy: 8
; WaveLimiterHint : 1
; COMPUTE_PGM_RSRC2:SCRATCH_EN: 0
; COMPUTE_PGM_RSRC2:USER_SGPR: 2
; COMPUTE_PGM_RSRC2:TRAP_HANDLER: 0
; COMPUTE_PGM_RSRC2:TGID_X_EN: 1
; COMPUTE_PGM_RSRC2:TGID_Y_EN: 1
; COMPUTE_PGM_RSRC2:TGID_Z_EN: 0
; COMPUTE_PGM_RSRC2:TIDIG_COMP_CNT: 0
; COMPUTE_PGM_RSRC3_GFX90A:ACCUM_OFFSET: 3
; COMPUTE_PGM_RSRC3_GFX90A:TG_SPLIT: 0
	.section	.text._ZN2at6native12_GLOBAL__N_135CatArrayBatchedCopy_alignedK_contigINS1_10OpaqueTypeILj4EEEjLi3ELi64ELi64ELi16EEEvPT_NS1_25CatArrInputTensorMetadataIS5_T0_XT2_EXT3_EEENS1_16TensorSizeStrideIS8_Lj4EEEiS8_,"axG",@progbits,_ZN2at6native12_GLOBAL__N_135CatArrayBatchedCopy_alignedK_contigINS1_10OpaqueTypeILj4EEEjLi3ELi64ELi64ELi16EEEvPT_NS1_25CatArrInputTensorMetadataIS5_T0_XT2_EXT3_EEENS1_16TensorSizeStrideIS8_Lj4EEEiS8_,comdat
	.globl	_ZN2at6native12_GLOBAL__N_135CatArrayBatchedCopy_alignedK_contigINS1_10OpaqueTypeILj4EEEjLi3ELi64ELi64ELi16EEEvPT_NS1_25CatArrInputTensorMetadataIS5_T0_XT2_EXT3_EEENS1_16TensorSizeStrideIS8_Lj4EEEiS8_ ; -- Begin function _ZN2at6native12_GLOBAL__N_135CatArrayBatchedCopy_alignedK_contigINS1_10OpaqueTypeILj4EEEjLi3ELi64ELi64ELi16EEEvPT_NS1_25CatArrInputTensorMetadataIS5_T0_XT2_EXT3_EEENS1_16TensorSizeStrideIS8_Lj4EEEiS8_
	.p2align	8
	.type	_ZN2at6native12_GLOBAL__N_135CatArrayBatchedCopy_alignedK_contigINS1_10OpaqueTypeILj4EEEjLi3ELi64ELi64ELi16EEEvPT_NS1_25CatArrInputTensorMetadataIS5_T0_XT2_EXT3_EEENS1_16TensorSizeStrideIS8_Lj4EEEiS8_,@function
_ZN2at6native12_GLOBAL__N_135CatArrayBatchedCopy_alignedK_contigINS1_10OpaqueTypeILj4EEEjLi3ELi64ELi64ELi16EEEvPT_NS1_25CatArrInputTensorMetadataIS5_T0_XT2_EXT3_EEENS1_16TensorSizeStrideIS8_Lj4EEEiS8_: ; @_ZN2at6native12_GLOBAL__N_135CatArrayBatchedCopy_alignedK_contigINS1_10OpaqueTypeILj4EEEjLi3ELi64ELi64ELi16EEEvPT_NS1_25CatArrInputTensorMetadataIS5_T0_XT2_EXT3_EEENS1_16TensorSizeStrideIS8_Lj4EEEiS8_
; %bb.0:
	s_mov_b32 s6, s3
	s_load_dword s3, s[0:1], 0xd7c
	s_add_u32 s4, s0, 0xd70
	s_mov_b32 s7, 0
	s_addc_u32 s5, s1, 0
	s_lshl_b64 s[6:7], s[6:7], 2
	s_waitcnt lgkmcnt(0)
	s_and_b32 s3, s3, 0xffff
	s_add_u32 s8, s0, s6
	s_addc_u32 s9, s1, s7
	s_load_dword s22, s[8:9], 0x408
	s_mul_i32 s2, s2, s3
	v_add_lshl_u32 v0, s2, v0, 2
	s_add_u32 s2, s8, 8
	s_addc_u32 s12, s9, 0
	s_waitcnt lgkmcnt(0)
	v_cmp_gt_u32_e32 vcc, s22, v0
	s_and_saveexec_b64 s[8:9], vcc
	s_cbranch_execz .LBB151_8
; %bb.1:
	s_add_u32 s18, s2, s6
	s_addc_u32 s19, s12, s7
	s_sub_u32 s2, 0, s6
	s_load_dwordx2 s[14:15], s[0:1], 0xd68
	s_load_dwordx4 s[8:11], s[0:1], 0xd58
	s_subb_u32 s6, 0, s7
	s_add_u32 s20, s18, s2
	s_addc_u32 s21, s19, s6
	s_waitcnt lgkmcnt(0)
	s_load_dword s11, s[20:21], 0x200
	s_load_dwordx2 s[6:7], s[0:1], 0x0
	s_load_dwordx2 s[16:17], s[0:1], 0xd4c
	;; [unrolled: 1-line block ×3, first 2 shown]
	s_load_dword s23, s[20:21], 0x300
	v_add_u32_e32 v1, 4, v0
	s_mov_b64 s[18:19], 0
	s_waitcnt lgkmcnt(0)
	s_mul_i32 s11, s11, s15
	v_cmp_ge_u32_e32 vcc, s22, v1
	s_and_saveexec_b64 s[20:21], vcc
	s_cbranch_execz .LBB151_5
; %bb.2:
	s_load_dword s0, s[4:5], 0x0
	v_mov_b32_e32 v1, 0
	v_add_u32_e32 v10, 3, v0
	v_add_u32_e32 v11, 2, v0
	;; [unrolled: 1-line block ×3, first 2 shown]
	s_waitcnt lgkmcnt(0)
	s_mul_i32 s0, s0, s3
	s_lshl_b32 s15, s0, 2
	s_cmp_eq_u32 s14, 2
	s_cselect_b32 s24, s23, s17
	s_cmp_eq_u32 s14, 1
	v_cvt_f32_u32_e32 v2, s24
	s_cselect_b32 s25, s23, s16
	v_cvt_f32_u32_e32 v3, s25
	s_sub_i32 s26, 0, s24
	v_rcp_iflag_f32_e32 v2, v2
	s_sub_i32 s0, 0, s25
	v_rcp_iflag_f32_e32 v3, v3
	v_mul_f32_e32 v2, 0x4f7ffffe, v2
	v_cvt_u32_f32_e32 v2, v2
	v_mul_f32_e32 v3, 0x4f7ffffe, v3
	v_cvt_u32_f32_e32 v3, v3
	v_mul_lo_u32 v4, s26, v2
	v_mul_hi_u32 v4, v2, v4
	v_mul_lo_u32 v5, s0, v3
	v_add_u32_e32 v12, v2, v4
	v_mul_hi_u32 v2, v3, v5
	v_add_u32_e32 v13, v3, v2
.LBB151_3:                              ; =>This Inner Loop Header: Depth=1
	v_mul_hi_u32 v18, v12, v11
	v_mul_hi_u32 v19, v12, v14
	v_add_u32_e32 v4, 1, v0
	v_add_u32_e32 v2, 2, v0
	v_lshl_add_u64 v[16:17], v[0:1], 2, s[12:13]
	v_mov_b32_e32 v3, v1
	v_mov_b32_e32 v5, v1
	v_not_b32_e32 v32, v18
	v_not_b32_e32 v30, v19
	v_mad_u64_u32 v[22:23], s[0:1], s26, v19, v[4:5]
	v_mad_u64_u32 v[24:25], s[0:1], s26, v18, v[2:3]
	global_load_dwordx4 v[16:19], v[16:17], off
	v_mul_hi_u32 v8, v12, v0
	v_not_b32_e32 v28, v8
	v_mad_u64_u32 v[20:21], s[0:1], s26, v8, v[0:1]
	v_mul_hi_u32 v15, v12, v10
	v_add_u32_e32 v6, 3, v0
	v_mov_b32_e32 v7, v1
	v_add_u32_e32 v21, 1, v8
	v_cmp_le_u32_e32 vcc, s24, v20
	v_mad_u64_u32 v[28:29], s[0:1], s24, v28, v[0:1]
	v_not_b32_e32 v34, v15
	v_mul_hi_u32 v36, v4, v12
	v_mul_hi_u32 v23, v2, v12
	;; [unrolled: 1-line block ×3, first 2 shown]
	v_mad_u64_u32 v[26:27], s[0:1], s26, v15, v[6:7]
	v_cndmask_b32_e32 v8, v8, v21, vcc
	v_mad_u64_u32 v[30:31], s[2:3], s24, v30, v[4:5]
	v_mad_u64_u32 v[32:33], s[4:5], s24, v32, v[2:3]
	v_cndmask_b32_e32 v20, v20, v28, vcc
	v_add_u32_e32 v15, 1, v36
	v_cmp_le_u32_e64 s[0:1], s24, v22
	v_add_u32_e32 v4, 1, v23
	v_cmp_le_u32_e64 s[2:3], s24, v24
	;; [unrolled: 2-line block ×3, first 2 shown]
	v_mad_u64_u32 v[34:35], s[28:29], s24, v34, v[6:7]
	v_add_u32_e32 v27, 1, v8
	v_cmp_le_u32_e32 vcc, s24, v20
	v_cndmask_b32_e64 v15, v36, v15, s[0:1]
	v_cndmask_b32_e64 v22, v22, v30, s[0:1]
	;; [unrolled: 1-line block ×6, first 2 shown]
	v_cndmask_b32_e32 v8, v8, v27, vcc
	v_add_u32_e32 v25, 1, v15
	v_cmp_le_u32_e32 vcc, s24, v22
	v_cmp_le_u32_e64 s[2:3], s24, v21
	v_mad_u64_u32 v[20:21], s[4:5], s26, v8, v[0:1]
	v_add_u32_e32 v22, 1, v4
	v_cmp_le_u32_e64 s[0:1], s24, v23
	v_add_u32_e32 v23, 1, v24
	v_mul_hi_u32 v21, v8, v13
	v_cndmask_b32_e32 v15, v15, v25, vcc
	v_cndmask_b32_e64 v28, v4, v22, s[0:1]
	v_cndmask_b32_e64 v29, v24, v23, s[2:3]
	v_mul_lo_u32 v4, v21, s25
	v_mad_u64_u32 v[22:23], s[0:1], s26, v15, v[0:1]
	v_mul_hi_u32 v23, v15, v13
	v_mad_u64_u32 v[24:25], s[0:1], s26, v28, v[2:3]
	v_sub_u32_e32 v4, v8, v4
	v_add_u32_e32 v30, 1, v21
	v_mul_hi_u32 v2, v28, v13
	v_add_u32_e32 v0, s15, v0
	v_mul_lo_u32 v25, v23, s25
	v_cmp_le_u32_e32 vcc, s25, v4
	v_mad_u64_u32 v[26:27], s[0:1], s26, v29, v[6:7]
	v_mul_hi_u32 v6, v29, v13
	v_mul_lo_u32 v31, v2, s25
	v_add_u32_e32 v35, 4, v0
	v_cndmask_b32_e32 v21, v21, v30, vcc
	v_subrev_u32_e32 v30, s25, v4
	v_sub_u32_e32 v25, v15, v25
	v_add_u32_e32 v27, 1, v23
	v_mul_lo_u32 v33, v6, s25
	v_sub_u32_e32 v31, v28, v31
	v_cmp_lt_u32_e64 s[0:1], s22, v35
	v_cndmask_b32_e32 v4, v4, v30, vcc
	v_cmp_le_u32_e32 vcc, s25, v25
	v_add_u32_e32 v32, 1, v2
	v_sub_u32_e32 v33, v29, v33
	v_add_u32_e32 v30, 1, v21
	v_cndmask_b32_e32 v23, v23, v27, vcc
	v_subrev_u32_e32 v27, s25, v25
	v_cmp_le_u32_e64 s[2:3], s25, v31
	s_or_b64 s[18:19], s[0:1], s[18:19]
	v_cmp_le_u32_e64 s[0:1], s25, v4
	v_add_u32_e32 v34, 1, v6
	v_cndmask_b32_e64 v32, v2, v32, s[2:3]
	v_subrev_u32_e32 v2, s25, v31
	v_cmp_le_u32_e64 s[4:5], s25, v33
	v_cndmask_b32_e64 v4, v21, v30, s[0:1]
	v_cndmask_b32_e32 v21, v25, v27, vcc
	v_cndmask_b32_e64 v6, v6, v34, s[4:5]
	v_subrev_u32_e32 v34, s25, v33
	v_add_u32_e32 v25, 1, v23
	v_cndmask_b32_e64 v27, v31, v2, s[2:3]
	v_cmp_le_u32_e32 vcc, s25, v21
	v_add_u32_e32 v30, 1, v32
	v_cndmask_b32_e64 v31, v33, v34, s[4:5]
	v_mul_lo_u32 v34, v4, s25
	v_mul_lo_u32 v2, v4, s8
	v_cndmask_b32_e32 v4, v23, v25, vcc
	v_cmp_le_u32_e32 vcc, s25, v27
	v_add_u32_e32 v33, 1, v6
	v_mad_u64_u32 v[20:21], s[0:1], v20, s10, v[2:3]
	v_cndmask_b32_e32 v23, v32, v30, vcc
	v_cmp_le_u32_e32 vcc, s25, v31
	v_mul_lo_u32 v22, s10, v22
	v_sub_u32_e32 v8, v8, v34
	v_cndmask_b32_e32 v6, v6, v33, vcc
	v_mul_lo_u32 v21, v4, s25
	v_mul_lo_u32 v25, v4, s8
	;; [unrolled: 1-line block ×7, first 2 shown]
	v_sub_u32_e32 v8, v15, v21
	v_add3_u32 v15, v22, s10, v25
	v_sub_u32_e32 v21, v28, v27
	v_mad_u64_u32 v[22:23], s[0:1], v24, s10, v[2:3]
	v_sub_u32_e32 v2, v29, v30
	v_mad_u64_u32 v[24:25], s[0:1], v26, s10, v[4:5]
	v_mul_lo_u32 v4, v8, s9
	v_mul_lo_u32 v8, v21, s9
	v_mul_lo_u32 v21, v2, s9
	v_add3_u32 v2, v20, v6, s11
	v_mov_b32_e32 v9, v1
	v_add_u32_e32 v10, s15, v10
	v_add_u32_e32 v11, s15, v11
	;; [unrolled: 1-line block ×3, first 2 shown]
	v_lshl_add_u64 v[2:3], v[2:3], 2, s[6:7]
	v_add3_u32 v4, v15, v4, s11
	v_add3_u32 v6, v22, v8, s11
	;; [unrolled: 1-line block ×3, first 2 shown]
	v_lshl_add_u64 v[4:5], v[4:5], 2, s[6:7]
	v_lshl_add_u64 v[6:7], v[6:7], 2, s[6:7]
	v_lshl_add_u64 v[8:9], v[8:9], 2, s[6:7]
	s_waitcnt vmcnt(0)
	global_store_dword v[2:3], v16, off
	global_store_dword v[4:5], v17, off
	;; [unrolled: 1-line block ×4, first 2 shown]
	s_andn2_b64 exec, exec, s[18:19]
	s_cbranch_execnz .LBB151_3
; %bb.4:
	s_or_b64 exec, exec, s[18:19]
.LBB151_5:
	s_or_b64 exec, exec, s[20:21]
	v_cmp_gt_u32_e32 vcc, s22, v0
	s_and_b64 exec, exec, vcc
	s_cbranch_execz .LBB151_8
; %bb.6:
	s_cmp_eq_u32 s14, 2
	s_cselect_b32 s4, s23, s17
	v_cvt_f32_u32_e32 v1, s4
	s_cmp_eq_u32 s14, 1
	s_cselect_b32 s5, s23, s16
	v_cvt_f32_u32_e32 v2, s5
	v_rcp_iflag_f32_e32 v1, v1
	s_sub_i32 s0, 0, s4
	v_mov_b32_e32 v3, 0
	v_rcp_iflag_f32_e32 v2, v2
	v_mul_f32_e32 v1, 0x4f7ffffe, v1
	v_cvt_u32_f32_e32 v1, v1
	v_mov_b32_e32 v5, v3
	v_mul_f32_e32 v2, 0x4f7ffffe, v2
	v_cvt_u32_f32_e32 v2, v2
	v_mul_lo_u32 v4, s0, v1
	v_mul_hi_u32 v4, v1, v4
	s_sub_i32 s0, 0, s5
	v_add_u32_e32 v4, v1, v4
	v_mul_lo_u32 v1, s0, v2
	v_mul_hi_u32 v1, v2, v1
	v_add_u32_e32 v10, v2, v1
	v_mov_b32_e32 v1, v3
	v_mad_u64_u32 v[6:7], s[0:1], v0, v4, 0
	v_lshl_add_u64 v[8:9], v[0:1], 2, s[12:13]
	s_mov_b64 s[2:3], 0
.LBB151_7:                              ; =>This Inner Loop Header: Depth=1
	global_load_dword v1, v[8:9], off
	v_mul_lo_u32 v2, s4, v7
	v_not_b32_e32 v11, v7
	v_sub_u32_e32 v2, v0, v2
	v_add_u32_e32 v14, 1, v7
	v_cmp_le_u32_e32 vcc, s4, v2
	v_lshl_add_u64 v[8:9], v[8:9], 0, 4
	s_waitcnt vmcnt(0)
	v_mad_u64_u32 v[12:13], s[0:1], s4, v11, v[0:1]
	v_cndmask_b32_e32 v11, v7, v14, vcc
	v_cndmask_b32_e32 v2, v2, v12, vcc
	v_add_u32_e32 v12, 1, v11
	v_cmp_le_u32_e32 vcc, s4, v2
	v_lshl_add_u64 v[6:7], v[6:7], 0, v[4:5]
	s_nop 0
	v_cndmask_b32_e32 v11, v11, v12, vcc
	v_mul_hi_u32 v2, v11, v10
	v_mul_lo_u32 v13, v2, s5
	v_sub_u32_e32 v13, v11, v13
	v_mul_lo_u32 v12, v11, s4
	v_add_u32_e32 v14, 1, v2
	v_cmp_le_u32_e64 s[0:1], s5, v13
	v_sub_u32_e32 v12, v0, v12
	v_add_u32_e32 v0, 1, v0
	v_cndmask_b32_e64 v2, v2, v14, s[0:1]
	v_subrev_u32_e32 v14, s5, v13
	v_cmp_le_u32_e32 vcc, s22, v0
	v_cndmask_b32_e64 v13, v13, v14, s[0:1]
	s_or_b64 s[2:3], vcc, s[2:3]
	v_add_u32_e32 v14, 1, v2
	v_cmp_le_u32_e32 vcc, s5, v13
	s_nop 1
	v_cndmask_b32_e32 v2, v2, v14, vcc
	v_mul_lo_u32 v13, v2, s5
	v_mul_lo_u32 v2, v2, s8
	v_sub_u32_e32 v11, v11, v13
	v_mad_u64_u32 v[12:13], s[0:1], v12, s10, v[2:3]
	v_mul_lo_u32 v2, v11, s9
	v_add3_u32 v2, v12, v2, s11
	v_lshl_add_u64 v[12:13], v[2:3], 2, s[6:7]
	global_store_dword v[12:13], v1, off
	s_andn2_b64 exec, exec, s[2:3]
	s_cbranch_execnz .LBB151_7
.LBB151_8:
	s_endpgm
	.section	.rodata,"a",@progbits
	.p2align	6, 0x0
	.amdhsa_kernel _ZN2at6native12_GLOBAL__N_135CatArrayBatchedCopy_alignedK_contigINS1_10OpaqueTypeILj4EEEjLi3ELi64ELi64ELi16EEEvPT_NS1_25CatArrInputTensorMetadataIS5_T0_XT2_EXT3_EEENS1_16TensorSizeStrideIS8_Lj4EEEiS8_
		.amdhsa_group_segment_fixed_size 0
		.amdhsa_private_segment_fixed_size 0
		.amdhsa_kernarg_size 3696
		.amdhsa_user_sgpr_count 2
		.amdhsa_user_sgpr_dispatch_ptr 0
		.amdhsa_user_sgpr_queue_ptr 0
		.amdhsa_user_sgpr_kernarg_segment_ptr 1
		.amdhsa_user_sgpr_dispatch_id 0
		.amdhsa_user_sgpr_kernarg_preload_length 0
		.amdhsa_user_sgpr_kernarg_preload_offset 0
		.amdhsa_user_sgpr_private_segment_size 0
		.amdhsa_uses_dynamic_stack 0
		.amdhsa_enable_private_segment 0
		.amdhsa_system_sgpr_workgroup_id_x 1
		.amdhsa_system_sgpr_workgroup_id_y 1
		.amdhsa_system_sgpr_workgroup_id_z 0
		.amdhsa_system_sgpr_workgroup_info 0
		.amdhsa_system_vgpr_workitem_id 0
		.amdhsa_next_free_vgpr 37
		.amdhsa_next_free_sgpr 30
		.amdhsa_accum_offset 40
		.amdhsa_reserve_vcc 1
		.amdhsa_float_round_mode_32 0
		.amdhsa_float_round_mode_16_64 0
		.amdhsa_float_denorm_mode_32 3
		.amdhsa_float_denorm_mode_16_64 3
		.amdhsa_dx10_clamp 1
		.amdhsa_ieee_mode 1
		.amdhsa_fp16_overflow 0
		.amdhsa_tg_split 0
		.amdhsa_exception_fp_ieee_invalid_op 0
		.amdhsa_exception_fp_denorm_src 0
		.amdhsa_exception_fp_ieee_div_zero 0
		.amdhsa_exception_fp_ieee_overflow 0
		.amdhsa_exception_fp_ieee_underflow 0
		.amdhsa_exception_fp_ieee_inexact 0
		.amdhsa_exception_int_div_zero 0
	.end_amdhsa_kernel
	.section	.text._ZN2at6native12_GLOBAL__N_135CatArrayBatchedCopy_alignedK_contigINS1_10OpaqueTypeILj4EEEjLi3ELi64ELi64ELi16EEEvPT_NS1_25CatArrInputTensorMetadataIS5_T0_XT2_EXT3_EEENS1_16TensorSizeStrideIS8_Lj4EEEiS8_,"axG",@progbits,_ZN2at6native12_GLOBAL__N_135CatArrayBatchedCopy_alignedK_contigINS1_10OpaqueTypeILj4EEEjLi3ELi64ELi64ELi16EEEvPT_NS1_25CatArrInputTensorMetadataIS5_T0_XT2_EXT3_EEENS1_16TensorSizeStrideIS8_Lj4EEEiS8_,comdat
.Lfunc_end151:
	.size	_ZN2at6native12_GLOBAL__N_135CatArrayBatchedCopy_alignedK_contigINS1_10OpaqueTypeILj4EEEjLi3ELi64ELi64ELi16EEEvPT_NS1_25CatArrInputTensorMetadataIS5_T0_XT2_EXT3_EEENS1_16TensorSizeStrideIS8_Lj4EEEiS8_, .Lfunc_end151-_ZN2at6native12_GLOBAL__N_135CatArrayBatchedCopy_alignedK_contigINS1_10OpaqueTypeILj4EEEjLi3ELi64ELi64ELi16EEEvPT_NS1_25CatArrInputTensorMetadataIS5_T0_XT2_EXT3_EEENS1_16TensorSizeStrideIS8_Lj4EEEiS8_
                                        ; -- End function
	.set _ZN2at6native12_GLOBAL__N_135CatArrayBatchedCopy_alignedK_contigINS1_10OpaqueTypeILj4EEEjLi3ELi64ELi64ELi16EEEvPT_NS1_25CatArrInputTensorMetadataIS5_T0_XT2_EXT3_EEENS1_16TensorSizeStrideIS8_Lj4EEEiS8_.num_vgpr, 37
	.set _ZN2at6native12_GLOBAL__N_135CatArrayBatchedCopy_alignedK_contigINS1_10OpaqueTypeILj4EEEjLi3ELi64ELi64ELi16EEEvPT_NS1_25CatArrInputTensorMetadataIS5_T0_XT2_EXT3_EEENS1_16TensorSizeStrideIS8_Lj4EEEiS8_.num_agpr, 0
	.set _ZN2at6native12_GLOBAL__N_135CatArrayBatchedCopy_alignedK_contigINS1_10OpaqueTypeILj4EEEjLi3ELi64ELi64ELi16EEEvPT_NS1_25CatArrInputTensorMetadataIS5_T0_XT2_EXT3_EEENS1_16TensorSizeStrideIS8_Lj4EEEiS8_.numbered_sgpr, 30
	.set _ZN2at6native12_GLOBAL__N_135CatArrayBatchedCopy_alignedK_contigINS1_10OpaqueTypeILj4EEEjLi3ELi64ELi64ELi16EEEvPT_NS1_25CatArrInputTensorMetadataIS5_T0_XT2_EXT3_EEENS1_16TensorSizeStrideIS8_Lj4EEEiS8_.num_named_barrier, 0
	.set _ZN2at6native12_GLOBAL__N_135CatArrayBatchedCopy_alignedK_contigINS1_10OpaqueTypeILj4EEEjLi3ELi64ELi64ELi16EEEvPT_NS1_25CatArrInputTensorMetadataIS5_T0_XT2_EXT3_EEENS1_16TensorSizeStrideIS8_Lj4EEEiS8_.private_seg_size, 0
	.set _ZN2at6native12_GLOBAL__N_135CatArrayBatchedCopy_alignedK_contigINS1_10OpaqueTypeILj4EEEjLi3ELi64ELi64ELi16EEEvPT_NS1_25CatArrInputTensorMetadataIS5_T0_XT2_EXT3_EEENS1_16TensorSizeStrideIS8_Lj4EEEiS8_.uses_vcc, 1
	.set _ZN2at6native12_GLOBAL__N_135CatArrayBatchedCopy_alignedK_contigINS1_10OpaqueTypeILj4EEEjLi3ELi64ELi64ELi16EEEvPT_NS1_25CatArrInputTensorMetadataIS5_T0_XT2_EXT3_EEENS1_16TensorSizeStrideIS8_Lj4EEEiS8_.uses_flat_scratch, 0
	.set _ZN2at6native12_GLOBAL__N_135CatArrayBatchedCopy_alignedK_contigINS1_10OpaqueTypeILj4EEEjLi3ELi64ELi64ELi16EEEvPT_NS1_25CatArrInputTensorMetadataIS5_T0_XT2_EXT3_EEENS1_16TensorSizeStrideIS8_Lj4EEEiS8_.has_dyn_sized_stack, 0
	.set _ZN2at6native12_GLOBAL__N_135CatArrayBatchedCopy_alignedK_contigINS1_10OpaqueTypeILj4EEEjLi3ELi64ELi64ELi16EEEvPT_NS1_25CatArrInputTensorMetadataIS5_T0_XT2_EXT3_EEENS1_16TensorSizeStrideIS8_Lj4EEEiS8_.has_recursion, 0
	.set _ZN2at6native12_GLOBAL__N_135CatArrayBatchedCopy_alignedK_contigINS1_10OpaqueTypeILj4EEEjLi3ELi64ELi64ELi16EEEvPT_NS1_25CatArrInputTensorMetadataIS5_T0_XT2_EXT3_EEENS1_16TensorSizeStrideIS8_Lj4EEEiS8_.has_indirect_call, 0
	.section	.AMDGPU.csdata,"",@progbits
; Kernel info:
; codeLenInByte = 1660
; TotalNumSgprs: 36
; NumVgprs: 37
; NumAgprs: 0
; TotalNumVgprs: 37
; ScratchSize: 0
; MemoryBound: 0
; FloatMode: 240
; IeeeMode: 1
; LDSByteSize: 0 bytes/workgroup (compile time only)
; SGPRBlocks: 4
; VGPRBlocks: 4
; NumSGPRsForWavesPerEU: 36
; NumVGPRsForWavesPerEU: 37
; AccumOffset: 40
; Occupancy: 8
; WaveLimiterHint : 1
; COMPUTE_PGM_RSRC2:SCRATCH_EN: 0
; COMPUTE_PGM_RSRC2:USER_SGPR: 2
; COMPUTE_PGM_RSRC2:TRAP_HANDLER: 0
; COMPUTE_PGM_RSRC2:TGID_X_EN: 1
; COMPUTE_PGM_RSRC2:TGID_Y_EN: 1
; COMPUTE_PGM_RSRC2:TGID_Z_EN: 0
; COMPUTE_PGM_RSRC2:TIDIG_COMP_CNT: 0
; COMPUTE_PGM_RSRC3_GFX90A:ACCUM_OFFSET: 9
; COMPUTE_PGM_RSRC3_GFX90A:TG_SPLIT: 0
	.section	.text._ZN2at6native12_GLOBAL__N_135CatArrayBatchedCopy_alignedK_contigINS1_10OpaqueTypeILj4EEEjLi3ELi64ELi64ELi8EEEvPT_NS1_25CatArrInputTensorMetadataIS5_T0_XT2_EXT3_EEENS1_16TensorSizeStrideIS8_Lj4EEEiS8_,"axG",@progbits,_ZN2at6native12_GLOBAL__N_135CatArrayBatchedCopy_alignedK_contigINS1_10OpaqueTypeILj4EEEjLi3ELi64ELi64ELi8EEEvPT_NS1_25CatArrInputTensorMetadataIS5_T0_XT2_EXT3_EEENS1_16TensorSizeStrideIS8_Lj4EEEiS8_,comdat
	.globl	_ZN2at6native12_GLOBAL__N_135CatArrayBatchedCopy_alignedK_contigINS1_10OpaqueTypeILj4EEEjLi3ELi64ELi64ELi8EEEvPT_NS1_25CatArrInputTensorMetadataIS5_T0_XT2_EXT3_EEENS1_16TensorSizeStrideIS8_Lj4EEEiS8_ ; -- Begin function _ZN2at6native12_GLOBAL__N_135CatArrayBatchedCopy_alignedK_contigINS1_10OpaqueTypeILj4EEEjLi3ELi64ELi64ELi8EEEvPT_NS1_25CatArrInputTensorMetadataIS5_T0_XT2_EXT3_EEENS1_16TensorSizeStrideIS8_Lj4EEEiS8_
	.p2align	8
	.type	_ZN2at6native12_GLOBAL__N_135CatArrayBatchedCopy_alignedK_contigINS1_10OpaqueTypeILj4EEEjLi3ELi64ELi64ELi8EEEvPT_NS1_25CatArrInputTensorMetadataIS5_T0_XT2_EXT3_EEENS1_16TensorSizeStrideIS8_Lj4EEEiS8_,@function
_ZN2at6native12_GLOBAL__N_135CatArrayBatchedCopy_alignedK_contigINS1_10OpaqueTypeILj4EEEjLi3ELi64ELi64ELi8EEEvPT_NS1_25CatArrInputTensorMetadataIS5_T0_XT2_EXT3_EEENS1_16TensorSizeStrideIS8_Lj4EEEiS8_: ; @_ZN2at6native12_GLOBAL__N_135CatArrayBatchedCopy_alignedK_contigINS1_10OpaqueTypeILj4EEEjLi3ELi64ELi64ELi8EEEvPT_NS1_25CatArrInputTensorMetadataIS5_T0_XT2_EXT3_EEENS1_16TensorSizeStrideIS8_Lj4EEEiS8_
; %bb.0:
	s_mov_b32 s4, s3
	s_load_dword s3, s[0:1], 0xd7c
	s_add_u32 s18, s0, 0xd70
	s_mov_b32 s5, 0
	s_addc_u32 s19, s1, 0
	s_lshl_b64 s[8:9], s[4:5], 2
	s_waitcnt lgkmcnt(0)
	s_and_b32 s22, s3, 0xffff
	s_add_u32 s4, s0, s8
	s_addc_u32 s5, s1, s9
	s_load_dword s20, s[4:5], 0x408
	s_mul_i32 s2, s2, s22
	v_add_lshl_u32 v0, s2, v0, 1
	s_add_u32 s2, s4, 8
	s_addc_u32 s3, s5, 0
	s_waitcnt lgkmcnt(0)
	v_cmp_gt_u32_e32 vcc, s20, v0
	s_and_saveexec_b64 s[4:5], vcc
	s_cbranch_execz .LBB152_8
; %bb.1:
	s_add_u32 s14, s2, s8
	s_addc_u32 s15, s3, s9
	s_sub_u32 s2, 0, s8
	s_load_dwordx2 s[10:11], s[0:1], 0xd68
	s_load_dwordx4 s[4:7], s[0:1], 0xd58
	s_subb_u32 s3, 0, s9
	s_add_u32 s16, s14, s2
	s_addc_u32 s17, s15, s3
	s_waitcnt lgkmcnt(0)
	s_load_dword s7, s[16:17], 0x200
	s_load_dwordx2 s[2:3], s[0:1], 0x0
	s_load_dwordx2 s[12:13], s[0:1], 0xd4c
	;; [unrolled: 1-line block ×3, first 2 shown]
	s_load_dword s21, s[16:17], 0x300
	v_add_u32_e32 v1, 2, v0
	s_mov_b64 s[14:15], 0
	s_waitcnt lgkmcnt(0)
	s_mul_i32 s7, s7, s11
	v_cmp_ge_u32_e32 vcc, s20, v1
	s_and_saveexec_b64 s[16:17], vcc
	s_cbranch_execz .LBB152_5
; %bb.2:
	s_load_dword s0, s[18:19], 0x0
	s_waitcnt lgkmcnt(0)
	s_mul_i32 s0, s0, s22
	s_lshl_b32 s11, s0, 1
	s_cmp_eq_u32 s10, 2
	s_cselect_b32 s18, s21, s13
	s_cmp_eq_u32 s10, 1
	v_cvt_f32_u32_e32 v1, s18
	s_cselect_b32 s19, s21, s12
	v_cvt_f32_u32_e32 v2, s19
	s_sub_i32 s22, 0, s18
	v_rcp_iflag_f32_e32 v3, v1
	s_sub_i32 s0, 0, s19
	v_rcp_iflag_f32_e32 v2, v2
	v_mov_b32_e32 v1, 0
	v_mul_f32_e32 v3, 0x4f7ffffe, v3
	v_cvt_u32_f32_e32 v3, v3
	v_mul_f32_e32 v2, 0x4f7ffffe, v2
	v_cvt_u32_f32_e32 v4, v2
	v_mul_lo_u32 v2, s22, v3
	v_mul_hi_u32 v2, v3, v2
	v_mul_lo_u32 v5, s0, v4
	v_add_u32_e32 v2, v3, v2
	v_mul_hi_u32 v3, v4, v5
	v_add_u32_e32 v3, v4, v3
	v_add_u32_e32 v4, 1, v0
.LBB152_3:                              ; =>This Inner Loop Header: Depth=1
	v_lshl_add_u64 v[6:7], v[0:1], 2, s[8:9]
	global_load_dwordx2 v[6:7], v[6:7], off
	v_mul_hi_u32 v5, v2, v0
	v_mul_hi_u32 v10, v2, v4
	v_not_b32_e32 v16, v5
	v_mad_u64_u32 v[12:13], s[0:1], s22, v5, v[0:1]
	v_add_u32_e32 v8, 1, v0
	v_mov_b32_e32 v9, v1
	v_not_b32_e32 v18, v10
	v_add_u32_e32 v13, 1, v5
	v_cmp_le_u32_e32 vcc, s18, v12
	v_mad_u64_u32 v[16:17], s[0:1], s18, v16, v[0:1]
	v_mul_hi_u32 v20, v8, v2
	v_mad_u64_u32 v[14:15], s[0:1], s22, v10, v[8:9]
	v_cndmask_b32_e32 v5, v5, v13, vcc
	v_mad_u64_u32 v[18:19], s[24:25], s18, v18, v[8:9]
	v_cndmask_b32_e32 v8, v12, v16, vcc
	v_add_u32_e32 v10, 1, v20
	v_cmp_le_u32_e64 s[0:1], s18, v14
	v_add_u32_e32 v12, 1, v5
	v_cmp_le_u32_e32 vcc, s18, v8
	v_cndmask_b32_e64 v10, v20, v10, s[0:1]
	v_cndmask_b32_e64 v13, v14, v18, s[0:1]
	v_cndmask_b32_e32 v5, v5, v12, vcc
	v_add_u32_e32 v8, 1, v10
	v_cmp_le_u32_e32 vcc, s18, v13
	v_mad_u64_u32 v[12:13], s[0:1], s22, v5, v[0:1]
	v_mul_hi_u32 v13, v5, v3
	v_cndmask_b32_e32 v10, v10, v8, vcc
	v_mul_lo_u32 v8, v13, s19
	v_mad_u64_u32 v[14:15], s[0:1], s22, v10, v[0:1]
	v_mul_hi_u32 v15, v10, v3
	v_sub_u32_e32 v8, v5, v8
	v_add_u32_e32 v16, 1, v13
	v_add_u32_e32 v0, s11, v0
	v_mul_lo_u32 v17, v15, s19
	v_cmp_le_u32_e32 vcc, s19, v8
	v_add_u32_e32 v19, 2, v0
	v_sub_u32_e32 v17, v10, v17
	v_cndmask_b32_e32 v13, v13, v16, vcc
	v_subrev_u32_e32 v16, s19, v8
	v_add_u32_e32 v18, 1, v15
	v_cmp_lt_u32_e64 s[0:1], s20, v19
	v_cndmask_b32_e32 v8, v8, v16, vcc
	v_cmp_le_u32_e32 vcc, s19, v17
	v_add_u32_e32 v16, 1, v13
	s_or_b64 s[14:15], s[0:1], s[14:15]
	v_cndmask_b32_e32 v15, v15, v18, vcc
	v_subrev_u32_e32 v18, s19, v17
	v_cmp_le_u32_e64 s[0:1], s19, v8
	v_mul_lo_u32 v14, s6, v14
	v_mov_b32_e32 v11, v1
	v_cndmask_b32_e64 v8, v13, v16, s[0:1]
	v_cndmask_b32_e32 v13, v17, v18, vcc
	v_add_u32_e32 v16, 1, v15
	v_cmp_le_u32_e32 vcc, s19, v13
	v_mul_lo_u32 v17, v8, s19
	v_mul_lo_u32 v8, v8, s4
	v_cndmask_b32_e32 v15, v15, v16, vcc
	v_sub_u32_e32 v5, v5, v17
	v_mad_u64_u32 v[12:13], s[0:1], v12, s6, v[8:9]
	v_mul_lo_u32 v8, v15, s19
	v_mul_lo_u32 v13, v15, s4
	;; [unrolled: 1-line block ×3, first 2 shown]
	v_sub_u32_e32 v8, v10, v8
	v_add3_u32 v10, v14, s6, v13
	v_mul_lo_u32 v13, v8, s5
	v_add3_u32 v8, v12, v5, s7
	v_add_u32_e32 v4, s11, v4
	v_lshl_add_u64 v[8:9], v[8:9], 2, s[2:3]
	v_add3_u32 v10, v10, v13, s7
	v_lshl_add_u64 v[10:11], v[10:11], 2, s[2:3]
	s_waitcnt vmcnt(0)
	global_store_dword v[8:9], v6, off
	global_store_dword v[10:11], v7, off
	s_andn2_b64 exec, exec, s[14:15]
	s_cbranch_execnz .LBB152_3
; %bb.4:
	s_or_b64 exec, exec, s[14:15]
.LBB152_5:
	s_or_b64 exec, exec, s[16:17]
	v_cmp_gt_u32_e32 vcc, s20, v0
	s_and_b64 exec, exec, vcc
	s_cbranch_execz .LBB152_8
; %bb.6:
	s_cmp_eq_u32 s10, 2
	s_cselect_b32 s11, s21, s13
	v_cvt_f32_u32_e32 v1, s11
	s_cmp_eq_u32 s10, 1
	s_cselect_b32 s10, s21, s12
	v_cvt_f32_u32_e32 v2, s10
	v_rcp_iflag_f32_e32 v1, v1
	s_sub_i32 s0, 0, s11
	v_mov_b32_e32 v3, 0
	v_rcp_iflag_f32_e32 v2, v2
	v_mul_f32_e32 v1, 0x4f7ffffe, v1
	v_cvt_u32_f32_e32 v1, v1
	v_mov_b32_e32 v5, v3
	v_mul_f32_e32 v2, 0x4f7ffffe, v2
	v_cvt_u32_f32_e32 v2, v2
	v_mul_lo_u32 v4, s0, v1
	v_mul_hi_u32 v4, v1, v4
	s_sub_i32 s0, 0, s10
	v_add_u32_e32 v4, v1, v4
	v_mul_lo_u32 v1, s0, v2
	v_mul_hi_u32 v1, v2, v1
	v_add_u32_e32 v10, v2, v1
	v_mov_b32_e32 v1, v3
	v_mad_u64_u32 v[6:7], s[0:1], v0, v4, 0
	v_lshl_add_u64 v[8:9], v[0:1], 2, s[8:9]
	s_mov_b64 s[8:9], 0
.LBB152_7:                              ; =>This Inner Loop Header: Depth=1
	global_load_dword v1, v[8:9], off
	v_mul_lo_u32 v2, s11, v7
	v_not_b32_e32 v11, v7
	v_sub_u32_e32 v2, v0, v2
	v_add_u32_e32 v14, 1, v7
	v_cmp_le_u32_e32 vcc, s11, v2
	v_lshl_add_u64 v[8:9], v[8:9], 0, 4
	s_waitcnt vmcnt(0)
	v_mad_u64_u32 v[12:13], s[0:1], s11, v11, v[0:1]
	v_cndmask_b32_e32 v11, v7, v14, vcc
	v_cndmask_b32_e32 v2, v2, v12, vcc
	v_add_u32_e32 v12, 1, v11
	v_cmp_le_u32_e32 vcc, s11, v2
	v_lshl_add_u64 v[6:7], v[6:7], 0, v[4:5]
	s_nop 0
	v_cndmask_b32_e32 v11, v11, v12, vcc
	v_mul_hi_u32 v2, v11, v10
	v_mul_lo_u32 v13, v2, s10
	v_sub_u32_e32 v13, v11, v13
	v_mul_lo_u32 v12, v11, s11
	v_add_u32_e32 v14, 1, v2
	v_cmp_le_u32_e64 s[0:1], s10, v13
	v_sub_u32_e32 v12, v0, v12
	v_add_u32_e32 v0, 1, v0
	v_cndmask_b32_e64 v2, v2, v14, s[0:1]
	v_subrev_u32_e32 v14, s10, v13
	v_cmp_le_u32_e32 vcc, s20, v0
	v_cndmask_b32_e64 v13, v13, v14, s[0:1]
	s_or_b64 s[8:9], vcc, s[8:9]
	v_add_u32_e32 v14, 1, v2
	v_cmp_le_u32_e32 vcc, s10, v13
	s_nop 1
	v_cndmask_b32_e32 v2, v2, v14, vcc
	v_mul_lo_u32 v13, v2, s10
	v_mul_lo_u32 v2, v2, s4
	v_sub_u32_e32 v11, v11, v13
	v_mad_u64_u32 v[12:13], s[0:1], v12, s6, v[2:3]
	v_mul_lo_u32 v2, v11, s5
	v_add3_u32 v2, v12, v2, s7
	v_lshl_add_u64 v[12:13], v[2:3], 2, s[2:3]
	global_store_dword v[12:13], v1, off
	s_andn2_b64 exec, exec, s[8:9]
	s_cbranch_execnz .LBB152_7
.LBB152_8:
	s_endpgm
	.section	.rodata,"a",@progbits
	.p2align	6, 0x0
	.amdhsa_kernel _ZN2at6native12_GLOBAL__N_135CatArrayBatchedCopy_alignedK_contigINS1_10OpaqueTypeILj4EEEjLi3ELi64ELi64ELi8EEEvPT_NS1_25CatArrInputTensorMetadataIS5_T0_XT2_EXT3_EEENS1_16TensorSizeStrideIS8_Lj4EEEiS8_
		.amdhsa_group_segment_fixed_size 0
		.amdhsa_private_segment_fixed_size 0
		.amdhsa_kernarg_size 3696
		.amdhsa_user_sgpr_count 2
		.amdhsa_user_sgpr_dispatch_ptr 0
		.amdhsa_user_sgpr_queue_ptr 0
		.amdhsa_user_sgpr_kernarg_segment_ptr 1
		.amdhsa_user_sgpr_dispatch_id 0
		.amdhsa_user_sgpr_kernarg_preload_length 0
		.amdhsa_user_sgpr_kernarg_preload_offset 0
		.amdhsa_user_sgpr_private_segment_size 0
		.amdhsa_uses_dynamic_stack 0
		.amdhsa_enable_private_segment 0
		.amdhsa_system_sgpr_workgroup_id_x 1
		.amdhsa_system_sgpr_workgroup_id_y 1
		.amdhsa_system_sgpr_workgroup_id_z 0
		.amdhsa_system_sgpr_workgroup_info 0
		.amdhsa_system_vgpr_workitem_id 0
		.amdhsa_next_free_vgpr 21
		.amdhsa_next_free_sgpr 26
		.amdhsa_accum_offset 24
		.amdhsa_reserve_vcc 1
		.amdhsa_float_round_mode_32 0
		.amdhsa_float_round_mode_16_64 0
		.amdhsa_float_denorm_mode_32 3
		.amdhsa_float_denorm_mode_16_64 3
		.amdhsa_dx10_clamp 1
		.amdhsa_ieee_mode 1
		.amdhsa_fp16_overflow 0
		.amdhsa_tg_split 0
		.amdhsa_exception_fp_ieee_invalid_op 0
		.amdhsa_exception_fp_denorm_src 0
		.amdhsa_exception_fp_ieee_div_zero 0
		.amdhsa_exception_fp_ieee_overflow 0
		.amdhsa_exception_fp_ieee_underflow 0
		.amdhsa_exception_fp_ieee_inexact 0
		.amdhsa_exception_int_div_zero 0
	.end_amdhsa_kernel
	.section	.text._ZN2at6native12_GLOBAL__N_135CatArrayBatchedCopy_alignedK_contigINS1_10OpaqueTypeILj4EEEjLi3ELi64ELi64ELi8EEEvPT_NS1_25CatArrInputTensorMetadataIS5_T0_XT2_EXT3_EEENS1_16TensorSizeStrideIS8_Lj4EEEiS8_,"axG",@progbits,_ZN2at6native12_GLOBAL__N_135CatArrayBatchedCopy_alignedK_contigINS1_10OpaqueTypeILj4EEEjLi3ELi64ELi64ELi8EEEvPT_NS1_25CatArrInputTensorMetadataIS5_T0_XT2_EXT3_EEENS1_16TensorSizeStrideIS8_Lj4EEEiS8_,comdat
.Lfunc_end152:
	.size	_ZN2at6native12_GLOBAL__N_135CatArrayBatchedCopy_alignedK_contigINS1_10OpaqueTypeILj4EEEjLi3ELi64ELi64ELi8EEEvPT_NS1_25CatArrInputTensorMetadataIS5_T0_XT2_EXT3_EEENS1_16TensorSizeStrideIS8_Lj4EEEiS8_, .Lfunc_end152-_ZN2at6native12_GLOBAL__N_135CatArrayBatchedCopy_alignedK_contigINS1_10OpaqueTypeILj4EEEjLi3ELi64ELi64ELi8EEEvPT_NS1_25CatArrInputTensorMetadataIS5_T0_XT2_EXT3_EEENS1_16TensorSizeStrideIS8_Lj4EEEiS8_
                                        ; -- End function
	.set _ZN2at6native12_GLOBAL__N_135CatArrayBatchedCopy_alignedK_contigINS1_10OpaqueTypeILj4EEEjLi3ELi64ELi64ELi8EEEvPT_NS1_25CatArrInputTensorMetadataIS5_T0_XT2_EXT3_EEENS1_16TensorSizeStrideIS8_Lj4EEEiS8_.num_vgpr, 21
	.set _ZN2at6native12_GLOBAL__N_135CatArrayBatchedCopy_alignedK_contigINS1_10OpaqueTypeILj4EEEjLi3ELi64ELi64ELi8EEEvPT_NS1_25CatArrInputTensorMetadataIS5_T0_XT2_EXT3_EEENS1_16TensorSizeStrideIS8_Lj4EEEiS8_.num_agpr, 0
	.set _ZN2at6native12_GLOBAL__N_135CatArrayBatchedCopy_alignedK_contigINS1_10OpaqueTypeILj4EEEjLi3ELi64ELi64ELi8EEEvPT_NS1_25CatArrInputTensorMetadataIS5_T0_XT2_EXT3_EEENS1_16TensorSizeStrideIS8_Lj4EEEiS8_.numbered_sgpr, 26
	.set _ZN2at6native12_GLOBAL__N_135CatArrayBatchedCopy_alignedK_contigINS1_10OpaqueTypeILj4EEEjLi3ELi64ELi64ELi8EEEvPT_NS1_25CatArrInputTensorMetadataIS5_T0_XT2_EXT3_EEENS1_16TensorSizeStrideIS8_Lj4EEEiS8_.num_named_barrier, 0
	.set _ZN2at6native12_GLOBAL__N_135CatArrayBatchedCopy_alignedK_contigINS1_10OpaqueTypeILj4EEEjLi3ELi64ELi64ELi8EEEvPT_NS1_25CatArrInputTensorMetadataIS5_T0_XT2_EXT3_EEENS1_16TensorSizeStrideIS8_Lj4EEEiS8_.private_seg_size, 0
	.set _ZN2at6native12_GLOBAL__N_135CatArrayBatchedCopy_alignedK_contigINS1_10OpaqueTypeILj4EEEjLi3ELi64ELi64ELi8EEEvPT_NS1_25CatArrInputTensorMetadataIS5_T0_XT2_EXT3_EEENS1_16TensorSizeStrideIS8_Lj4EEEiS8_.uses_vcc, 1
	.set _ZN2at6native12_GLOBAL__N_135CatArrayBatchedCopy_alignedK_contigINS1_10OpaqueTypeILj4EEEjLi3ELi64ELi64ELi8EEEvPT_NS1_25CatArrInputTensorMetadataIS5_T0_XT2_EXT3_EEENS1_16TensorSizeStrideIS8_Lj4EEEiS8_.uses_flat_scratch, 0
	.set _ZN2at6native12_GLOBAL__N_135CatArrayBatchedCopy_alignedK_contigINS1_10OpaqueTypeILj4EEEjLi3ELi64ELi64ELi8EEEvPT_NS1_25CatArrInputTensorMetadataIS5_T0_XT2_EXT3_EEENS1_16TensorSizeStrideIS8_Lj4EEEiS8_.has_dyn_sized_stack, 0
	.set _ZN2at6native12_GLOBAL__N_135CatArrayBatchedCopy_alignedK_contigINS1_10OpaqueTypeILj4EEEjLi3ELi64ELi64ELi8EEEvPT_NS1_25CatArrInputTensorMetadataIS5_T0_XT2_EXT3_EEENS1_16TensorSizeStrideIS8_Lj4EEEiS8_.has_recursion, 0
	.set _ZN2at6native12_GLOBAL__N_135CatArrayBatchedCopy_alignedK_contigINS1_10OpaqueTypeILj4EEEjLi3ELi64ELi64ELi8EEEvPT_NS1_25CatArrInputTensorMetadataIS5_T0_XT2_EXT3_EEENS1_16TensorSizeStrideIS8_Lj4EEEiS8_.has_indirect_call, 0
	.section	.AMDGPU.csdata,"",@progbits
; Kernel info:
; codeLenInByte = 1196
; TotalNumSgprs: 32
; NumVgprs: 21
; NumAgprs: 0
; TotalNumVgprs: 21
; ScratchSize: 0
; MemoryBound: 0
; FloatMode: 240
; IeeeMode: 1
; LDSByteSize: 0 bytes/workgroup (compile time only)
; SGPRBlocks: 3
; VGPRBlocks: 2
; NumSGPRsForWavesPerEU: 32
; NumVGPRsForWavesPerEU: 21
; AccumOffset: 24
; Occupancy: 8
; WaveLimiterHint : 1
; COMPUTE_PGM_RSRC2:SCRATCH_EN: 0
; COMPUTE_PGM_RSRC2:USER_SGPR: 2
; COMPUTE_PGM_RSRC2:TRAP_HANDLER: 0
; COMPUTE_PGM_RSRC2:TGID_X_EN: 1
; COMPUTE_PGM_RSRC2:TGID_Y_EN: 1
; COMPUTE_PGM_RSRC2:TGID_Z_EN: 0
; COMPUTE_PGM_RSRC2:TIDIG_COMP_CNT: 0
; COMPUTE_PGM_RSRC3_GFX90A:ACCUM_OFFSET: 5
; COMPUTE_PGM_RSRC3_GFX90A:TG_SPLIT: 0
	.section	.text._ZN2at6native12_GLOBAL__N_126CatArrayBatchedCopy_contigINS1_10OpaqueTypeILj4EEEjLi3ELi64ELi64EEEvPT_NS1_25CatArrInputTensorMetadataIS5_T0_XT2_EXT3_EEENS1_16TensorSizeStrideIS8_Lj4EEEiS8_,"axG",@progbits,_ZN2at6native12_GLOBAL__N_126CatArrayBatchedCopy_contigINS1_10OpaqueTypeILj4EEEjLi3ELi64ELi64EEEvPT_NS1_25CatArrInputTensorMetadataIS5_T0_XT2_EXT3_EEENS1_16TensorSizeStrideIS8_Lj4EEEiS8_,comdat
	.globl	_ZN2at6native12_GLOBAL__N_126CatArrayBatchedCopy_contigINS1_10OpaqueTypeILj4EEEjLi3ELi64ELi64EEEvPT_NS1_25CatArrInputTensorMetadataIS5_T0_XT2_EXT3_EEENS1_16TensorSizeStrideIS8_Lj4EEEiS8_ ; -- Begin function _ZN2at6native12_GLOBAL__N_126CatArrayBatchedCopy_contigINS1_10OpaqueTypeILj4EEEjLi3ELi64ELi64EEEvPT_NS1_25CatArrInputTensorMetadataIS5_T0_XT2_EXT3_EEENS1_16TensorSizeStrideIS8_Lj4EEEiS8_
	.p2align	8
	.type	_ZN2at6native12_GLOBAL__N_126CatArrayBatchedCopy_contigINS1_10OpaqueTypeILj4EEEjLi3ELi64ELi64EEEvPT_NS1_25CatArrInputTensorMetadataIS5_T0_XT2_EXT3_EEENS1_16TensorSizeStrideIS8_Lj4EEEiS8_,@function
_ZN2at6native12_GLOBAL__N_126CatArrayBatchedCopy_contigINS1_10OpaqueTypeILj4EEEjLi3ELi64ELi64EEEvPT_NS1_25CatArrInputTensorMetadataIS5_T0_XT2_EXT3_EEENS1_16TensorSizeStrideIS8_Lj4EEEiS8_: ; @_ZN2at6native12_GLOBAL__N_126CatArrayBatchedCopy_contigINS1_10OpaqueTypeILj4EEEjLi3ELi64ELi64EEEvPT_NS1_25CatArrInputTensorMetadataIS5_T0_XT2_EXT3_EEENS1_16TensorSizeStrideIS8_Lj4EEEiS8_
; %bb.0:
	s_mov_b32 s4, s3
	s_load_dword s3, s[0:1], 0xd7c
	s_add_u32 s10, s0, 0xd70
	s_mov_b32 s5, 0
	s_addc_u32 s11, s1, 0
	s_lshl_b64 s[8:9], s[4:5], 2
	s_waitcnt lgkmcnt(0)
	s_and_b32 s15, s3, 0xffff
	s_add_u32 s4, s0, s8
	s_addc_u32 s5, s1, s9
	s_load_dword s12, s[4:5], 0x408
	s_mul_i32 s2, s2, s15
	v_add_u32_e32 v0, s2, v0
	s_add_u32 s13, s4, 8
	s_addc_u32 s14, s5, 0
	s_waitcnt lgkmcnt(0)
	v_cmp_gt_u32_e32 vcc, s12, v0
	s_and_saveexec_b64 s[2:3], vcc
	s_cbranch_execz .LBB153_3
; %bb.1:
	s_load_dwordx2 s[16:17], s[0:1], 0xd68
	s_load_dwordx4 s[4:7], s[0:1], 0xd58
	s_load_dwordx2 s[2:3], s[0:1], 0x0
	s_load_dwordx2 s[18:19], s[0:1], 0xd4c
	s_add_u32 s0, s13, s8
	s_addc_u32 s1, s14, s9
	s_waitcnt lgkmcnt(0)
	s_sub_u32 s7, 0, s8
	s_subb_u32 s8, 0, s9
	s_add_u32 s20, s0, s7
	s_addc_u32 s21, s1, s8
	s_load_dwordx2 s[8:9], s[0:1], 0x0
	s_load_dword s22, s[20:21], 0x300
	s_load_dword s23, s[20:21], 0x200
	s_cmp_eq_u32 s16, 2
	s_load_dword s0, s[10:11], 0x0
	s_mov_b32 s13, s6
	s_waitcnt lgkmcnt(0)
	s_cselect_b32 s14, s22, s19
	v_cvt_f32_u32_e32 v1, s14
	s_cmp_eq_u32 s16, 1
	s_cselect_b32 s11, s22, s18
	v_cvt_f32_u32_e32 v2, s11
	v_rcp_iflag_f32_e32 v1, v1
	s_mul_i32 s15, s0, s15
	s_sub_i32 s0, 0, s14
	v_rcp_iflag_f32_e32 v2, v2
	v_mul_f32_e32 v1, 0x4f7ffffe, v1
	v_cvt_u32_f32_e32 v1, v1
	s_mov_b64 s[6:7], 0
	v_mul_f32_e32 v2, 0x4f7ffffe, v2
	v_cvt_u32_f32_e32 v4, v2
	v_mul_lo_u32 v3, s0, v1
	v_mul_hi_u32 v3, v1, v3
	s_sub_i32 s0, 0, s11
	v_add_u32_e32 v2, v1, v3
	v_mul_lo_u32 v3, s0, v4
	v_mul_hi_u32 v3, v4, v3
	s_mul_i32 s10, s23, s17
	v_mov_b32_e32 v1, 0
	v_add_u32_e32 v3, v4, v3
.LBB153_2:                              ; =>This Inner Loop Header: Depth=1
	v_lshl_add_u64 v[4:5], v[0:1], 2, s[8:9]
	global_load_dword v8, v[4:5], off
	v_mul_hi_u32 v4, v2, v0
	v_mul_lo_u32 v6, s14, v4
	v_not_b32_e32 v7, v4
	v_sub_u32_e32 v10, v0, v6
	v_add_u32_e32 v9, 1, v4
	v_mad_u64_u32 v[6:7], s[0:1], s14, v7, v[0:1]
	v_cmp_le_u32_e32 vcc, s14, v10
	v_mov_b32_e32 v5, v1
	s_nop 0
	v_cndmask_b32_e32 v4, v4, v9, vcc
	v_cndmask_b32_e32 v6, v10, v6, vcc
	v_add_u32_e32 v7, 1, v4
	v_cmp_le_u32_e32 vcc, s14, v6
	s_nop 1
	v_cndmask_b32_e32 v4, v4, v7, vcc
	v_mul_hi_u32 v6, v4, v3
	v_mul_lo_u32 v9, v6, s11
	v_sub_u32_e32 v9, v4, v9
	v_mul_lo_u32 v7, v4, s14
	v_add_u32_e32 v10, 1, v6
	v_cmp_le_u32_e64 s[0:1], s11, v9
	v_sub_u32_e32 v7, v0, v7
	v_add_u32_e32 v0, s15, v0
	v_cndmask_b32_e64 v6, v6, v10, s[0:1]
	v_subrev_u32_e32 v10, s11, v9
	v_cmp_le_u32_e32 vcc, s12, v0
	v_cndmask_b32_e64 v9, v9, v10, s[0:1]
	s_or_b64 s[6:7], vcc, s[6:7]
	v_add_u32_e32 v10, 1, v6
	v_cmp_le_u32_e32 vcc, s11, v9
	v_mul_lo_u32 v7, v7, s13
	s_nop 0
	v_cndmask_b32_e32 v6, v6, v10, vcc
	v_mul_lo_u32 v9, v6, s11
	v_mul_lo_u32 v6, v6, s4
	v_sub_u32_e32 v4, v4, v9
	v_add_u32_e32 v6, s10, v6
	v_mul_lo_u32 v4, v4, s5
	v_add3_u32 v4, v6, v7, v4
	v_lshl_add_u64 v[4:5], v[4:5], 2, s[2:3]
	s_waitcnt vmcnt(0)
	global_store_dword v[4:5], v8, off
	s_andn2_b64 exec, exec, s[6:7]
	s_cbranch_execnz .LBB153_2
.LBB153_3:
	s_endpgm
	.section	.rodata,"a",@progbits
	.p2align	6, 0x0
	.amdhsa_kernel _ZN2at6native12_GLOBAL__N_126CatArrayBatchedCopy_contigINS1_10OpaqueTypeILj4EEEjLi3ELi64ELi64EEEvPT_NS1_25CatArrInputTensorMetadataIS5_T0_XT2_EXT3_EEENS1_16TensorSizeStrideIS8_Lj4EEEiS8_
		.amdhsa_group_segment_fixed_size 0
		.amdhsa_private_segment_fixed_size 0
		.amdhsa_kernarg_size 3696
		.amdhsa_user_sgpr_count 2
		.amdhsa_user_sgpr_dispatch_ptr 0
		.amdhsa_user_sgpr_queue_ptr 0
		.amdhsa_user_sgpr_kernarg_segment_ptr 1
		.amdhsa_user_sgpr_dispatch_id 0
		.amdhsa_user_sgpr_kernarg_preload_length 0
		.amdhsa_user_sgpr_kernarg_preload_offset 0
		.amdhsa_user_sgpr_private_segment_size 0
		.amdhsa_uses_dynamic_stack 0
		.amdhsa_enable_private_segment 0
		.amdhsa_system_sgpr_workgroup_id_x 1
		.amdhsa_system_sgpr_workgroup_id_y 1
		.amdhsa_system_sgpr_workgroup_id_z 0
		.amdhsa_system_sgpr_workgroup_info 0
		.amdhsa_system_vgpr_workitem_id 0
		.amdhsa_next_free_vgpr 11
		.amdhsa_next_free_sgpr 24
		.amdhsa_accum_offset 12
		.amdhsa_reserve_vcc 1
		.amdhsa_float_round_mode_32 0
		.amdhsa_float_round_mode_16_64 0
		.amdhsa_float_denorm_mode_32 3
		.amdhsa_float_denorm_mode_16_64 3
		.amdhsa_dx10_clamp 1
		.amdhsa_ieee_mode 1
		.amdhsa_fp16_overflow 0
		.amdhsa_tg_split 0
		.amdhsa_exception_fp_ieee_invalid_op 0
		.amdhsa_exception_fp_denorm_src 0
		.amdhsa_exception_fp_ieee_div_zero 0
		.amdhsa_exception_fp_ieee_overflow 0
		.amdhsa_exception_fp_ieee_underflow 0
		.amdhsa_exception_fp_ieee_inexact 0
		.amdhsa_exception_int_div_zero 0
	.end_amdhsa_kernel
	.section	.text._ZN2at6native12_GLOBAL__N_126CatArrayBatchedCopy_contigINS1_10OpaqueTypeILj4EEEjLi3ELi64ELi64EEEvPT_NS1_25CatArrInputTensorMetadataIS5_T0_XT2_EXT3_EEENS1_16TensorSizeStrideIS8_Lj4EEEiS8_,"axG",@progbits,_ZN2at6native12_GLOBAL__N_126CatArrayBatchedCopy_contigINS1_10OpaqueTypeILj4EEEjLi3ELi64ELi64EEEvPT_NS1_25CatArrInputTensorMetadataIS5_T0_XT2_EXT3_EEENS1_16TensorSizeStrideIS8_Lj4EEEiS8_,comdat
.Lfunc_end153:
	.size	_ZN2at6native12_GLOBAL__N_126CatArrayBatchedCopy_contigINS1_10OpaqueTypeILj4EEEjLi3ELi64ELi64EEEvPT_NS1_25CatArrInputTensorMetadataIS5_T0_XT2_EXT3_EEENS1_16TensorSizeStrideIS8_Lj4EEEiS8_, .Lfunc_end153-_ZN2at6native12_GLOBAL__N_126CatArrayBatchedCopy_contigINS1_10OpaqueTypeILj4EEEjLi3ELi64ELi64EEEvPT_NS1_25CatArrInputTensorMetadataIS5_T0_XT2_EXT3_EEENS1_16TensorSizeStrideIS8_Lj4EEEiS8_
                                        ; -- End function
	.set _ZN2at6native12_GLOBAL__N_126CatArrayBatchedCopy_contigINS1_10OpaqueTypeILj4EEEjLi3ELi64ELi64EEEvPT_NS1_25CatArrInputTensorMetadataIS5_T0_XT2_EXT3_EEENS1_16TensorSizeStrideIS8_Lj4EEEiS8_.num_vgpr, 11
	.set _ZN2at6native12_GLOBAL__N_126CatArrayBatchedCopy_contigINS1_10OpaqueTypeILj4EEEjLi3ELi64ELi64EEEvPT_NS1_25CatArrInputTensorMetadataIS5_T0_XT2_EXT3_EEENS1_16TensorSizeStrideIS8_Lj4EEEiS8_.num_agpr, 0
	.set _ZN2at6native12_GLOBAL__N_126CatArrayBatchedCopy_contigINS1_10OpaqueTypeILj4EEEjLi3ELi64ELi64EEEvPT_NS1_25CatArrInputTensorMetadataIS5_T0_XT2_EXT3_EEENS1_16TensorSizeStrideIS8_Lj4EEEiS8_.numbered_sgpr, 24
	.set _ZN2at6native12_GLOBAL__N_126CatArrayBatchedCopy_contigINS1_10OpaqueTypeILj4EEEjLi3ELi64ELi64EEEvPT_NS1_25CatArrInputTensorMetadataIS5_T0_XT2_EXT3_EEENS1_16TensorSizeStrideIS8_Lj4EEEiS8_.num_named_barrier, 0
	.set _ZN2at6native12_GLOBAL__N_126CatArrayBatchedCopy_contigINS1_10OpaqueTypeILj4EEEjLi3ELi64ELi64EEEvPT_NS1_25CatArrInputTensorMetadataIS5_T0_XT2_EXT3_EEENS1_16TensorSizeStrideIS8_Lj4EEEiS8_.private_seg_size, 0
	.set _ZN2at6native12_GLOBAL__N_126CatArrayBatchedCopy_contigINS1_10OpaqueTypeILj4EEEjLi3ELi64ELi64EEEvPT_NS1_25CatArrInputTensorMetadataIS5_T0_XT2_EXT3_EEENS1_16TensorSizeStrideIS8_Lj4EEEiS8_.uses_vcc, 1
	.set _ZN2at6native12_GLOBAL__N_126CatArrayBatchedCopy_contigINS1_10OpaqueTypeILj4EEEjLi3ELi64ELi64EEEvPT_NS1_25CatArrInputTensorMetadataIS5_T0_XT2_EXT3_EEENS1_16TensorSizeStrideIS8_Lj4EEEiS8_.uses_flat_scratch, 0
	.set _ZN2at6native12_GLOBAL__N_126CatArrayBatchedCopy_contigINS1_10OpaqueTypeILj4EEEjLi3ELi64ELi64EEEvPT_NS1_25CatArrInputTensorMetadataIS5_T0_XT2_EXT3_EEENS1_16TensorSizeStrideIS8_Lj4EEEiS8_.has_dyn_sized_stack, 0
	.set _ZN2at6native12_GLOBAL__N_126CatArrayBatchedCopy_contigINS1_10OpaqueTypeILj4EEEjLi3ELi64ELi64EEEvPT_NS1_25CatArrInputTensorMetadataIS5_T0_XT2_EXT3_EEENS1_16TensorSizeStrideIS8_Lj4EEEiS8_.has_recursion, 0
	.set _ZN2at6native12_GLOBAL__N_126CatArrayBatchedCopy_contigINS1_10OpaqueTypeILj4EEEjLi3ELi64ELi64EEEvPT_NS1_25CatArrInputTensorMetadataIS5_T0_XT2_EXT3_EEENS1_16TensorSizeStrideIS8_Lj4EEEiS8_.has_indirect_call, 0
	.section	.AMDGPU.csdata,"",@progbits
; Kernel info:
; codeLenInByte = 572
; TotalNumSgprs: 30
; NumVgprs: 11
; NumAgprs: 0
; TotalNumVgprs: 11
; ScratchSize: 0
; MemoryBound: 0
; FloatMode: 240
; IeeeMode: 1
; LDSByteSize: 0 bytes/workgroup (compile time only)
; SGPRBlocks: 3
; VGPRBlocks: 1
; NumSGPRsForWavesPerEU: 30
; NumVGPRsForWavesPerEU: 11
; AccumOffset: 12
; Occupancy: 8
; WaveLimiterHint : 1
; COMPUTE_PGM_RSRC2:SCRATCH_EN: 0
; COMPUTE_PGM_RSRC2:USER_SGPR: 2
; COMPUTE_PGM_RSRC2:TRAP_HANDLER: 0
; COMPUTE_PGM_RSRC2:TGID_X_EN: 1
; COMPUTE_PGM_RSRC2:TGID_Y_EN: 1
; COMPUTE_PGM_RSRC2:TGID_Z_EN: 0
; COMPUTE_PGM_RSRC2:TIDIG_COMP_CNT: 0
; COMPUTE_PGM_RSRC3_GFX90A:ACCUM_OFFSET: 2
; COMPUTE_PGM_RSRC3_GFX90A:TG_SPLIT: 0
	.section	.text._ZN2at6native12_GLOBAL__N_119CatArrayBatchedCopyINS1_10OpaqueTypeILj4EEEjLi3ELi64ELi64EEEvPT_NS1_25CatArrInputTensorMetadataIS5_T0_XT2_EXT3_EEENS1_16TensorSizeStrideIS8_Lj4EEEiS8_,"axG",@progbits,_ZN2at6native12_GLOBAL__N_119CatArrayBatchedCopyINS1_10OpaqueTypeILj4EEEjLi3ELi64ELi64EEEvPT_NS1_25CatArrInputTensorMetadataIS5_T0_XT2_EXT3_EEENS1_16TensorSizeStrideIS8_Lj4EEEiS8_,comdat
	.globl	_ZN2at6native12_GLOBAL__N_119CatArrayBatchedCopyINS1_10OpaqueTypeILj4EEEjLi3ELi64ELi64EEEvPT_NS1_25CatArrInputTensorMetadataIS5_T0_XT2_EXT3_EEENS1_16TensorSizeStrideIS8_Lj4EEEiS8_ ; -- Begin function _ZN2at6native12_GLOBAL__N_119CatArrayBatchedCopyINS1_10OpaqueTypeILj4EEEjLi3ELi64ELi64EEEvPT_NS1_25CatArrInputTensorMetadataIS5_T0_XT2_EXT3_EEENS1_16TensorSizeStrideIS8_Lj4EEEiS8_
	.p2align	8
	.type	_ZN2at6native12_GLOBAL__N_119CatArrayBatchedCopyINS1_10OpaqueTypeILj4EEEjLi3ELi64ELi64EEEvPT_NS1_25CatArrInputTensorMetadataIS5_T0_XT2_EXT3_EEENS1_16TensorSizeStrideIS8_Lj4EEEiS8_,@function
_ZN2at6native12_GLOBAL__N_119CatArrayBatchedCopyINS1_10OpaqueTypeILj4EEEjLi3ELi64ELi64EEEvPT_NS1_25CatArrInputTensorMetadataIS5_T0_XT2_EXT3_EEENS1_16TensorSizeStrideIS8_Lj4EEEiS8_: ; @_ZN2at6native12_GLOBAL__N_119CatArrayBatchedCopyINS1_10OpaqueTypeILj4EEEjLi3ELi64ELi64EEEvPT_NS1_25CatArrInputTensorMetadataIS5_T0_XT2_EXT3_EEENS1_16TensorSizeStrideIS8_Lj4EEEiS8_
; %bb.0:
	s_load_dword s4, s[0:1], 0xd7c
	s_mov_b32 s8, s3
	s_or_b32 s3, s0, 8
	s_add_u32 s10, s0, 0xd70
	s_mov_b32 s9, 0
	s_addc_u32 s11, s1, 0
	s_waitcnt lgkmcnt(0)
	s_and_b32 s17, s4, 0xffff
	s_lshl_b64 s[14:15], s[8:9], 2
	s_add_u32 s4, s3, s14
	s_addc_u32 s5, s1, s15
	s_load_dword s16, s[4:5], 0x400
	s_mul_i32 s2, s2, s17
	v_add_u32_e32 v0, s2, v0
	s_waitcnt lgkmcnt(0)
	v_cmp_gt_u32_e32 vcc, s16, v0
	s_and_saveexec_b64 s[12:13], vcc
	s_cbranch_execz .LBB154_5
; %bb.1:
	s_mul_i32 s7, s8, 28
	s_mul_hi_u32 s2, s8, 28
	s_add_u32 s18, s4, s7
	s_addc_u32 s19, s5, s2
	s_add_u32 s20, s3, s8
	s_addc_u32 s21, s1, 0
	v_mov_b32_e32 v1, 0
	global_load_ubyte v2, v1, s[20:21] offset:1280
	s_load_dwordx2 s[22:23], s[0:1], 0xd68
	s_load_dwordx4 s[4:7], s[0:1], 0xd58
	s_load_dwordx2 s[2:3], s[0:1], 0x0
	s_load_dwordx2 s[24:25], s[0:1], 0xd4c
	s_waitcnt lgkmcnt(0)
	s_load_dword s7, s[10:11], 0x0
                                        ; kill: killed $sgpr0 killed $sgpr1
                                        ; kill: killed $sgpr10 killed $sgpr11
	s_mul_hi_u32 s26, s8, 7
	s_mul_i32 s27, s8, 7
	s_load_dwordx2 s[0:1], s[18:19], 0x544
	s_load_dwordx4 s[8:11], s[18:19], 0x550
	s_mov_b64 s[12:13], 0
	s_waitcnt lgkmcnt(0)
	s_mul_i32 s7, s7, s17
	s_waitcnt vmcnt(0)
	v_and_b32_e32 v2, 1, v2
	v_cmp_eq_u32_e32 vcc, 1, v2
	s_xor_b64 s[18:19], vcc, -1
	s_add_u32 s20, s20, s27
	s_addc_u32 s21, s21, s26
	s_sub_u32 s11, 0, s14
	s_subb_u32 s14, 0, s15
	s_add_u32 s26, s20, s11
	s_addc_u32 s27, s21, s14
	s_load_dwordx2 s[14:15], s[20:21], 0x0
	s_load_dword s11, s[26:27], 0x200
	s_load_dword s28, s[26:27], 0x300
	s_cmp_eq_u32 s22, 2
	v_cndmask_b32_e64 v2, 0, 1, s[18:19]
	s_waitcnt lgkmcnt(0)
	s_mul_i32 s11, s11, s23
	s_cselect_b32 s17, s28, s25
	s_cselect_b32 s18, s28, s1
	s_cmp_eq_u32 s22, 1
	s_cselect_b32 s19, s28, s24
	s_cselect_b32 s20, s28, s0
	v_cvt_f32_u32_e32 v3, s17
	v_cvt_f32_u32_e32 v4, s18
	;; [unrolled: 1-line block ×4, first 2 shown]
	v_rcp_iflag_f32_e32 v3, v3
	v_rcp_iflag_f32_e32 v4, v4
	v_rcp_iflag_f32_e32 v5, v5
	v_rcp_iflag_f32_e32 v6, v6
	v_mul_f32_e32 v3, 0x4f7ffffe, v3
	v_mul_f32_e32 v4, 0x4f7ffffe, v4
	v_cvt_u32_f32_e32 v3, v3
	v_mul_f32_e32 v5, 0x4f7ffffe, v5
	v_cvt_u32_f32_e32 v7, v4
	;; [unrolled: 2-line block ×3, first 2 shown]
	v_cvt_u32_f32_e32 v8, v4
	s_sub_i32 s21, 0, s17
	s_sub_i32 s22, 0, s18
	;; [unrolled: 1-line block ×4, first 2 shown]
	v_mul_lo_u32 v4, s21, v3
	v_mul_lo_u32 v5, s22, v7
	v_mul_hi_u32 v4, v3, v4
	v_mul_lo_u32 v9, s0, v6
	v_mul_hi_u32 v5, v7, v5
	v_mul_lo_u32 v10, s1, v8
	v_add_u32_e32 v4, v3, v4
	v_mul_hi_u32 v3, v6, v9
	v_add_u32_e32 v5, v7, v5
	v_mul_hi_u32 v7, v8, v10
	v_add_u32_e32 v6, v6, v3
	v_add_u32_e32 v7, v8, v7
	v_cmp_ne_u32_e64 s[0:1], 1, v2
	s_branch .LBB154_3
.LBB154_2:                              ;   in Loop: Header=BB154_3 Depth=1
	v_lshl_add_u64 v[2:3], v[2:3], 2, s[14:15]
	global_load_dword v10, v[2:3], off
	v_mul_hi_u32 v8, v4, v0
	v_mad_u64_u32 v[2:3], s[24:25], s21, v8, v[0:1]
	v_not_b32_e32 v9, v8
	v_add_u32_e32 v3, 1, v8
	v_cmp_le_u32_e32 vcc, s17, v2
	s_nop 1
	v_cndmask_b32_e32 v3, v8, v3, vcc
	v_mad_u64_u32 v[8:9], s[24:25], s17, v9, v[0:1]
	v_cndmask_b32_e32 v2, v2, v8, vcc
	v_add_u32_e32 v8, 1, v3
	v_cmp_le_u32_e32 vcc, s17, v2
	s_nop 1
	v_cndmask_b32_e32 v8, v3, v8, vcc
	v_mad_u64_u32 v[2:3], s[24:25], s21, v8, v[0:1]
	v_mul_hi_u32 v3, v8, v6
	v_mul_lo_u32 v9, v3, s19
	v_sub_u32_e32 v9, v8, v9
	v_add_u32_e32 v11, 1, v3
	v_cmp_le_u32_e32 vcc, s19, v9
	v_add_u32_e32 v0, s7, v0
	s_nop 0
	v_cndmask_b32_e32 v3, v3, v11, vcc
	v_subrev_u32_e32 v11, s19, v9
	v_cndmask_b32_e32 v9, v9, v11, vcc
	v_add_u32_e32 v11, 1, v3
	v_cmp_le_u32_e32 vcc, s19, v9
	s_nop 1
	v_cndmask_b32_e32 v3, v3, v11, vcc
	v_mul_lo_u32 v9, v3, s19
	v_sub_u32_e32 v8, v8, v9
	v_mul_lo_u32 v9, v8, s5
	v_mul_lo_u32 v8, v3, s4
	v_mad_u64_u32 v[2:3], s[24:25], v2, s6, v[8:9]
	v_add3_u32 v2, v2, v9, s11
	v_mov_b32_e32 v3, v1
	v_cmp_le_u32_e32 vcc, s16, v0
	v_lshl_add_u64 v[2:3], v[2:3], 2, s[2:3]
	s_or_b64 s[12:13], vcc, s[12:13]
	s_waitcnt vmcnt(0)
	global_store_dword v[2:3], v10, off
	s_andn2_b64 exec, exec, s[12:13]
	s_cbranch_execz .LBB154_5
.LBB154_3:                              ; =>This Inner Loop Header: Depth=1
	s_and_b64 vcc, exec, s[0:1]
	v_mov_b64_e32 v[2:3], v[0:1]
	s_cbranch_vccnz .LBB154_2
; %bb.4:                                ;   in Loop: Header=BB154_3 Depth=1
	v_mul_hi_u32 v8, v5, v0
	v_mad_u64_u32 v[2:3], s[24:25], s22, v8, v[0:1]
	v_not_b32_e32 v9, v8
	v_add_u32_e32 v3, 1, v8
	v_cmp_le_u32_e32 vcc, s18, v2
	s_nop 1
	v_cndmask_b32_e32 v3, v8, v3, vcc
	v_mad_u64_u32 v[8:9], s[24:25], s18, v9, v[0:1]
	v_cndmask_b32_e32 v2, v2, v8, vcc
	v_add_u32_e32 v8, 1, v3
	v_cmp_le_u32_e32 vcc, s18, v2
	s_nop 1
	v_cndmask_b32_e32 v8, v3, v8, vcc
	v_mad_u64_u32 v[2:3], s[24:25], s22, v8, v[0:1]
	v_mul_hi_u32 v3, v8, v7
	v_mul_lo_u32 v9, v3, s20
	v_sub_u32_e32 v9, v8, v9
	v_add_u32_e32 v10, 1, v3
	v_cmp_le_u32_e32 vcc, s20, v9
	v_mul_lo_u32 v2, v2, s10
	s_nop 0
	v_cndmask_b32_e32 v3, v3, v10, vcc
	v_subrev_u32_e32 v10, s20, v9
	v_cndmask_b32_e32 v9, v9, v10, vcc
	v_add_u32_e32 v10, 1, v3
	v_cmp_le_u32_e32 vcc, s20, v9
	s_nop 1
	v_cndmask_b32_e32 v3, v3, v10, vcc
	v_mul_lo_u32 v9, v3, s20
	v_sub_u32_e32 v8, v8, v9
	v_mul_lo_u32 v8, v8, s9
	v_mul_lo_u32 v3, v3, s8
	v_add3_u32 v2, v2, v3, v8
	v_mov_b32_e32 v3, v1
	s_branch .LBB154_2
.LBB154_5:
	s_endpgm
	.section	.rodata,"a",@progbits
	.p2align	6, 0x0
	.amdhsa_kernel _ZN2at6native12_GLOBAL__N_119CatArrayBatchedCopyINS1_10OpaqueTypeILj4EEEjLi3ELi64ELi64EEEvPT_NS1_25CatArrInputTensorMetadataIS5_T0_XT2_EXT3_EEENS1_16TensorSizeStrideIS8_Lj4EEEiS8_
		.amdhsa_group_segment_fixed_size 0
		.amdhsa_private_segment_fixed_size 0
		.amdhsa_kernarg_size 3696
		.amdhsa_user_sgpr_count 2
		.amdhsa_user_sgpr_dispatch_ptr 0
		.amdhsa_user_sgpr_queue_ptr 0
		.amdhsa_user_sgpr_kernarg_segment_ptr 1
		.amdhsa_user_sgpr_dispatch_id 0
		.amdhsa_user_sgpr_kernarg_preload_length 0
		.amdhsa_user_sgpr_kernarg_preload_offset 0
		.amdhsa_user_sgpr_private_segment_size 0
		.amdhsa_uses_dynamic_stack 0
		.amdhsa_enable_private_segment 0
		.amdhsa_system_sgpr_workgroup_id_x 1
		.amdhsa_system_sgpr_workgroup_id_y 1
		.amdhsa_system_sgpr_workgroup_id_z 0
		.amdhsa_system_sgpr_workgroup_info 0
		.amdhsa_system_vgpr_workitem_id 0
		.amdhsa_next_free_vgpr 12
		.amdhsa_next_free_sgpr 29
		.amdhsa_accum_offset 12
		.amdhsa_reserve_vcc 1
		.amdhsa_float_round_mode_32 0
		.amdhsa_float_round_mode_16_64 0
		.amdhsa_float_denorm_mode_32 3
		.amdhsa_float_denorm_mode_16_64 3
		.amdhsa_dx10_clamp 1
		.amdhsa_ieee_mode 1
		.amdhsa_fp16_overflow 0
		.amdhsa_tg_split 0
		.amdhsa_exception_fp_ieee_invalid_op 0
		.amdhsa_exception_fp_denorm_src 0
		.amdhsa_exception_fp_ieee_div_zero 0
		.amdhsa_exception_fp_ieee_overflow 0
		.amdhsa_exception_fp_ieee_underflow 0
		.amdhsa_exception_fp_ieee_inexact 0
		.amdhsa_exception_int_div_zero 0
	.end_amdhsa_kernel
	.section	.text._ZN2at6native12_GLOBAL__N_119CatArrayBatchedCopyINS1_10OpaqueTypeILj4EEEjLi3ELi64ELi64EEEvPT_NS1_25CatArrInputTensorMetadataIS5_T0_XT2_EXT3_EEENS1_16TensorSizeStrideIS8_Lj4EEEiS8_,"axG",@progbits,_ZN2at6native12_GLOBAL__N_119CatArrayBatchedCopyINS1_10OpaqueTypeILj4EEEjLi3ELi64ELi64EEEvPT_NS1_25CatArrInputTensorMetadataIS5_T0_XT2_EXT3_EEENS1_16TensorSizeStrideIS8_Lj4EEEiS8_,comdat
.Lfunc_end154:
	.size	_ZN2at6native12_GLOBAL__N_119CatArrayBatchedCopyINS1_10OpaqueTypeILj4EEEjLi3ELi64ELi64EEEvPT_NS1_25CatArrInputTensorMetadataIS5_T0_XT2_EXT3_EEENS1_16TensorSizeStrideIS8_Lj4EEEiS8_, .Lfunc_end154-_ZN2at6native12_GLOBAL__N_119CatArrayBatchedCopyINS1_10OpaqueTypeILj4EEEjLi3ELi64ELi64EEEvPT_NS1_25CatArrInputTensorMetadataIS5_T0_XT2_EXT3_EEENS1_16TensorSizeStrideIS8_Lj4EEEiS8_
                                        ; -- End function
	.set _ZN2at6native12_GLOBAL__N_119CatArrayBatchedCopyINS1_10OpaqueTypeILj4EEEjLi3ELi64ELi64EEEvPT_NS1_25CatArrInputTensorMetadataIS5_T0_XT2_EXT3_EEENS1_16TensorSizeStrideIS8_Lj4EEEiS8_.num_vgpr, 12
	.set _ZN2at6native12_GLOBAL__N_119CatArrayBatchedCopyINS1_10OpaqueTypeILj4EEEjLi3ELi64ELi64EEEvPT_NS1_25CatArrInputTensorMetadataIS5_T0_XT2_EXT3_EEENS1_16TensorSizeStrideIS8_Lj4EEEiS8_.num_agpr, 0
	.set _ZN2at6native12_GLOBAL__N_119CatArrayBatchedCopyINS1_10OpaqueTypeILj4EEEjLi3ELi64ELi64EEEvPT_NS1_25CatArrInputTensorMetadataIS5_T0_XT2_EXT3_EEENS1_16TensorSizeStrideIS8_Lj4EEEiS8_.numbered_sgpr, 29
	.set _ZN2at6native12_GLOBAL__N_119CatArrayBatchedCopyINS1_10OpaqueTypeILj4EEEjLi3ELi64ELi64EEEvPT_NS1_25CatArrInputTensorMetadataIS5_T0_XT2_EXT3_EEENS1_16TensorSizeStrideIS8_Lj4EEEiS8_.num_named_barrier, 0
	.set _ZN2at6native12_GLOBAL__N_119CatArrayBatchedCopyINS1_10OpaqueTypeILj4EEEjLi3ELi64ELi64EEEvPT_NS1_25CatArrInputTensorMetadataIS5_T0_XT2_EXT3_EEENS1_16TensorSizeStrideIS8_Lj4EEEiS8_.private_seg_size, 0
	.set _ZN2at6native12_GLOBAL__N_119CatArrayBatchedCopyINS1_10OpaqueTypeILj4EEEjLi3ELi64ELi64EEEvPT_NS1_25CatArrInputTensorMetadataIS5_T0_XT2_EXT3_EEENS1_16TensorSizeStrideIS8_Lj4EEEiS8_.uses_vcc, 1
	.set _ZN2at6native12_GLOBAL__N_119CatArrayBatchedCopyINS1_10OpaqueTypeILj4EEEjLi3ELi64ELi64EEEvPT_NS1_25CatArrInputTensorMetadataIS5_T0_XT2_EXT3_EEENS1_16TensorSizeStrideIS8_Lj4EEEiS8_.uses_flat_scratch, 0
	.set _ZN2at6native12_GLOBAL__N_119CatArrayBatchedCopyINS1_10OpaqueTypeILj4EEEjLi3ELi64ELi64EEEvPT_NS1_25CatArrInputTensorMetadataIS5_T0_XT2_EXT3_EEENS1_16TensorSizeStrideIS8_Lj4EEEiS8_.has_dyn_sized_stack, 0
	.set _ZN2at6native12_GLOBAL__N_119CatArrayBatchedCopyINS1_10OpaqueTypeILj4EEEjLi3ELi64ELi64EEEvPT_NS1_25CatArrInputTensorMetadataIS5_T0_XT2_EXT3_EEENS1_16TensorSizeStrideIS8_Lj4EEEiS8_.has_recursion, 0
	.set _ZN2at6native12_GLOBAL__N_119CatArrayBatchedCopyINS1_10OpaqueTypeILj4EEEjLi3ELi64ELi64EEEvPT_NS1_25CatArrInputTensorMetadataIS5_T0_XT2_EXT3_EEENS1_16TensorSizeStrideIS8_Lj4EEEiS8_.has_indirect_call, 0
	.section	.AMDGPU.csdata,"",@progbits
; Kernel info:
; codeLenInByte = 932
; TotalNumSgprs: 35
; NumVgprs: 12
; NumAgprs: 0
; TotalNumVgprs: 12
; ScratchSize: 0
; MemoryBound: 0
; FloatMode: 240
; IeeeMode: 1
; LDSByteSize: 0 bytes/workgroup (compile time only)
; SGPRBlocks: 4
; VGPRBlocks: 1
; NumSGPRsForWavesPerEU: 35
; NumVGPRsForWavesPerEU: 12
; AccumOffset: 12
; Occupancy: 8
; WaveLimiterHint : 1
; COMPUTE_PGM_RSRC2:SCRATCH_EN: 0
; COMPUTE_PGM_RSRC2:USER_SGPR: 2
; COMPUTE_PGM_RSRC2:TRAP_HANDLER: 0
; COMPUTE_PGM_RSRC2:TGID_X_EN: 1
; COMPUTE_PGM_RSRC2:TGID_Y_EN: 1
; COMPUTE_PGM_RSRC2:TGID_Z_EN: 0
; COMPUTE_PGM_RSRC2:TIDIG_COMP_CNT: 0
; COMPUTE_PGM_RSRC3_GFX90A:ACCUM_OFFSET: 2
; COMPUTE_PGM_RSRC3_GFX90A:TG_SPLIT: 0
	.section	.text._ZN2at6native12_GLOBAL__N_130CatArrayBatchedCopy_vectorizedINS1_10OpaqueTypeILj4EEEjLi4ELi64ELi64ELi16ELi4EEEvPcNS1_25CatArrInputTensorMetadataIT_T0_XT2_EXT3_EEENS1_16TensorSizeStrideIS8_Lj4EEEiS8_,"axG",@progbits,_ZN2at6native12_GLOBAL__N_130CatArrayBatchedCopy_vectorizedINS1_10OpaqueTypeILj4EEEjLi4ELi64ELi64ELi16ELi4EEEvPcNS1_25CatArrInputTensorMetadataIT_T0_XT2_EXT3_EEENS1_16TensorSizeStrideIS8_Lj4EEEiS8_,comdat
	.globl	_ZN2at6native12_GLOBAL__N_130CatArrayBatchedCopy_vectorizedINS1_10OpaqueTypeILj4EEEjLi4ELi64ELi64ELi16ELi4EEEvPcNS1_25CatArrInputTensorMetadataIT_T0_XT2_EXT3_EEENS1_16TensorSizeStrideIS8_Lj4EEEiS8_ ; -- Begin function _ZN2at6native12_GLOBAL__N_130CatArrayBatchedCopy_vectorizedINS1_10OpaqueTypeILj4EEEjLi4ELi64ELi64ELi16ELi4EEEvPcNS1_25CatArrInputTensorMetadataIT_T0_XT2_EXT3_EEENS1_16TensorSizeStrideIS8_Lj4EEEiS8_
	.p2align	8
	.type	_ZN2at6native12_GLOBAL__N_130CatArrayBatchedCopy_vectorizedINS1_10OpaqueTypeILj4EEEjLi4ELi64ELi64ELi16ELi4EEEvPcNS1_25CatArrInputTensorMetadataIT_T0_XT2_EXT3_EEENS1_16TensorSizeStrideIS8_Lj4EEEiS8_,@function
_ZN2at6native12_GLOBAL__N_130CatArrayBatchedCopy_vectorizedINS1_10OpaqueTypeILj4EEEjLi4ELi64ELi64ELi16ELi4EEEvPcNS1_25CatArrInputTensorMetadataIT_T0_XT2_EXT3_EEENS1_16TensorSizeStrideIS8_Lj4EEEiS8_: ; @_ZN2at6native12_GLOBAL__N_130CatArrayBatchedCopy_vectorizedINS1_10OpaqueTypeILj4EEEjLi4ELi64ELi64ELi16ELi4EEEvPcNS1_25CatArrInputTensorMetadataIT_T0_XT2_EXT3_EEENS1_16TensorSizeStrideIS8_Lj4EEEiS8_
; %bb.0:
	s_mov_b32 s12, s3
	s_load_dword s3, s[0:1], 0xd7c
	s_add_u32 s14, s0, 0xd70
	s_mov_b32 s13, 0
	s_addc_u32 s15, s1, 0
	s_lshl_b64 s[16:17], s[12:13], 2
	s_waitcnt lgkmcnt(0)
	s_and_b32 s19, s3, 0xffff
	s_add_u32 s4, s0, s16
	s_addc_u32 s5, s1, s17
	s_load_dword s6, s[4:5], 0x408
	s_mul_i32 s2, s2, s19
	v_add_u32_e32 v0, s2, v0
	s_add_u32 s2, s4, 8
	s_addc_u32 s3, s5, 0
	s_waitcnt lgkmcnt(0)
	s_lshr_b32 s18, s6, 2
	v_cmp_gt_u32_e32 vcc, s18, v0
	s_and_saveexec_b64 s[4:5], vcc
	s_cbranch_execz .LBB155_3
; %bb.1:
	s_add_u32 s2, s2, s16
	s_addc_u32 s3, s3, s17
	s_load_dwordx4 s[4:7], s[0:1], 0xd58
	s_load_dwordx2 s[20:21], s[0:1], 0xd68
	s_load_dwordx2 s[22:23], s[0:1], 0x0
	s_load_dwordx4 s[8:11], s[0:1], 0xd4c
	s_sub_u32 s0, 0, s16
	s_subb_u32 s1, 0, s17
	s_add_u32 s16, s2, s0
	s_addc_u32 s17, s3, s1
	s_waitcnt lgkmcnt(0)
	s_load_dword s11, s[16:17], 0x200
	s_load_dwordx2 s[0:1], s[2:3], 0x0
	s_load_dword s24, s[16:17], 0x300
	s_load_dword s25, s[14:15], 0x0
	s_mov_b64 s[2:3], 0
	s_waitcnt lgkmcnt(0)
	s_mul_i32 s11, s11, s21
	s_lshr_b32 s12, s11, 2
	s_mul_i32 s24, s24, s21
	s_lshr_b32 s16, s24, 2
	s_lshl_b64 s[14:15], s[12:13], 4
	s_cmp_eq_u32 s20, 3
	s_cselect_b32 s10, s16, s10
	v_cvt_f32_u32_e32 v1, s10
	s_cmp_eq_u32 s20, 2
	s_cselect_b32 s12, s16, s9
	s_cmp_eq_u32 s20, 1
	v_rcp_iflag_f32_e32 v1, v1
	v_cvt_f32_u32_e32 v2, s12
	s_cselect_b32 s13, s16, s8
	s_add_u32 s8, s22, s14
	v_mul_f32_e32 v1, 0x4f7ffffe, v1
	v_cvt_u32_f32_e32 v1, v1
	s_addc_u32 s9, s23, s15
	s_sub_i32 s14, 0, s10
	v_rcp_iflag_f32_e32 v4, v2
	v_mul_lo_u32 v3, s14, v1
	v_mul_hi_u32 v2, v1, v3
	v_cvt_f32_u32_e32 v3, s13
	v_add_u32_e32 v2, v1, v2
	v_mul_f32_e32 v1, 0x4f7ffffe, v4
	v_cvt_u32_f32_e32 v4, v1
	v_rcp_iflag_f32_e32 v3, v3
	s_sub_i32 s15, 0, s12
	s_mul_i32 s11, s25, s19
	v_mul_lo_u32 v5, s15, v4
	v_mul_f32_e32 v3, 0x4f7ffffe, v3
	v_cvt_u32_f32_e32 v6, v3
	v_mul_hi_u32 v3, v4, v5
	s_sub_i32 s15, 0, s13
	v_add_u32_e32 v3, v4, v3
	v_mul_lo_u32 v4, s15, v6
	v_mul_hi_u32 v4, v6, v4
	v_mov_b32_e32 v1, 0
	v_add_u32_e32 v4, v6, v4
.LBB155_2:                              ; =>This Inner Loop Header: Depth=1
	v_lshl_add_u64 v[6:7], v[0:1], 4, s[0:1]
	global_load_dwordx4 v[6:9], v[6:7], off
	v_mul_hi_u32 v5, v2, v0
	v_mul_lo_u32 v10, s10, v5
	v_not_b32_e32 v12, v5
	v_sub_u32_e32 v10, v0, v10
	v_add_u32_e32 v14, 1, v5
	v_mad_u64_u32 v[12:13], s[16:17], s10, v12, v[0:1]
	v_cmp_le_u32_e32 vcc, s10, v10
	v_mov_b32_e32 v11, v1
	s_nop 0
	v_cndmask_b32_e32 v5, v5, v14, vcc
	v_cndmask_b32_e32 v10, v10, v12, vcc
	v_add_u32_e32 v12, 1, v5
	v_cmp_le_u32_e32 vcc, s10, v10
	s_nop 1
	v_cndmask_b32_e32 v5, v5, v12, vcc
	v_mul_hi_u32 v14, v5, v3
	v_mad_u64_u32 v[12:13], s[16:17], s14, v5, v[0:1]
	v_add_u32_e32 v0, s11, v0
	v_mul_lo_u32 v13, v14, s12
	v_mul_lo_u32 v10, v12, s7
	v_cmp_le_u32_e32 vcc, s18, v0
	v_sub_u32_e32 v12, v5, v13
	v_add_u32_e32 v15, 1, v14
	s_or_b64 s[2:3], vcc, s[2:3]
	v_cmp_le_u32_e32 vcc, s12, v12
	s_nop 1
	v_cndmask_b32_e32 v13, v14, v15, vcc
	v_subrev_u32_e32 v14, s12, v12
	v_cndmask_b32_e32 v12, v12, v14, vcc
	v_add_u32_e32 v14, 1, v13
	v_cmp_le_u32_e32 vcc, s12, v12
	s_nop 1
	v_cndmask_b32_e32 v14, v13, v14, vcc
	v_mul_lo_u32 v12, v14, s12
	v_mul_hi_u32 v13, v14, v4
	v_sub_u32_e32 v5, v5, v12
	v_mul_lo_u32 v12, v13, s13
	v_sub_u32_e32 v12, v14, v12
	v_add_u32_e32 v15, 1, v13
	v_cmp_le_u32_e32 vcc, s13, v12
	v_mul_lo_u32 v5, v5, s6
	s_nop 0
	v_cndmask_b32_e32 v13, v13, v15, vcc
	v_subrev_u32_e32 v15, s13, v12
	v_cndmask_b32_e32 v12, v12, v15, vcc
	v_add_u32_e32 v15, 1, v13
	v_cmp_le_u32_e32 vcc, s13, v12
	s_nop 1
	v_cndmask_b32_e32 v12, v13, v15, vcc
	v_mul_lo_u32 v15, v12, s13
	v_mad_u64_u32 v[12:13], s[16:17], v12, s4, v[10:11]
	v_sub_u32_e32 v10, v14, v15
	v_mul_lo_u32 v10, v10, s5
	v_add3_u32 v10, v12, v5, v10
	v_lshl_add_u64 v[10:11], v[10:11], 4, s[8:9]
	s_waitcnt vmcnt(0)
	global_store_dwordx4 v[10:11], v[6:9], off
	s_andn2_b64 exec, exec, s[2:3]
	s_cbranch_execnz .LBB155_2
.LBB155_3:
	s_endpgm
	.section	.rodata,"a",@progbits
	.p2align	6, 0x0
	.amdhsa_kernel _ZN2at6native12_GLOBAL__N_130CatArrayBatchedCopy_vectorizedINS1_10OpaqueTypeILj4EEEjLi4ELi64ELi64ELi16ELi4EEEvPcNS1_25CatArrInputTensorMetadataIT_T0_XT2_EXT3_EEENS1_16TensorSizeStrideIS8_Lj4EEEiS8_
		.amdhsa_group_segment_fixed_size 0
		.amdhsa_private_segment_fixed_size 0
		.amdhsa_kernarg_size 3696
		.amdhsa_user_sgpr_count 2
		.amdhsa_user_sgpr_dispatch_ptr 0
		.amdhsa_user_sgpr_queue_ptr 0
		.amdhsa_user_sgpr_kernarg_segment_ptr 1
		.amdhsa_user_sgpr_dispatch_id 0
		.amdhsa_user_sgpr_kernarg_preload_length 0
		.amdhsa_user_sgpr_kernarg_preload_offset 0
		.amdhsa_user_sgpr_private_segment_size 0
		.amdhsa_uses_dynamic_stack 0
		.amdhsa_enable_private_segment 0
		.amdhsa_system_sgpr_workgroup_id_x 1
		.amdhsa_system_sgpr_workgroup_id_y 1
		.amdhsa_system_sgpr_workgroup_id_z 0
		.amdhsa_system_sgpr_workgroup_info 0
		.amdhsa_system_vgpr_workitem_id 0
		.amdhsa_next_free_vgpr 16
		.amdhsa_next_free_sgpr 26
		.amdhsa_accum_offset 16
		.amdhsa_reserve_vcc 1
		.amdhsa_float_round_mode_32 0
		.amdhsa_float_round_mode_16_64 0
		.amdhsa_float_denorm_mode_32 3
		.amdhsa_float_denorm_mode_16_64 3
		.amdhsa_dx10_clamp 1
		.amdhsa_ieee_mode 1
		.amdhsa_fp16_overflow 0
		.amdhsa_tg_split 0
		.amdhsa_exception_fp_ieee_invalid_op 0
		.amdhsa_exception_fp_denorm_src 0
		.amdhsa_exception_fp_ieee_div_zero 0
		.amdhsa_exception_fp_ieee_overflow 0
		.amdhsa_exception_fp_ieee_underflow 0
		.amdhsa_exception_fp_ieee_inexact 0
		.amdhsa_exception_int_div_zero 0
	.end_amdhsa_kernel
	.section	.text._ZN2at6native12_GLOBAL__N_130CatArrayBatchedCopy_vectorizedINS1_10OpaqueTypeILj4EEEjLi4ELi64ELi64ELi16ELi4EEEvPcNS1_25CatArrInputTensorMetadataIT_T0_XT2_EXT3_EEENS1_16TensorSizeStrideIS8_Lj4EEEiS8_,"axG",@progbits,_ZN2at6native12_GLOBAL__N_130CatArrayBatchedCopy_vectorizedINS1_10OpaqueTypeILj4EEEjLi4ELi64ELi64ELi16ELi4EEEvPcNS1_25CatArrInputTensorMetadataIT_T0_XT2_EXT3_EEENS1_16TensorSizeStrideIS8_Lj4EEEiS8_,comdat
.Lfunc_end155:
	.size	_ZN2at6native12_GLOBAL__N_130CatArrayBatchedCopy_vectorizedINS1_10OpaqueTypeILj4EEEjLi4ELi64ELi64ELi16ELi4EEEvPcNS1_25CatArrInputTensorMetadataIT_T0_XT2_EXT3_EEENS1_16TensorSizeStrideIS8_Lj4EEEiS8_, .Lfunc_end155-_ZN2at6native12_GLOBAL__N_130CatArrayBatchedCopy_vectorizedINS1_10OpaqueTypeILj4EEEjLi4ELi64ELi64ELi16ELi4EEEvPcNS1_25CatArrInputTensorMetadataIT_T0_XT2_EXT3_EEENS1_16TensorSizeStrideIS8_Lj4EEEiS8_
                                        ; -- End function
	.set _ZN2at6native12_GLOBAL__N_130CatArrayBatchedCopy_vectorizedINS1_10OpaqueTypeILj4EEEjLi4ELi64ELi64ELi16ELi4EEEvPcNS1_25CatArrInputTensorMetadataIT_T0_XT2_EXT3_EEENS1_16TensorSizeStrideIS8_Lj4EEEiS8_.num_vgpr, 16
	.set _ZN2at6native12_GLOBAL__N_130CatArrayBatchedCopy_vectorizedINS1_10OpaqueTypeILj4EEEjLi4ELi64ELi64ELi16ELi4EEEvPcNS1_25CatArrInputTensorMetadataIT_T0_XT2_EXT3_EEENS1_16TensorSizeStrideIS8_Lj4EEEiS8_.num_agpr, 0
	.set _ZN2at6native12_GLOBAL__N_130CatArrayBatchedCopy_vectorizedINS1_10OpaqueTypeILj4EEEjLi4ELi64ELi64ELi16ELi4EEEvPcNS1_25CatArrInputTensorMetadataIT_T0_XT2_EXT3_EEENS1_16TensorSizeStrideIS8_Lj4EEEiS8_.numbered_sgpr, 26
	.set _ZN2at6native12_GLOBAL__N_130CatArrayBatchedCopy_vectorizedINS1_10OpaqueTypeILj4EEEjLi4ELi64ELi64ELi16ELi4EEEvPcNS1_25CatArrInputTensorMetadataIT_T0_XT2_EXT3_EEENS1_16TensorSizeStrideIS8_Lj4EEEiS8_.num_named_barrier, 0
	.set _ZN2at6native12_GLOBAL__N_130CatArrayBatchedCopy_vectorizedINS1_10OpaqueTypeILj4EEEjLi4ELi64ELi64ELi16ELi4EEEvPcNS1_25CatArrInputTensorMetadataIT_T0_XT2_EXT3_EEENS1_16TensorSizeStrideIS8_Lj4EEEiS8_.private_seg_size, 0
	.set _ZN2at6native12_GLOBAL__N_130CatArrayBatchedCopy_vectorizedINS1_10OpaqueTypeILj4EEEjLi4ELi64ELi64ELi16ELi4EEEvPcNS1_25CatArrInputTensorMetadataIT_T0_XT2_EXT3_EEENS1_16TensorSizeStrideIS8_Lj4EEEiS8_.uses_vcc, 1
	.set _ZN2at6native12_GLOBAL__N_130CatArrayBatchedCopy_vectorizedINS1_10OpaqueTypeILj4EEEjLi4ELi64ELi64ELi16ELi4EEEvPcNS1_25CatArrInputTensorMetadataIT_T0_XT2_EXT3_EEENS1_16TensorSizeStrideIS8_Lj4EEEiS8_.uses_flat_scratch, 0
	.set _ZN2at6native12_GLOBAL__N_130CatArrayBatchedCopy_vectorizedINS1_10OpaqueTypeILj4EEEjLi4ELi64ELi64ELi16ELi4EEEvPcNS1_25CatArrInputTensorMetadataIT_T0_XT2_EXT3_EEENS1_16TensorSizeStrideIS8_Lj4EEEiS8_.has_dyn_sized_stack, 0
	.set _ZN2at6native12_GLOBAL__N_130CatArrayBatchedCopy_vectorizedINS1_10OpaqueTypeILj4EEEjLi4ELi64ELi64ELi16ELi4EEEvPcNS1_25CatArrInputTensorMetadataIT_T0_XT2_EXT3_EEENS1_16TensorSizeStrideIS8_Lj4EEEiS8_.has_recursion, 0
	.set _ZN2at6native12_GLOBAL__N_130CatArrayBatchedCopy_vectorizedINS1_10OpaqueTypeILj4EEEjLi4ELi64ELi64ELi16ELi4EEEvPcNS1_25CatArrInputTensorMetadataIT_T0_XT2_EXT3_EEENS1_16TensorSizeStrideIS8_Lj4EEEiS8_.has_indirect_call, 0
	.section	.AMDGPU.csdata,"",@progbits
; Kernel info:
; codeLenInByte = 712
; TotalNumSgprs: 32
; NumVgprs: 16
; NumAgprs: 0
; TotalNumVgprs: 16
; ScratchSize: 0
; MemoryBound: 0
; FloatMode: 240
; IeeeMode: 1
; LDSByteSize: 0 bytes/workgroup (compile time only)
; SGPRBlocks: 3
; VGPRBlocks: 1
; NumSGPRsForWavesPerEU: 32
; NumVGPRsForWavesPerEU: 16
; AccumOffset: 16
; Occupancy: 8
; WaveLimiterHint : 1
; COMPUTE_PGM_RSRC2:SCRATCH_EN: 0
; COMPUTE_PGM_RSRC2:USER_SGPR: 2
; COMPUTE_PGM_RSRC2:TRAP_HANDLER: 0
; COMPUTE_PGM_RSRC2:TGID_X_EN: 1
; COMPUTE_PGM_RSRC2:TGID_Y_EN: 1
; COMPUTE_PGM_RSRC2:TGID_Z_EN: 0
; COMPUTE_PGM_RSRC2:TIDIG_COMP_CNT: 0
; COMPUTE_PGM_RSRC3_GFX90A:ACCUM_OFFSET: 3
; COMPUTE_PGM_RSRC3_GFX90A:TG_SPLIT: 0
	.section	.text._ZN2at6native12_GLOBAL__N_135CatArrayBatchedCopy_alignedK_contigINS1_10OpaqueTypeILj4EEEjLi4ELi64ELi64ELi16EEEvPT_NS1_25CatArrInputTensorMetadataIS5_T0_XT2_EXT3_EEENS1_16TensorSizeStrideIS8_Lj4EEEiS8_,"axG",@progbits,_ZN2at6native12_GLOBAL__N_135CatArrayBatchedCopy_alignedK_contigINS1_10OpaqueTypeILj4EEEjLi4ELi64ELi64ELi16EEEvPT_NS1_25CatArrInputTensorMetadataIS5_T0_XT2_EXT3_EEENS1_16TensorSizeStrideIS8_Lj4EEEiS8_,comdat
	.globl	_ZN2at6native12_GLOBAL__N_135CatArrayBatchedCopy_alignedK_contigINS1_10OpaqueTypeILj4EEEjLi4ELi64ELi64ELi16EEEvPT_NS1_25CatArrInputTensorMetadataIS5_T0_XT2_EXT3_EEENS1_16TensorSizeStrideIS8_Lj4EEEiS8_ ; -- Begin function _ZN2at6native12_GLOBAL__N_135CatArrayBatchedCopy_alignedK_contigINS1_10OpaqueTypeILj4EEEjLi4ELi64ELi64ELi16EEEvPT_NS1_25CatArrInputTensorMetadataIS5_T0_XT2_EXT3_EEENS1_16TensorSizeStrideIS8_Lj4EEEiS8_
	.p2align	8
	.type	_ZN2at6native12_GLOBAL__N_135CatArrayBatchedCopy_alignedK_contigINS1_10OpaqueTypeILj4EEEjLi4ELi64ELi64ELi16EEEvPT_NS1_25CatArrInputTensorMetadataIS5_T0_XT2_EXT3_EEENS1_16TensorSizeStrideIS8_Lj4EEEiS8_,@function
_ZN2at6native12_GLOBAL__N_135CatArrayBatchedCopy_alignedK_contigINS1_10OpaqueTypeILj4EEEjLi4ELi64ELi64ELi16EEEvPT_NS1_25CatArrInputTensorMetadataIS5_T0_XT2_EXT3_EEENS1_16TensorSizeStrideIS8_Lj4EEEiS8_: ; @_ZN2at6native12_GLOBAL__N_135CatArrayBatchedCopy_alignedK_contigINS1_10OpaqueTypeILj4EEEjLi4ELi64ELi64ELi16EEEvPT_NS1_25CatArrInputTensorMetadataIS5_T0_XT2_EXT3_EEENS1_16TensorSizeStrideIS8_Lj4EEEiS8_
; %bb.0:
	s_mov_b32 s6, s3
	s_load_dword s3, s[0:1], 0xd7c
	s_add_u32 s4, s0, 0xd70
	s_mov_b32 s7, 0
	s_addc_u32 s5, s1, 0
	s_lshl_b64 s[8:9], s[6:7], 2
	s_waitcnt lgkmcnt(0)
	s_and_b32 s3, s3, 0xffff
	s_add_u32 s6, s0, s8
	s_addc_u32 s7, s1, s9
	s_load_dword s22, s[6:7], 0x408
	s_mul_i32 s2, s2, s3
	v_add_lshl_u32 v4, s2, v0, 2
	s_add_u32 s2, s6, 8
	s_addc_u32 s10, s7, 0
	s_waitcnt lgkmcnt(0)
	v_cmp_gt_u32_e32 vcc, s22, v4
	s_and_saveexec_b64 s[6:7], vcc
	s_cbranch_execz .LBB156_8
; %bb.1:
	s_add_u32 s18, s2, s8
	s_addc_u32 s19, s10, s9
	s_sub_u32 s2, 0, s8
	s_load_dwordx2 s[6:7], s[0:1], 0x0
	s_subb_u32 s8, 0, s9
	s_add_u32 s20, s18, s2
	s_addc_u32 s21, s19, s8
	s_load_dword s2, s[0:1], 0xd6c
	s_load_dword s23, s[20:21], 0x200
	s_load_dwordx8 s[8:15], s[0:1], 0xd4c
	s_load_dwordx2 s[16:17], s[18:19], 0x0
	s_load_dword s24, s[20:21], 0x300
	v_add_u32_e32 v0, 4, v4
	s_mov_b64 s[18:19], 0
	s_waitcnt lgkmcnt(0)
	s_mul_i32 s23, s23, s2
	v_cmp_ge_u32_e32 vcc, s22, v0
	s_and_saveexec_b64 s[20:21], vcc
	s_cbranch_execz .LBB156_5
; %bb.2:
	s_load_dword s0, s[4:5], 0x0
	v_mov_b32_e32 v5, 0
	v_add_u32_e32 v17, 3, v4
	v_add_u32_e32 v18, 2, v4
	;; [unrolled: 1-line block ×3, first 2 shown]
	s_waitcnt lgkmcnt(0)
	s_mul_i32 s0, s0, s3
	s_lshl_b32 s25, s0, 2
	s_cmp_eq_u32 s15, 3
	s_cselect_b32 s26, s24, s10
	s_cmp_eq_u32 s15, 2
	v_cvt_f32_u32_e32 v0, s26
	s_cselect_b32 s27, s24, s9
	s_cmp_eq_u32 s15, 1
	v_cvt_f32_u32_e32 v1, s27
	s_cselect_b32 s28, s24, s8
	v_rcp_iflag_f32_e32 v0, v0
	v_cvt_f32_u32_e32 v2, s28
	v_rcp_iflag_f32_e32 v1, v1
	s_sub_i32 s29, 0, s26
	v_mul_f32_e32 v0, 0x4f7ffffe, v0
	v_rcp_iflag_f32_e32 v2, v2
	v_cvt_u32_f32_e32 v0, v0
	v_mul_f32_e32 v1, 0x4f7ffffe, v1
	v_cvt_u32_f32_e32 v1, v1
	v_mul_f32_e32 v2, 0x4f7ffffe, v2
	v_mul_lo_u32 v3, s29, v0
	v_cvt_u32_f32_e32 v2, v2
	s_sub_i32 s0, 0, s27
	v_mul_hi_u32 v3, v0, v3
	v_add_u32_e32 v14, v0, v3
	v_mul_lo_u32 v0, s0, v1
	v_mul_hi_u32 v0, v1, v0
	s_sub_i32 s0, 0, s28
	v_add_u32_e32 v15, v1, v0
	v_mul_lo_u32 v0, s0, v2
	v_mul_hi_u32 v0, v2, v0
	v_add_u32_e32 v16, v2, v0
.LBB156_3:                              ; =>This Inner Loop Header: Depth=1
	v_mul_hi_u32 v2, v14, v17
	v_mul_hi_u32 v3, v14, v18
	v_add_u32_e32 v8, 2, v4
	v_add_u32_e32 v10, 3, v4
	v_lshl_add_u64 v[0:1], v[4:5], 2, s[16:17]
	v_mov_b32_e32 v9, v5
	v_mov_b32_e32 v11, v5
	v_not_b32_e32 v34, v2
	v_not_b32_e32 v32, v3
	v_mad_u64_u32 v[24:25], s[0:1], s29, v3, v[8:9]
	v_mad_u64_u32 v[26:27], s[0:1], s29, v2, v[10:11]
	global_load_dwordx4 v[0:3], v[0:1], off
	v_mul_hi_u32 v12, v14, v4
	v_mul_hi_u32 v22, v14, v19
	v_add_u32_e32 v6, 1, v4
	v_mov_b32_e32 v7, v5
	v_not_b32_e32 v28, v12
	v_mad_u64_u32 v[20:21], s[0:1], s29, v12, v[4:5]
	v_not_b32_e32 v30, v22
	v_add_u32_e32 v21, 1, v12
	v_mad_u64_u32 v[22:23], s[0:1], s29, v22, v[6:7]
	v_cmp_le_u32_e32 vcc, s26, v20
	v_mad_u64_u32 v[28:29], s[0:1], s26, v28, v[4:5]
	v_mul_hi_u32 v36, v6, v14
	v_mul_hi_u32 v23, v8, v14
	;; [unrolled: 1-line block ×3, first 2 shown]
	v_cndmask_b32_e32 v12, v12, v21, vcc
	v_mad_u64_u32 v[30:31], s[2:3], s26, v30, v[6:7]
	v_mad_u64_u32 v[32:33], s[4:5], s26, v32, v[8:9]
	v_cndmask_b32_e32 v20, v20, v28, vcc
	v_add_u32_e32 v21, 1, v36
	v_cmp_le_u32_e64 s[0:1], s26, v22
	v_add_u32_e32 v6, 1, v23
	v_cmp_le_u32_e64 s[2:3], s26, v24
	v_add_u32_e32 v27, 1, v25
	v_cmp_le_u32_e64 s[4:5], s26, v26
	v_mad_u64_u32 v[34:35], s[30:31], s26, v34, v[10:11]
	v_add_u32_e32 v28, 1, v12
	v_cmp_le_u32_e32 vcc, s26, v20
	v_cndmask_b32_e64 v29, v36, v21, s[0:1]
	v_cndmask_b32_e64 v21, v22, v30, s[0:1]
	;; [unrolled: 1-line block ×6, first 2 shown]
	v_cndmask_b32_e32 v12, v12, v28, vcc
	v_add_u32_e32 v25, 1, v29
	v_cmp_le_u32_e32 vcc, s26, v21
	v_add_u32_e32 v26, 1, v6
	v_cmp_le_u32_e64 s[0:1], s26, v22
	v_add_u32_e32 v22, 1, v23
	v_cmp_le_u32_e64 s[2:3], s26, v24
	v_mul_hi_u32 v27, v12, v15
	v_mad_u64_u32 v[20:21], s[4:5], s29, v12, v[4:5]
	v_cndmask_b32_e32 v28, v29, v25, vcc
	v_cndmask_b32_e64 v6, v6, v26, s[0:1]
	v_cndmask_b32_e64 v26, v23, v22, s[2:3]
	v_mul_lo_u32 v29, v27, s27
	v_mul_lo_u32 v31, v20, s14
	v_mul_hi_u32 v32, v28, v15
	v_mad_u64_u32 v[20:21], s[0:1], s29, v28, v[4:5]
	v_mad_u64_u32 v[22:23], s[0:1], s29, v6, v[8:9]
	;; [unrolled: 1-line block ×3, first 2 shown]
	v_sub_u32_e32 v10, v12, v29
	v_add_u32_e32 v30, 1, v27
	v_mul_hi_u32 v21, v6, v15
	v_mul_hi_u32 v8, v26, v15
	v_add_u32_e32 v4, s25, v4
	v_mul_lo_u32 v23, v32, s27
	v_cmp_le_u32_e32 vcc, s27, v10
	v_mul_lo_u32 v29, v21, s27
	v_mul_lo_u32 v34, v8, s27
	v_add_u32_e32 v36, 4, v4
	v_cndmask_b32_e32 v27, v27, v30, vcc
	v_subrev_u32_e32 v30, s27, v10
	v_sub_u32_e32 v23, v28, v23
	v_add_u32_e32 v25, 1, v32
	v_sub_u32_e32 v29, v6, v29
	v_sub_u32_e32 v34, v26, v34
	v_cmp_lt_u32_e64 s[0:1], s22, v36
	v_cndmask_b32_e32 v10, v10, v30, vcc
	v_cmp_le_u32_e32 vcc, s27, v23
	v_add_u32_e32 v33, 1, v21
	v_add_u32_e32 v35, 1, v8
	;; [unrolled: 1-line block ×3, first 2 shown]
	v_cndmask_b32_e32 v25, v32, v25, vcc
	v_subrev_u32_e32 v32, s27, v23
	v_cmp_le_u32_e64 s[2:3], s27, v29
	v_cmp_le_u32_e64 s[4:5], s27, v34
	s_or_b64 s[18:19], s[0:1], s[18:19]
	v_cmp_le_u32_e64 s[0:1], s27, v10
	v_cndmask_b32_e64 v21, v21, v33, s[2:3]
	v_subrev_u32_e32 v33, s27, v29
	v_cndmask_b32_e64 v8, v8, v35, s[4:5]
	v_subrev_u32_e32 v35, s27, v34
	v_cndmask_b32_e64 v10, v27, v30, s[0:1]
	v_cndmask_b32_e32 v23, v23, v32, vcc
	v_add_u32_e32 v27, 1, v25
	v_cndmask_b32_e64 v29, v29, v33, s[2:3]
	v_cndmask_b32_e64 v32, v34, v35, s[4:5]
	v_mul_hi_u32 v35, v10, v16
	v_cmp_le_u32_e32 vcc, s27, v23
	v_add_u32_e32 v30, 1, v21
	v_add_u32_e32 v33, 1, v8
	v_cndmask_b32_e32 v23, v25, v27, vcc
	v_cmp_le_u32_e32 vcc, s27, v29
	v_mul_lo_u32 v25, v35, s28
	v_mul_lo_u32 v29, v23, s27
	v_cndmask_b32_e32 v21, v21, v30, vcc
	v_cmp_le_u32_e32 vcc, s27, v32
	v_mul_hi_u32 v30, v23, v16
	v_sub_u32_e32 v25, v10, v25
	v_mul_lo_u32 v34, v10, s27
	v_cndmask_b32_e32 v8, v8, v33, vcc
	v_add_u32_e32 v27, 1, v35
	v_mul_lo_u32 v32, v21, s27
	v_mul_hi_u32 v33, v21, v16
	v_sub_u32_e32 v28, v28, v29
	v_mul_lo_u32 v29, v30, s28
	v_cmp_le_u32_e32 vcc, s28, v25
	v_sub_u32_e32 v12, v12, v34
	v_mul_lo_u32 v34, v8, s27
	v_mul_hi_u32 v36, v8, v16
	v_sub_u32_e32 v6, v6, v32
	v_mul_lo_u32 v32, v33, s28
	v_cndmask_b32_e32 v27, v35, v27, vcc
	v_subrev_u32_e32 v35, s28, v25
	v_sub_u32_e32 v29, v23, v29
	v_add_u32_e32 v37, 1, v30
	v_sub_u32_e32 v26, v26, v34
	v_mul_lo_u32 v34, v36, s28
	v_sub_u32_e32 v32, v21, v32
	v_cndmask_b32_e32 v25, v25, v35, vcc
	v_cmp_le_u32_e32 vcc, s28, v29
	v_add_u32_e32 v38, 1, v33
	v_sub_u32_e32 v34, v8, v34
	v_add_u32_e32 v35, 1, v27
	v_cndmask_b32_e32 v30, v30, v37, vcc
	v_subrev_u32_e32 v37, s28, v29
	v_cmp_le_u32_e64 s[0:1], s28, v32
	v_cmp_le_u32_e64 s[4:5], s28, v25
	v_add_u32_e32 v39, 1, v36
	v_cndmask_b32_e64 v33, v33, v38, s[0:1]
	v_subrev_u32_e32 v38, s28, v32
	v_cmp_le_u32_e64 s[2:3], s28, v34
	v_cndmask_b32_e64 v25, v27, v35, s[4:5]
	v_cndmask_b32_e32 v27, v29, v37, vcc
	v_cndmask_b32_e64 v36, v36, v39, s[2:3]
	v_subrev_u32_e32 v39, s28, v34
	v_add_u32_e32 v29, 1, v30
	v_cndmask_b32_e64 v32, v32, v38, s[0:1]
	v_cmp_le_u32_e32 vcc, s28, v27
	v_add_u32_e32 v35, 1, v33
	v_cndmask_b32_e64 v34, v34, v39, s[2:3]
	v_cndmask_b32_e32 v27, v30, v29, vcc
	v_cmp_le_u32_e32 vcc, s28, v32
	v_add_u32_e32 v37, 1, v36
	v_mul_lo_u32 v12, v12, s13
	v_cndmask_b32_e32 v29, v33, v35, vcc
	v_cmp_le_u32_e32 vcc, s28, v34
	v_mul_lo_u32 v38, v25, s28
	v_mul_lo_u32 v25, v25, s11
	v_cndmask_b32_e32 v30, v36, v37, vcc
	v_mul_lo_u32 v20, s14, v20
	v_mul_lo_u32 v22, v22, s14
	;; [unrolled: 1-line block ×3, first 2 shown]
	v_sub_u32_e32 v10, v10, v38
	v_add3_u32 v12, v25, v31, v12
	v_mul_lo_u32 v25, v27, s28
	v_mul_lo_u32 v31, v29, s28
	;; [unrolled: 1-line block ×5, first 2 shown]
	v_add_u32_e32 v20, s14, v20
	v_mul_lo_u32 v28, v28, s13
	v_mul_lo_u32 v26, v26, s13
	;; [unrolled: 1-line block ×5, first 2 shown]
	v_sub_u32_e32 v23, v23, v25
	v_sub_u32_e32 v21, v21, v31
	v_add3_u32 v22, v29, v22, v6
	v_sub_u32_e32 v6, v8, v32
	v_add3_u32 v20, v27, v20, v28
	v_add3_u32 v24, v30, v24, v26
	v_mul_lo_u32 v8, v23, s12
	v_mul_lo_u32 v21, v21, s12
	;; [unrolled: 1-line block ×3, first 2 shown]
	v_add3_u32 v6, v12, v10, s23
	v_mov_b32_e32 v13, v5
	v_add_u32_e32 v17, s25, v17
	v_add_u32_e32 v18, s25, v18
	;; [unrolled: 1-line block ×3, first 2 shown]
	v_lshl_add_u64 v[6:7], v[6:7], 2, s[6:7]
	v_add3_u32 v8, v20, v8, s23
	v_add3_u32 v10, v22, v21, s23
	;; [unrolled: 1-line block ×3, first 2 shown]
	v_lshl_add_u64 v[8:9], v[8:9], 2, s[6:7]
	v_lshl_add_u64 v[10:11], v[10:11], 2, s[6:7]
	v_lshl_add_u64 v[12:13], v[12:13], 2, s[6:7]
	s_waitcnt vmcnt(0)
	global_store_dword v[6:7], v0, off
	global_store_dword v[8:9], v1, off
	;; [unrolled: 1-line block ×4, first 2 shown]
	s_andn2_b64 exec, exec, s[18:19]
	s_cbranch_execnz .LBB156_3
; %bb.4:
	s_or_b64 exec, exec, s[18:19]
.LBB156_5:
	s_or_b64 exec, exec, s[20:21]
	v_cmp_gt_u32_e32 vcc, s22, v4
	s_and_b64 exec, exec, vcc
	s_cbranch_execz .LBB156_8
; %bb.6:
	s_cmp_eq_u32 s15, 3
	s_cselect_b32 s2, s24, s10
	v_cvt_f32_u32_e32 v0, s2
	s_cmp_eq_u32 s15, 2
	s_cselect_b32 s3, s24, s9
	v_cvt_f32_u32_e32 v2, s3
	v_rcp_iflag_f32_e32 v0, v0
	s_cmp_eq_u32 s15, 1
	s_cselect_b32 s4, s24, s8
	v_cvt_f32_u32_e32 v3, s4
	v_mul_f32_e32 v0, 0x4f7ffffe, v0
	v_cvt_u32_f32_e32 v0, v0
	v_rcp_iflag_f32_e32 v5, v2
	s_sub_i32 s5, 0, s2
	s_sub_i32 s0, 0, s3
	v_mul_lo_u32 v2, s5, v0
	v_mul_hi_u32 v2, v0, v2
	v_add_u32_e32 v2, v0, v2
	v_mul_f32_e32 v0, 0x4f7ffffe, v5
	v_rcp_iflag_f32_e32 v5, v3
	v_cvt_u32_f32_e32 v0, v0
	v_mov_b32_e32 v1, 0
	v_mov_b32_e32 v3, v1
	v_mul_f32_e32 v5, 0x4f7ffffe, v5
	v_cvt_u32_f32_e32 v5, v5
	v_mul_lo_u32 v6, s0, v0
	v_mul_hi_u32 v6, v0, v6
	s_sub_i32 s0, 0, s4
	v_add_u32_e32 v10, v0, v6
	v_mul_lo_u32 v0, s0, v5
	v_mul_hi_u32 v0, v5, v0
	v_add_u32_e32 v11, v5, v0
	v_mov_b32_e32 v5, v1
	v_mad_u64_u32 v[6:7], s[0:1], v4, v2, 0
	v_lshl_add_u64 v[8:9], v[4:5], 2, s[16:17]
	s_mov_b64 s[0:1], 0
.LBB156_7:                              ; =>This Inner Loop Header: Depth=1
	global_load_dword v5, v[8:9], off
	v_mul_lo_u32 v0, s2, v7
	v_not_b32_e32 v12, v7
	v_sub_u32_e32 v0, v4, v0
	v_add_u32_e32 v14, 1, v7
	v_cmp_le_u32_e32 vcc, s2, v0
	v_lshl_add_u64 v[8:9], v[8:9], 0, 4
	s_waitcnt vmcnt(0)
	v_mad_u64_u32 v[12:13], s[8:9], s2, v12, v[4:5]
	v_cndmask_b32_e32 v13, v7, v14, vcc
	v_cndmask_b32_e32 v0, v0, v12, vcc
	v_add_u32_e32 v12, 1, v13
	v_cmp_le_u32_e32 vcc, s2, v0
	v_lshl_add_u64 v[6:7], v[6:7], 0, v[2:3]
	s_nop 0
	v_cndmask_b32_e32 v0, v13, v12, vcc
	v_mul_hi_u32 v14, v0, v10
	v_mad_u64_u32 v[12:13], s[8:9], s5, v0, v[4:5]
	v_add_u32_e32 v4, 1, v4
	v_mul_lo_u32 v13, v14, s3
	v_cmp_le_u32_e32 vcc, s22, v4
	v_sub_u32_e32 v13, v0, v13
	v_add_u32_e32 v15, 1, v14
	s_or_b64 s[0:1], vcc, s[0:1]
	v_cmp_le_u32_e32 vcc, s3, v13
	v_mul_lo_u32 v12, v12, s14
	s_nop 0
	v_cndmask_b32_e32 v14, v14, v15, vcc
	v_subrev_u32_e32 v15, s3, v13
	v_cndmask_b32_e32 v13, v13, v15, vcc
	v_add_u32_e32 v15, 1, v14
	v_cmp_le_u32_e32 vcc, s3, v13
	s_nop 1
	v_cndmask_b32_e32 v13, v14, v15, vcc
	v_mul_hi_u32 v14, v13, v11
	v_mul_lo_u32 v15, v13, s3
	v_mul_lo_u32 v16, v14, s4
	v_sub_u32_e32 v0, v0, v15
	v_sub_u32_e32 v15, v13, v16
	v_add_u32_e32 v17, 1, v14
	v_cmp_le_u32_e32 vcc, s4, v15
	v_subrev_u32_e32 v16, s4, v15
	v_mul_lo_u32 v0, v0, s13
	v_cndmask_b32_e32 v14, v14, v17, vcc
	v_cndmask_b32_e32 v15, v15, v16, vcc
	v_add_u32_e32 v16, 1, v14
	v_cmp_le_u32_e32 vcc, s4, v15
	s_nop 1
	v_cndmask_b32_e32 v14, v14, v16, vcc
	v_mul_lo_u32 v15, v14, s4
	v_mul_lo_u32 v14, v14, s11
	v_sub_u32_e32 v13, v13, v15
	v_add3_u32 v0, v14, v12, v0
	v_mul_lo_u32 v12, v13, s12
	v_add3_u32 v0, v0, v12, s23
	v_lshl_add_u64 v[12:13], v[0:1], 2, s[6:7]
	global_store_dword v[12:13], v5, off
	s_andn2_b64 exec, exec, s[0:1]
	s_cbranch_execnz .LBB156_7
.LBB156_8:
	s_endpgm
	.section	.rodata,"a",@progbits
	.p2align	6, 0x0
	.amdhsa_kernel _ZN2at6native12_GLOBAL__N_135CatArrayBatchedCopy_alignedK_contigINS1_10OpaqueTypeILj4EEEjLi4ELi64ELi64ELi16EEEvPT_NS1_25CatArrInputTensorMetadataIS5_T0_XT2_EXT3_EEENS1_16TensorSizeStrideIS8_Lj4EEEiS8_
		.amdhsa_group_segment_fixed_size 0
		.amdhsa_private_segment_fixed_size 0
		.amdhsa_kernarg_size 3696
		.amdhsa_user_sgpr_count 2
		.amdhsa_user_sgpr_dispatch_ptr 0
		.amdhsa_user_sgpr_queue_ptr 0
		.amdhsa_user_sgpr_kernarg_segment_ptr 1
		.amdhsa_user_sgpr_dispatch_id 0
		.amdhsa_user_sgpr_kernarg_preload_length 0
		.amdhsa_user_sgpr_kernarg_preload_offset 0
		.amdhsa_user_sgpr_private_segment_size 0
		.amdhsa_uses_dynamic_stack 0
		.amdhsa_enable_private_segment 0
		.amdhsa_system_sgpr_workgroup_id_x 1
		.amdhsa_system_sgpr_workgroup_id_y 1
		.amdhsa_system_sgpr_workgroup_id_z 0
		.amdhsa_system_sgpr_workgroup_info 0
		.amdhsa_system_vgpr_workitem_id 0
		.amdhsa_next_free_vgpr 40
		.amdhsa_next_free_sgpr 32
		.amdhsa_accum_offset 40
		.amdhsa_reserve_vcc 1
		.amdhsa_float_round_mode_32 0
		.amdhsa_float_round_mode_16_64 0
		.amdhsa_float_denorm_mode_32 3
		.amdhsa_float_denorm_mode_16_64 3
		.amdhsa_dx10_clamp 1
		.amdhsa_ieee_mode 1
		.amdhsa_fp16_overflow 0
		.amdhsa_tg_split 0
		.amdhsa_exception_fp_ieee_invalid_op 0
		.amdhsa_exception_fp_denorm_src 0
		.amdhsa_exception_fp_ieee_div_zero 0
		.amdhsa_exception_fp_ieee_overflow 0
		.amdhsa_exception_fp_ieee_underflow 0
		.amdhsa_exception_fp_ieee_inexact 0
		.amdhsa_exception_int_div_zero 0
	.end_amdhsa_kernel
	.section	.text._ZN2at6native12_GLOBAL__N_135CatArrayBatchedCopy_alignedK_contigINS1_10OpaqueTypeILj4EEEjLi4ELi64ELi64ELi16EEEvPT_NS1_25CatArrInputTensorMetadataIS5_T0_XT2_EXT3_EEENS1_16TensorSizeStrideIS8_Lj4EEEiS8_,"axG",@progbits,_ZN2at6native12_GLOBAL__N_135CatArrayBatchedCopy_alignedK_contigINS1_10OpaqueTypeILj4EEEjLi4ELi64ELi64ELi16EEEvPT_NS1_25CatArrInputTensorMetadataIS5_T0_XT2_EXT3_EEENS1_16TensorSizeStrideIS8_Lj4EEEiS8_,comdat
.Lfunc_end156:
	.size	_ZN2at6native12_GLOBAL__N_135CatArrayBatchedCopy_alignedK_contigINS1_10OpaqueTypeILj4EEEjLi4ELi64ELi64ELi16EEEvPT_NS1_25CatArrInputTensorMetadataIS5_T0_XT2_EXT3_EEENS1_16TensorSizeStrideIS8_Lj4EEEiS8_, .Lfunc_end156-_ZN2at6native12_GLOBAL__N_135CatArrayBatchedCopy_alignedK_contigINS1_10OpaqueTypeILj4EEEjLi4ELi64ELi64ELi16EEEvPT_NS1_25CatArrInputTensorMetadataIS5_T0_XT2_EXT3_EEENS1_16TensorSizeStrideIS8_Lj4EEEiS8_
                                        ; -- End function
	.set _ZN2at6native12_GLOBAL__N_135CatArrayBatchedCopy_alignedK_contigINS1_10OpaqueTypeILj4EEEjLi4ELi64ELi64ELi16EEEvPT_NS1_25CatArrInputTensorMetadataIS5_T0_XT2_EXT3_EEENS1_16TensorSizeStrideIS8_Lj4EEEiS8_.num_vgpr, 40
	.set _ZN2at6native12_GLOBAL__N_135CatArrayBatchedCopy_alignedK_contigINS1_10OpaqueTypeILj4EEEjLi4ELi64ELi64ELi16EEEvPT_NS1_25CatArrInputTensorMetadataIS5_T0_XT2_EXT3_EEENS1_16TensorSizeStrideIS8_Lj4EEEiS8_.num_agpr, 0
	.set _ZN2at6native12_GLOBAL__N_135CatArrayBatchedCopy_alignedK_contigINS1_10OpaqueTypeILj4EEEjLi4ELi64ELi64ELi16EEEvPT_NS1_25CatArrInputTensorMetadataIS5_T0_XT2_EXT3_EEENS1_16TensorSizeStrideIS8_Lj4EEEiS8_.numbered_sgpr, 32
	.set _ZN2at6native12_GLOBAL__N_135CatArrayBatchedCopy_alignedK_contigINS1_10OpaqueTypeILj4EEEjLi4ELi64ELi64ELi16EEEvPT_NS1_25CatArrInputTensorMetadataIS5_T0_XT2_EXT3_EEENS1_16TensorSizeStrideIS8_Lj4EEEiS8_.num_named_barrier, 0
	.set _ZN2at6native12_GLOBAL__N_135CatArrayBatchedCopy_alignedK_contigINS1_10OpaqueTypeILj4EEEjLi4ELi64ELi64ELi16EEEvPT_NS1_25CatArrInputTensorMetadataIS5_T0_XT2_EXT3_EEENS1_16TensorSizeStrideIS8_Lj4EEEiS8_.private_seg_size, 0
	.set _ZN2at6native12_GLOBAL__N_135CatArrayBatchedCopy_alignedK_contigINS1_10OpaqueTypeILj4EEEjLi4ELi64ELi64ELi16EEEvPT_NS1_25CatArrInputTensorMetadataIS5_T0_XT2_EXT3_EEENS1_16TensorSizeStrideIS8_Lj4EEEiS8_.uses_vcc, 1
	.set _ZN2at6native12_GLOBAL__N_135CatArrayBatchedCopy_alignedK_contigINS1_10OpaqueTypeILj4EEEjLi4ELi64ELi64ELi16EEEvPT_NS1_25CatArrInputTensorMetadataIS5_T0_XT2_EXT3_EEENS1_16TensorSizeStrideIS8_Lj4EEEiS8_.uses_flat_scratch, 0
	.set _ZN2at6native12_GLOBAL__N_135CatArrayBatchedCopy_alignedK_contigINS1_10OpaqueTypeILj4EEEjLi4ELi64ELi64ELi16EEEvPT_NS1_25CatArrInputTensorMetadataIS5_T0_XT2_EXT3_EEENS1_16TensorSizeStrideIS8_Lj4EEEiS8_.has_dyn_sized_stack, 0
	.set _ZN2at6native12_GLOBAL__N_135CatArrayBatchedCopy_alignedK_contigINS1_10OpaqueTypeILj4EEEjLi4ELi64ELi64ELi16EEEvPT_NS1_25CatArrInputTensorMetadataIS5_T0_XT2_EXT3_EEENS1_16TensorSizeStrideIS8_Lj4EEEiS8_.has_recursion, 0
	.set _ZN2at6native12_GLOBAL__N_135CatArrayBatchedCopy_alignedK_contigINS1_10OpaqueTypeILj4EEEjLi4ELi64ELi64ELi16EEEvPT_NS1_25CatArrInputTensorMetadataIS5_T0_XT2_EXT3_EEENS1_16TensorSizeStrideIS8_Lj4EEEiS8_.has_indirect_call, 0
	.section	.AMDGPU.csdata,"",@progbits
; Kernel info:
; codeLenInByte = 2172
; TotalNumSgprs: 38
; NumVgprs: 40
; NumAgprs: 0
; TotalNumVgprs: 40
; ScratchSize: 0
; MemoryBound: 0
; FloatMode: 240
; IeeeMode: 1
; LDSByteSize: 0 bytes/workgroup (compile time only)
; SGPRBlocks: 4
; VGPRBlocks: 4
; NumSGPRsForWavesPerEU: 38
; NumVGPRsForWavesPerEU: 40
; AccumOffset: 40
; Occupancy: 8
; WaveLimiterHint : 1
; COMPUTE_PGM_RSRC2:SCRATCH_EN: 0
; COMPUTE_PGM_RSRC2:USER_SGPR: 2
; COMPUTE_PGM_RSRC2:TRAP_HANDLER: 0
; COMPUTE_PGM_RSRC2:TGID_X_EN: 1
; COMPUTE_PGM_RSRC2:TGID_Y_EN: 1
; COMPUTE_PGM_RSRC2:TGID_Z_EN: 0
; COMPUTE_PGM_RSRC2:TIDIG_COMP_CNT: 0
; COMPUTE_PGM_RSRC3_GFX90A:ACCUM_OFFSET: 9
; COMPUTE_PGM_RSRC3_GFX90A:TG_SPLIT: 0
	.section	.text._ZN2at6native12_GLOBAL__N_135CatArrayBatchedCopy_alignedK_contigINS1_10OpaqueTypeILj4EEEjLi4ELi64ELi64ELi8EEEvPT_NS1_25CatArrInputTensorMetadataIS5_T0_XT2_EXT3_EEENS1_16TensorSizeStrideIS8_Lj4EEEiS8_,"axG",@progbits,_ZN2at6native12_GLOBAL__N_135CatArrayBatchedCopy_alignedK_contigINS1_10OpaqueTypeILj4EEEjLi4ELi64ELi64ELi8EEEvPT_NS1_25CatArrInputTensorMetadataIS5_T0_XT2_EXT3_EEENS1_16TensorSizeStrideIS8_Lj4EEEiS8_,comdat
	.globl	_ZN2at6native12_GLOBAL__N_135CatArrayBatchedCopy_alignedK_contigINS1_10OpaqueTypeILj4EEEjLi4ELi64ELi64ELi8EEEvPT_NS1_25CatArrInputTensorMetadataIS5_T0_XT2_EXT3_EEENS1_16TensorSizeStrideIS8_Lj4EEEiS8_ ; -- Begin function _ZN2at6native12_GLOBAL__N_135CatArrayBatchedCopy_alignedK_contigINS1_10OpaqueTypeILj4EEEjLi4ELi64ELi64ELi8EEEvPT_NS1_25CatArrInputTensorMetadataIS5_T0_XT2_EXT3_EEENS1_16TensorSizeStrideIS8_Lj4EEEiS8_
	.p2align	8
	.type	_ZN2at6native12_GLOBAL__N_135CatArrayBatchedCopy_alignedK_contigINS1_10OpaqueTypeILj4EEEjLi4ELi64ELi64ELi8EEEvPT_NS1_25CatArrInputTensorMetadataIS5_T0_XT2_EXT3_EEENS1_16TensorSizeStrideIS8_Lj4EEEiS8_,@function
_ZN2at6native12_GLOBAL__N_135CatArrayBatchedCopy_alignedK_contigINS1_10OpaqueTypeILj4EEEjLi4ELi64ELi64ELi8EEEvPT_NS1_25CatArrInputTensorMetadataIS5_T0_XT2_EXT3_EEENS1_16TensorSizeStrideIS8_Lj4EEEiS8_: ; @_ZN2at6native12_GLOBAL__N_135CatArrayBatchedCopy_alignedK_contigINS1_10OpaqueTypeILj4EEEjLi4ELi64ELi64ELi8EEEvPT_NS1_25CatArrInputTensorMetadataIS5_T0_XT2_EXT3_EEENS1_16TensorSizeStrideIS8_Lj4EEEiS8_
; %bb.0:
	s_mov_b32 s4, s3
	s_load_dword s3, s[0:1], 0xd7c
	s_add_u32 s18, s0, 0xd70
	s_mov_b32 s5, 0
	s_addc_u32 s19, s1, 0
	s_lshl_b64 s[4:5], s[4:5], 2
	s_waitcnt lgkmcnt(0)
	s_and_b32 s23, s3, 0xffff
	s_add_u32 s6, s0, s4
	s_addc_u32 s7, s1, s5
	s_load_dword s20, s[6:7], 0x408
	s_mul_i32 s2, s2, s23
	v_add_lshl_u32 v0, s2, v0, 1
	s_add_u32 s6, s6, 8
	s_addc_u32 s7, s7, 0
	s_waitcnt lgkmcnt(0)
	v_cmp_gt_u32_e32 vcc, s20, v0
	s_and_saveexec_b64 s[2:3], vcc
	s_cbranch_execz .LBB157_8
; %bb.1:
	s_add_u32 s14, s6, s4
	s_addc_u32 s15, s7, s5
	s_sub_u32 s4, 0, s4
	s_load_dwordx2 s[2:3], s[0:1], 0x0
	s_subb_u32 s5, 0, s5
	s_add_u32 s16, s14, s4
	s_addc_u32 s17, s15, s5
	s_load_dword s21, s[0:1], 0xd6c
	s_load_dword s24, s[16:17], 0x200
	s_load_dwordx8 s[4:11], s[0:1], 0xd4c
	s_load_dwordx2 s[12:13], s[14:15], 0x0
	s_load_dword s22, s[16:17], 0x300
	v_add_u32_e32 v1, 2, v0
	s_mov_b64 s[14:15], 0
	s_waitcnt lgkmcnt(0)
	s_mul_i32 s21, s24, s21
	v_cmp_ge_u32_e32 vcc, s20, v1
	s_and_saveexec_b64 s[16:17], vcc
	s_cbranch_execz .LBB157_5
; %bb.2:
	s_load_dword s0, s[18:19], 0x0
	v_mov_b32_e32 v1, 0
	s_waitcnt lgkmcnt(0)
	s_mul_i32 s0, s0, s23
	s_lshl_b32 s18, s0, 1
	s_cmp_eq_u32 s11, 3
	s_cselect_b32 s19, s22, s6
	s_cmp_eq_u32 s11, 2
	v_cvt_f32_u32_e32 v2, s19
	s_cselect_b32 s23, s22, s5
	s_cmp_eq_u32 s11, 1
	v_cvt_f32_u32_e32 v3, s23
	s_cselect_b32 s24, s22, s4
	v_rcp_iflag_f32_e32 v2, v2
	v_cvt_f32_u32_e32 v4, s24
	v_rcp_iflag_f32_e32 v3, v3
	s_sub_i32 s25, 0, s19
	v_mul_f32_e32 v2, 0x4f7ffffe, v2
	v_rcp_iflag_f32_e32 v4, v4
	v_cvt_u32_f32_e32 v2, v2
	v_mul_f32_e32 v3, 0x4f7ffffe, v3
	v_cvt_u32_f32_e32 v3, v3
	v_mul_f32_e32 v4, 0x4f7ffffe, v4
	v_mul_lo_u32 v5, s25, v2
	v_cvt_u32_f32_e32 v4, v4
	s_sub_i32 s0, 0, s23
	v_mul_hi_u32 v5, v2, v5
	v_add_u32_e32 v2, v2, v5
	v_mul_lo_u32 v5, s0, v3
	v_mul_hi_u32 v5, v3, v5
	s_sub_i32 s0, 0, s24
	v_add_u32_e32 v3, v3, v5
	v_mul_lo_u32 v5, s0, v4
	v_mul_hi_u32 v5, v4, v5
	v_add_u32_e32 v4, v4, v5
	v_add_u32_e32 v5, 1, v0
.LBB157_3:                              ; =>This Inner Loop Header: Depth=1
	v_lshl_add_u64 v[8:9], v[0:1], 2, s[12:13]
	global_load_dwordx2 v[8:9], v[8:9], off
	v_mul_hi_u32 v10, v2, v0
	v_mul_hi_u32 v14, v2, v5
	v_add_u32_e32 v6, 1, v0
	v_mov_b32_e32 v7, v1
	v_not_b32_e32 v16, v10
	v_mad_u64_u32 v[12:13], s[0:1], s25, v10, v[0:1]
	v_not_b32_e32 v18, v14
	v_add_u32_e32 v13, 1, v10
	v_mul_hi_u32 v20, v6, v2
	v_mad_u64_u32 v[14:15], s[0:1], s25, v14, v[6:7]
	v_cmp_le_u32_e32 vcc, s19, v12
	v_mad_u64_u32 v[16:17], s[0:1], s19, v16, v[0:1]
	s_nop 0
	v_cndmask_b32_e32 v10, v10, v13, vcc
	v_add_u32_e32 v13, 1, v20
	v_cmp_le_u32_e64 s[0:1], s19, v14
	v_mad_u64_u32 v[18:19], s[26:27], s19, v18, v[6:7]
	v_cndmask_b32_e32 v6, v12, v16, vcc
	v_add_u32_e32 v12, 1, v10
	v_cndmask_b32_e64 v15, v20, v13, s[0:1]
	v_cndmask_b32_e64 v13, v14, v18, s[0:1]
	v_cmp_le_u32_e32 vcc, s19, v6
	v_mov_b32_e32 v11, v1
	v_add_u32_e32 v5, s18, v5
	v_cndmask_b32_e32 v6, v10, v12, vcc
	v_add_u32_e32 v10, 1, v15
	v_cmp_le_u32_e32 vcc, s19, v13
	v_mul_hi_u32 v14, v6, v3
	v_mad_u64_u32 v[12:13], s[0:1], s25, v6, v[0:1]
	v_cndmask_b32_e32 v10, v15, v10, vcc
	v_mul_lo_u32 v15, v14, s23
	v_mul_lo_u32 v17, v12, s10
	v_mad_u64_u32 v[12:13], s[0:1], s25, v10, v[0:1]
	v_mul_hi_u32 v18, v10, v3
	v_sub_u32_e32 v13, v6, v15
	v_add_u32_e32 v16, 1, v14
	v_add_u32_e32 v0, s18, v0
	v_mul_lo_u32 v15, v18, s23
	v_cmp_le_u32_e32 vcc, s23, v13
	v_add_u32_e32 v20, 2, v0
	v_sub_u32_e32 v15, v10, v15
	v_cndmask_b32_e32 v14, v14, v16, vcc
	v_subrev_u32_e32 v16, s23, v13
	v_add_u32_e32 v19, 1, v18
	v_cmp_lt_u32_e64 s[0:1], s20, v20
	v_cndmask_b32_e32 v13, v13, v16, vcc
	v_cmp_le_u32_e32 vcc, s23, v15
	v_add_u32_e32 v16, 1, v14
	s_or_b64 s[14:15], s[0:1], s[14:15]
	v_cndmask_b32_e32 v18, v18, v19, vcc
	v_subrev_u32_e32 v19, s23, v15
	v_cmp_le_u32_e64 s[0:1], s23, v13
	v_mul_lo_u32 v12, s10, v12
	v_add_u32_e32 v12, s10, v12
	v_cndmask_b32_e64 v13, v14, v16, s[0:1]
	v_cndmask_b32_e32 v14, v15, v19, vcc
	v_add_u32_e32 v15, 1, v18
	v_mul_hi_u32 v19, v13, v4
	v_cmp_le_u32_e32 vcc, s23, v14
	v_mul_lo_u32 v16, v13, s23
	v_sub_u32_e32 v6, v6, v16
	v_cndmask_b32_e32 v14, v18, v15, vcc
	v_mul_lo_u32 v15, v19, s24
	v_mul_lo_u32 v18, v14, s23
	v_mul_hi_u32 v20, v14, v4
	v_sub_u32_e32 v15, v13, v15
	v_add_u32_e32 v16, 1, v19
	v_sub_u32_e32 v10, v10, v18
	v_mul_lo_u32 v18, v20, s24
	v_cmp_le_u32_e32 vcc, s24, v15
	v_sub_u32_e32 v18, v14, v18
	v_add_u32_e32 v21, 1, v20
	v_cndmask_b32_e32 v16, v19, v16, vcc
	v_subrev_u32_e32 v19, s24, v15
	v_cndmask_b32_e32 v15, v15, v19, vcc
	v_cmp_le_u32_e32 vcc, s24, v18
	v_add_u32_e32 v19, 1, v16
	v_cmp_le_u32_e64 s[0:1], s24, v15
	v_cndmask_b32_e32 v20, v20, v21, vcc
	v_subrev_u32_e32 v21, s24, v18
	v_cndmask_b32_e64 v15, v16, v19, s[0:1]
	v_cndmask_b32_e32 v16, v18, v21, vcc
	v_add_u32_e32 v18, 1, v20
	v_cmp_le_u32_e32 vcc, s24, v16
	v_mul_lo_u32 v6, v6, s9
	v_mul_lo_u32 v19, v15, s24
	;; [unrolled: 1-line block ×3, first 2 shown]
	v_cndmask_b32_e32 v16, v20, v18, vcc
	v_sub_u32_e32 v13, v13, v19
	v_add3_u32 v6, v15, v17, v6
	v_mul_lo_u32 v15, v16, s24
	v_mul_lo_u32 v10, v10, s9
	;; [unrolled: 1-line block ×4, first 2 shown]
	v_sub_u32_e32 v14, v14, v15
	v_add3_u32 v10, v16, v12, v10
	v_mul_lo_u32 v12, v14, s8
	v_add3_u32 v6, v6, v13, s21
	v_lshl_add_u64 v[6:7], v[6:7], 2, s[2:3]
	v_add3_u32 v10, v10, v12, s21
	v_lshl_add_u64 v[10:11], v[10:11], 2, s[2:3]
	s_waitcnt vmcnt(0)
	global_store_dword v[6:7], v8, off
	global_store_dword v[10:11], v9, off
	s_andn2_b64 exec, exec, s[14:15]
	s_cbranch_execnz .LBB157_3
; %bb.4:
	s_or_b64 exec, exec, s[14:15]
.LBB157_5:
	s_or_b64 exec, exec, s[16:17]
	v_cmp_gt_u32_e32 vcc, s20, v0
	s_and_b64 exec, exec, vcc
	s_cbranch_execz .LBB157_8
; %bb.6:
	s_cmp_eq_u32 s11, 3
	s_cselect_b32 s6, s22, s6
	v_cvt_f32_u32_e32 v1, s6
	s_cmp_eq_u32 s11, 2
	s_cselect_b32 s5, s22, s5
	v_cvt_f32_u32_e32 v2, s5
	v_rcp_iflag_f32_e32 v1, v1
	s_cmp_eq_u32 s11, 1
	s_cselect_b32 s4, s22, s4
	v_cvt_f32_u32_e32 v5, s4
	v_mul_f32_e32 v1, 0x4f7ffffe, v1
	v_cvt_u32_f32_e32 v1, v1
	v_rcp_iflag_f32_e32 v2, v2
	s_sub_i32 s11, 0, s6
	s_sub_i32 s0, 0, s5
	v_mul_lo_u32 v4, s11, v1
	v_mul_hi_u32 v4, v1, v4
	v_add_u32_e32 v4, v1, v4
	v_mul_f32_e32 v1, 0x4f7ffffe, v2
	v_rcp_iflag_f32_e32 v2, v5
	v_cvt_u32_f32_e32 v1, v1
	v_mov_b32_e32 v3, 0
	v_mov_b32_e32 v5, v3
	v_mul_f32_e32 v2, 0x4f7ffffe, v2
	v_cvt_u32_f32_e32 v2, v2
	v_mul_lo_u32 v6, s0, v1
	v_mul_hi_u32 v6, v1, v6
	s_sub_i32 s0, 0, s4
	v_add_u32_e32 v10, v1, v6
	v_mul_lo_u32 v1, s0, v2
	v_mul_hi_u32 v1, v2, v1
	v_add_u32_e32 v11, v2, v1
	v_mov_b32_e32 v1, v3
	v_mad_u64_u32 v[6:7], s[0:1], v0, v4, 0
	v_lshl_add_u64 v[8:9], v[0:1], 2, s[12:13]
	s_mov_b64 s[0:1], 0
.LBB157_7:                              ; =>This Inner Loop Header: Depth=1
	global_load_dword v1, v[8:9], off
	v_mul_lo_u32 v2, s6, v7
	v_not_b32_e32 v12, v7
	v_sub_u32_e32 v2, v0, v2
	v_add_u32_e32 v14, 1, v7
	v_cmp_le_u32_e32 vcc, s6, v2
	v_lshl_add_u64 v[8:9], v[8:9], 0, 4
	s_waitcnt vmcnt(0)
	v_mad_u64_u32 v[12:13], s[12:13], s6, v12, v[0:1]
	v_cndmask_b32_e32 v13, v7, v14, vcc
	v_cndmask_b32_e32 v2, v2, v12, vcc
	v_add_u32_e32 v12, 1, v13
	v_cmp_le_u32_e32 vcc, s6, v2
	v_lshl_add_u64 v[6:7], v[6:7], 0, v[4:5]
	s_nop 0
	v_cndmask_b32_e32 v2, v13, v12, vcc
	v_mul_hi_u32 v14, v2, v10
	v_mad_u64_u32 v[12:13], s[12:13], s11, v2, v[0:1]
	v_add_u32_e32 v0, 1, v0
	v_mul_lo_u32 v13, v14, s5
	v_cmp_le_u32_e32 vcc, s20, v0
	v_sub_u32_e32 v13, v2, v13
	v_add_u32_e32 v15, 1, v14
	s_or_b64 s[0:1], vcc, s[0:1]
	v_cmp_le_u32_e32 vcc, s5, v13
	v_mul_lo_u32 v12, v12, s10
	s_nop 0
	v_cndmask_b32_e32 v14, v14, v15, vcc
	v_subrev_u32_e32 v15, s5, v13
	v_cndmask_b32_e32 v13, v13, v15, vcc
	v_add_u32_e32 v15, 1, v14
	v_cmp_le_u32_e32 vcc, s5, v13
	s_nop 1
	v_cndmask_b32_e32 v13, v14, v15, vcc
	v_mul_hi_u32 v14, v13, v11
	v_mul_lo_u32 v15, v13, s5
	v_mul_lo_u32 v16, v14, s4
	v_sub_u32_e32 v2, v2, v15
	v_sub_u32_e32 v15, v13, v16
	v_add_u32_e32 v17, 1, v14
	v_cmp_le_u32_e32 vcc, s4, v15
	v_subrev_u32_e32 v16, s4, v15
	v_mul_lo_u32 v2, v2, s9
	v_cndmask_b32_e32 v14, v14, v17, vcc
	v_cndmask_b32_e32 v15, v15, v16, vcc
	v_add_u32_e32 v16, 1, v14
	v_cmp_le_u32_e32 vcc, s4, v15
	s_nop 1
	v_cndmask_b32_e32 v14, v14, v16, vcc
	v_mul_lo_u32 v15, v14, s4
	v_mul_lo_u32 v14, v14, s7
	v_sub_u32_e32 v13, v13, v15
	v_add3_u32 v2, v14, v12, v2
	v_mul_lo_u32 v12, v13, s8
	v_add3_u32 v2, v2, v12, s21
	v_lshl_add_u64 v[12:13], v[2:3], 2, s[2:3]
	global_store_dword v[12:13], v1, off
	s_andn2_b64 exec, exec, s[0:1]
	s_cbranch_execnz .LBB157_7
.LBB157_8:
	s_endpgm
	.section	.rodata,"a",@progbits
	.p2align	6, 0x0
	.amdhsa_kernel _ZN2at6native12_GLOBAL__N_135CatArrayBatchedCopy_alignedK_contigINS1_10OpaqueTypeILj4EEEjLi4ELi64ELi64ELi8EEEvPT_NS1_25CatArrInputTensorMetadataIS5_T0_XT2_EXT3_EEENS1_16TensorSizeStrideIS8_Lj4EEEiS8_
		.amdhsa_group_segment_fixed_size 0
		.amdhsa_private_segment_fixed_size 0
		.amdhsa_kernarg_size 3696
		.amdhsa_user_sgpr_count 2
		.amdhsa_user_sgpr_dispatch_ptr 0
		.amdhsa_user_sgpr_queue_ptr 0
		.amdhsa_user_sgpr_kernarg_segment_ptr 1
		.amdhsa_user_sgpr_dispatch_id 0
		.amdhsa_user_sgpr_kernarg_preload_length 0
		.amdhsa_user_sgpr_kernarg_preload_offset 0
		.amdhsa_user_sgpr_private_segment_size 0
		.amdhsa_uses_dynamic_stack 0
		.amdhsa_enable_private_segment 0
		.amdhsa_system_sgpr_workgroup_id_x 1
		.amdhsa_system_sgpr_workgroup_id_y 1
		.amdhsa_system_sgpr_workgroup_id_z 0
		.amdhsa_system_sgpr_workgroup_info 0
		.amdhsa_system_vgpr_workitem_id 0
		.amdhsa_next_free_vgpr 22
		.amdhsa_next_free_sgpr 28
		.amdhsa_accum_offset 24
		.amdhsa_reserve_vcc 1
		.amdhsa_float_round_mode_32 0
		.amdhsa_float_round_mode_16_64 0
		.amdhsa_float_denorm_mode_32 3
		.amdhsa_float_denorm_mode_16_64 3
		.amdhsa_dx10_clamp 1
		.amdhsa_ieee_mode 1
		.amdhsa_fp16_overflow 0
		.amdhsa_tg_split 0
		.amdhsa_exception_fp_ieee_invalid_op 0
		.amdhsa_exception_fp_denorm_src 0
		.amdhsa_exception_fp_ieee_div_zero 0
		.amdhsa_exception_fp_ieee_overflow 0
		.amdhsa_exception_fp_ieee_underflow 0
		.amdhsa_exception_fp_ieee_inexact 0
		.amdhsa_exception_int_div_zero 0
	.end_amdhsa_kernel
	.section	.text._ZN2at6native12_GLOBAL__N_135CatArrayBatchedCopy_alignedK_contigINS1_10OpaqueTypeILj4EEEjLi4ELi64ELi64ELi8EEEvPT_NS1_25CatArrInputTensorMetadataIS5_T0_XT2_EXT3_EEENS1_16TensorSizeStrideIS8_Lj4EEEiS8_,"axG",@progbits,_ZN2at6native12_GLOBAL__N_135CatArrayBatchedCopy_alignedK_contigINS1_10OpaqueTypeILj4EEEjLi4ELi64ELi64ELi8EEEvPT_NS1_25CatArrInputTensorMetadataIS5_T0_XT2_EXT3_EEENS1_16TensorSizeStrideIS8_Lj4EEEiS8_,comdat
.Lfunc_end157:
	.size	_ZN2at6native12_GLOBAL__N_135CatArrayBatchedCopy_alignedK_contigINS1_10OpaqueTypeILj4EEEjLi4ELi64ELi64ELi8EEEvPT_NS1_25CatArrInputTensorMetadataIS5_T0_XT2_EXT3_EEENS1_16TensorSizeStrideIS8_Lj4EEEiS8_, .Lfunc_end157-_ZN2at6native12_GLOBAL__N_135CatArrayBatchedCopy_alignedK_contigINS1_10OpaqueTypeILj4EEEjLi4ELi64ELi64ELi8EEEvPT_NS1_25CatArrInputTensorMetadataIS5_T0_XT2_EXT3_EEENS1_16TensorSizeStrideIS8_Lj4EEEiS8_
                                        ; -- End function
	.set _ZN2at6native12_GLOBAL__N_135CatArrayBatchedCopy_alignedK_contigINS1_10OpaqueTypeILj4EEEjLi4ELi64ELi64ELi8EEEvPT_NS1_25CatArrInputTensorMetadataIS5_T0_XT2_EXT3_EEENS1_16TensorSizeStrideIS8_Lj4EEEiS8_.num_vgpr, 22
	.set _ZN2at6native12_GLOBAL__N_135CatArrayBatchedCopy_alignedK_contigINS1_10OpaqueTypeILj4EEEjLi4ELi64ELi64ELi8EEEvPT_NS1_25CatArrInputTensorMetadataIS5_T0_XT2_EXT3_EEENS1_16TensorSizeStrideIS8_Lj4EEEiS8_.num_agpr, 0
	.set _ZN2at6native12_GLOBAL__N_135CatArrayBatchedCopy_alignedK_contigINS1_10OpaqueTypeILj4EEEjLi4ELi64ELi64ELi8EEEvPT_NS1_25CatArrInputTensorMetadataIS5_T0_XT2_EXT3_EEENS1_16TensorSizeStrideIS8_Lj4EEEiS8_.numbered_sgpr, 28
	.set _ZN2at6native12_GLOBAL__N_135CatArrayBatchedCopy_alignedK_contigINS1_10OpaqueTypeILj4EEEjLi4ELi64ELi64ELi8EEEvPT_NS1_25CatArrInputTensorMetadataIS5_T0_XT2_EXT3_EEENS1_16TensorSizeStrideIS8_Lj4EEEiS8_.num_named_barrier, 0
	.set _ZN2at6native12_GLOBAL__N_135CatArrayBatchedCopy_alignedK_contigINS1_10OpaqueTypeILj4EEEjLi4ELi64ELi64ELi8EEEvPT_NS1_25CatArrInputTensorMetadataIS5_T0_XT2_EXT3_EEENS1_16TensorSizeStrideIS8_Lj4EEEiS8_.private_seg_size, 0
	.set _ZN2at6native12_GLOBAL__N_135CatArrayBatchedCopy_alignedK_contigINS1_10OpaqueTypeILj4EEEjLi4ELi64ELi64ELi8EEEvPT_NS1_25CatArrInputTensorMetadataIS5_T0_XT2_EXT3_EEENS1_16TensorSizeStrideIS8_Lj4EEEiS8_.uses_vcc, 1
	.set _ZN2at6native12_GLOBAL__N_135CatArrayBatchedCopy_alignedK_contigINS1_10OpaqueTypeILj4EEEjLi4ELi64ELi64ELi8EEEvPT_NS1_25CatArrInputTensorMetadataIS5_T0_XT2_EXT3_EEENS1_16TensorSizeStrideIS8_Lj4EEEiS8_.uses_flat_scratch, 0
	.set _ZN2at6native12_GLOBAL__N_135CatArrayBatchedCopy_alignedK_contigINS1_10OpaqueTypeILj4EEEjLi4ELi64ELi64ELi8EEEvPT_NS1_25CatArrInputTensorMetadataIS5_T0_XT2_EXT3_EEENS1_16TensorSizeStrideIS8_Lj4EEEiS8_.has_dyn_sized_stack, 0
	.set _ZN2at6native12_GLOBAL__N_135CatArrayBatchedCopy_alignedK_contigINS1_10OpaqueTypeILj4EEEjLi4ELi64ELi64ELi8EEEvPT_NS1_25CatArrInputTensorMetadataIS5_T0_XT2_EXT3_EEENS1_16TensorSizeStrideIS8_Lj4EEEiS8_.has_recursion, 0
	.set _ZN2at6native12_GLOBAL__N_135CatArrayBatchedCopy_alignedK_contigINS1_10OpaqueTypeILj4EEEjLi4ELi64ELi64ELi8EEEvPT_NS1_25CatArrInputTensorMetadataIS5_T0_XT2_EXT3_EEENS1_16TensorSizeStrideIS8_Lj4EEEiS8_.has_indirect_call, 0
	.section	.AMDGPU.csdata,"",@progbits
; Kernel info:
; codeLenInByte = 1528
; TotalNumSgprs: 34
; NumVgprs: 22
; NumAgprs: 0
; TotalNumVgprs: 22
; ScratchSize: 0
; MemoryBound: 0
; FloatMode: 240
; IeeeMode: 1
; LDSByteSize: 0 bytes/workgroup (compile time only)
; SGPRBlocks: 4
; VGPRBlocks: 2
; NumSGPRsForWavesPerEU: 34
; NumVGPRsForWavesPerEU: 22
; AccumOffset: 24
; Occupancy: 8
; WaveLimiterHint : 1
; COMPUTE_PGM_RSRC2:SCRATCH_EN: 0
; COMPUTE_PGM_RSRC2:USER_SGPR: 2
; COMPUTE_PGM_RSRC2:TRAP_HANDLER: 0
; COMPUTE_PGM_RSRC2:TGID_X_EN: 1
; COMPUTE_PGM_RSRC2:TGID_Y_EN: 1
; COMPUTE_PGM_RSRC2:TGID_Z_EN: 0
; COMPUTE_PGM_RSRC2:TIDIG_COMP_CNT: 0
; COMPUTE_PGM_RSRC3_GFX90A:ACCUM_OFFSET: 5
; COMPUTE_PGM_RSRC3_GFX90A:TG_SPLIT: 0
	.section	.text._ZN2at6native12_GLOBAL__N_126CatArrayBatchedCopy_contigINS1_10OpaqueTypeILj4EEEjLi4ELi64ELi64EEEvPT_NS1_25CatArrInputTensorMetadataIS5_T0_XT2_EXT3_EEENS1_16TensorSizeStrideIS8_Lj4EEEiS8_,"axG",@progbits,_ZN2at6native12_GLOBAL__N_126CatArrayBatchedCopy_contigINS1_10OpaqueTypeILj4EEEjLi4ELi64ELi64EEEvPT_NS1_25CatArrInputTensorMetadataIS5_T0_XT2_EXT3_EEENS1_16TensorSizeStrideIS8_Lj4EEEiS8_,comdat
	.globl	_ZN2at6native12_GLOBAL__N_126CatArrayBatchedCopy_contigINS1_10OpaqueTypeILj4EEEjLi4ELi64ELi64EEEvPT_NS1_25CatArrInputTensorMetadataIS5_T0_XT2_EXT3_EEENS1_16TensorSizeStrideIS8_Lj4EEEiS8_ ; -- Begin function _ZN2at6native12_GLOBAL__N_126CatArrayBatchedCopy_contigINS1_10OpaqueTypeILj4EEEjLi4ELi64ELi64EEEvPT_NS1_25CatArrInputTensorMetadataIS5_T0_XT2_EXT3_EEENS1_16TensorSizeStrideIS8_Lj4EEEiS8_
	.p2align	8
	.type	_ZN2at6native12_GLOBAL__N_126CatArrayBatchedCopy_contigINS1_10OpaqueTypeILj4EEEjLi4ELi64ELi64EEEvPT_NS1_25CatArrInputTensorMetadataIS5_T0_XT2_EXT3_EEENS1_16TensorSizeStrideIS8_Lj4EEEiS8_,@function
_ZN2at6native12_GLOBAL__N_126CatArrayBatchedCopy_contigINS1_10OpaqueTypeILj4EEEjLi4ELi64ELi64EEEvPT_NS1_25CatArrInputTensorMetadataIS5_T0_XT2_EXT3_EEENS1_16TensorSizeStrideIS8_Lj4EEEiS8_: ; @_ZN2at6native12_GLOBAL__N_126CatArrayBatchedCopy_contigINS1_10OpaqueTypeILj4EEEjLi4ELi64ELi64EEEvPT_NS1_25CatArrInputTensorMetadataIS5_T0_XT2_EXT3_EEENS1_16TensorSizeStrideIS8_Lj4EEEiS8_
; %bb.0:
	s_mov_b32 s4, s3
	s_load_dword s3, s[0:1], 0xd7c
	s_add_u32 s16, s0, 0xd70
	s_mov_b32 s5, 0
	s_addc_u32 s17, s1, 0
	s_lshl_b64 s[14:15], s[4:5], 2
	s_waitcnt lgkmcnt(0)
	s_and_b32 s19, s3, 0xffff
	s_add_u32 s4, s0, s14
	s_addc_u32 s5, s1, s15
	s_load_dword s18, s[4:5], 0x408
	s_mul_i32 s2, s2, s19
	v_add_u32_e32 v0, s2, v0
	s_add_u32 s20, s4, 8
	s_addc_u32 s21, s5, 0
	s_waitcnt lgkmcnt(0)
	v_cmp_gt_u32_e32 vcc, s18, v0
	s_and_saveexec_b64 s[2:3], vcc
	s_cbranch_execz .LBB158_3
; %bb.1:
	s_add_u32 s20, s20, s14
	s_load_dwordx2 s[2:3], s[0:1], 0xd5c
	s_load_dwordx4 s[4:7], s[0:1], 0xd58
	s_load_dwordx2 s[12:13], s[0:1], 0x0
	s_load_dwordx4 s[8:11], s[0:1], 0xd4c
	s_addc_u32 s21, s21, s15
	s_waitcnt lgkmcnt(0)
	s_sub_u32 s5, 0, s14
	s_subb_u32 s6, 0, s15
	s_add_u32 s22, s20, s5
	s_addc_u32 s23, s21, s6
	s_load_dwordx2 s[24:25], s[0:1], 0xd68
	s_load_dwordx2 s[14:15], s[20:21], 0x0
	s_load_dword s11, s[22:23], 0x300
	s_load_dword s26, s[22:23], 0x200
	s_mov_b32 s5, s7
	s_waitcnt lgkmcnt(0)
	s_cmp_eq_u32 s24, 3
	s_load_dword s16, s[16:17], 0x0
	s_cselect_b32 s6, s11, s10
	v_cvt_f32_u32_e32 v1, s6
	s_cmp_eq_u32 s24, 2
	s_cselect_b32 s9, s11, s9
	v_cvt_f32_u32_e32 v2, s9
	v_rcp_iflag_f32_e32 v1, v1
	s_cmp_eq_u32 s24, 1
	s_cselect_b32 s8, s11, s8
	s_sub_i32 s11, 0, s6
	v_mul_f32_e32 v1, 0x4f7ffffe, v1
	v_cvt_u32_f32_e32 v1, v1
	v_rcp_iflag_f32_e32 v4, v2
	s_waitcnt lgkmcnt(0)
	s_mul_i32 s10, s16, s19
	s_sub_i32 s16, 0, s9
	v_mul_lo_u32 v3, s11, v1
	v_mul_hi_u32 v2, v1, v3
	v_cvt_f32_u32_e32 v3, s8
	v_add_u32_e32 v2, v1, v2
	v_mul_f32_e32 v1, 0x4f7ffffe, v4
	v_cvt_u32_f32_e32 v4, v1
	v_rcp_iflag_f32_e32 v3, v3
	s_mov_b64 s[0:1], 0
	s_mul_i32 s7, s26, s25
	v_mul_lo_u32 v5, s16, v4
	v_mul_f32_e32 v3, 0x4f7ffffe, v3
	v_cvt_u32_f32_e32 v6, v3
	v_mul_hi_u32 v3, v4, v5
	s_sub_i32 s16, 0, s8
	v_add_u32_e32 v3, v4, v3
	v_mul_lo_u32 v4, s16, v6
	v_mul_hi_u32 v4, v6, v4
	v_mov_b32_e32 v1, 0
	v_add_u32_e32 v4, v6, v4
.LBB158_2:                              ; =>This Inner Loop Header: Depth=1
	v_lshl_add_u64 v[6:7], v[0:1], 2, s[14:15]
	global_load_dword v5, v[6:7], off
	v_mul_hi_u32 v6, v2, v0
	v_mul_lo_u32 v8, s6, v6
	v_not_b32_e32 v9, v6
	v_sub_u32_e32 v11, v0, v8
	v_add_u32_e32 v10, 1, v6
	v_mad_u64_u32 v[8:9], s[16:17], s6, v9, v[0:1]
	v_cmp_le_u32_e32 vcc, s6, v11
	v_mov_b32_e32 v7, v1
	s_nop 0
	v_cndmask_b32_e32 v6, v6, v10, vcc
	v_cndmask_b32_e32 v8, v11, v8, vcc
	v_add_u32_e32 v9, 1, v6
	v_cmp_le_u32_e32 vcc, s6, v8
	s_nop 1
	v_cndmask_b32_e32 v6, v6, v9, vcc
	v_mul_hi_u32 v10, v6, v3
	v_mad_u64_u32 v[8:9], s[16:17], s11, v6, v[0:1]
	v_add_u32_e32 v0, s10, v0
	v_mul_lo_u32 v9, v10, s9
	v_cmp_le_u32_e32 vcc, s18, v0
	v_sub_u32_e32 v9, v6, v9
	v_add_u32_e32 v11, 1, v10
	s_or_b64 s[0:1], vcc, s[0:1]
	v_cmp_le_u32_e32 vcc, s9, v9
	v_mul_lo_u32 v8, v8, s5
	s_nop 0
	v_cndmask_b32_e32 v10, v10, v11, vcc
	v_subrev_u32_e32 v11, s9, v9
	v_cndmask_b32_e32 v9, v9, v11, vcc
	v_add_u32_e32 v11, 1, v10
	v_cmp_le_u32_e32 vcc, s9, v9
	s_nop 1
	v_cndmask_b32_e32 v9, v10, v11, vcc
	v_mul_hi_u32 v10, v9, v4
	v_mul_lo_u32 v11, v9, s9
	v_mul_lo_u32 v12, v10, s8
	v_sub_u32_e32 v6, v6, v11
	v_sub_u32_e32 v11, v9, v12
	v_add_u32_e32 v13, 1, v10
	v_cmp_le_u32_e32 vcc, s8, v11
	v_subrev_u32_e32 v12, s8, v11
	v_mul_lo_u32 v6, v6, s3
	v_cndmask_b32_e32 v10, v10, v13, vcc
	v_cndmask_b32_e32 v11, v11, v12, vcc
	v_add_u32_e32 v12, 1, v10
	v_cmp_le_u32_e32 vcc, s8, v11
	s_nop 1
	v_cndmask_b32_e32 v10, v10, v12, vcc
	v_mul_lo_u32 v11, v10, s8
	v_mul_lo_u32 v10, v10, s4
	v_sub_u32_e32 v9, v9, v11
	v_add3_u32 v8, v8, s7, v10
	v_mul_lo_u32 v9, v9, s2
	v_add3_u32 v6, v8, v6, v9
	v_lshl_add_u64 v[6:7], v[6:7], 2, s[12:13]
	s_waitcnt vmcnt(0)
	global_store_dword v[6:7], v5, off
	s_andn2_b64 exec, exec, s[0:1]
	s_cbranch_execnz .LBB158_2
.LBB158_3:
	s_endpgm
	.section	.rodata,"a",@progbits
	.p2align	6, 0x0
	.amdhsa_kernel _ZN2at6native12_GLOBAL__N_126CatArrayBatchedCopy_contigINS1_10OpaqueTypeILj4EEEjLi4ELi64ELi64EEEvPT_NS1_25CatArrInputTensorMetadataIS5_T0_XT2_EXT3_EEENS1_16TensorSizeStrideIS8_Lj4EEEiS8_
		.amdhsa_group_segment_fixed_size 0
		.amdhsa_private_segment_fixed_size 0
		.amdhsa_kernarg_size 3696
		.amdhsa_user_sgpr_count 2
		.amdhsa_user_sgpr_dispatch_ptr 0
		.amdhsa_user_sgpr_queue_ptr 0
		.amdhsa_user_sgpr_kernarg_segment_ptr 1
		.amdhsa_user_sgpr_dispatch_id 0
		.amdhsa_user_sgpr_kernarg_preload_length 0
		.amdhsa_user_sgpr_kernarg_preload_offset 0
		.amdhsa_user_sgpr_private_segment_size 0
		.amdhsa_uses_dynamic_stack 0
		.amdhsa_enable_private_segment 0
		.amdhsa_system_sgpr_workgroup_id_x 1
		.amdhsa_system_sgpr_workgroup_id_y 1
		.amdhsa_system_sgpr_workgroup_id_z 0
		.amdhsa_system_sgpr_workgroup_info 0
		.amdhsa_system_vgpr_workitem_id 0
		.amdhsa_next_free_vgpr 14
		.amdhsa_next_free_sgpr 27
		.amdhsa_accum_offset 16
		.amdhsa_reserve_vcc 1
		.amdhsa_float_round_mode_32 0
		.amdhsa_float_round_mode_16_64 0
		.amdhsa_float_denorm_mode_32 3
		.amdhsa_float_denorm_mode_16_64 3
		.amdhsa_dx10_clamp 1
		.amdhsa_ieee_mode 1
		.amdhsa_fp16_overflow 0
		.amdhsa_tg_split 0
		.amdhsa_exception_fp_ieee_invalid_op 0
		.amdhsa_exception_fp_denorm_src 0
		.amdhsa_exception_fp_ieee_div_zero 0
		.amdhsa_exception_fp_ieee_overflow 0
		.amdhsa_exception_fp_ieee_underflow 0
		.amdhsa_exception_fp_ieee_inexact 0
		.amdhsa_exception_int_div_zero 0
	.end_amdhsa_kernel
	.section	.text._ZN2at6native12_GLOBAL__N_126CatArrayBatchedCopy_contigINS1_10OpaqueTypeILj4EEEjLi4ELi64ELi64EEEvPT_NS1_25CatArrInputTensorMetadataIS5_T0_XT2_EXT3_EEENS1_16TensorSizeStrideIS8_Lj4EEEiS8_,"axG",@progbits,_ZN2at6native12_GLOBAL__N_126CatArrayBatchedCopy_contigINS1_10OpaqueTypeILj4EEEjLi4ELi64ELi64EEEvPT_NS1_25CatArrInputTensorMetadataIS5_T0_XT2_EXT3_EEENS1_16TensorSizeStrideIS8_Lj4EEEiS8_,comdat
.Lfunc_end158:
	.size	_ZN2at6native12_GLOBAL__N_126CatArrayBatchedCopy_contigINS1_10OpaqueTypeILj4EEEjLi4ELi64ELi64EEEvPT_NS1_25CatArrInputTensorMetadataIS5_T0_XT2_EXT3_EEENS1_16TensorSizeStrideIS8_Lj4EEEiS8_, .Lfunc_end158-_ZN2at6native12_GLOBAL__N_126CatArrayBatchedCopy_contigINS1_10OpaqueTypeILj4EEEjLi4ELi64ELi64EEEvPT_NS1_25CatArrInputTensorMetadataIS5_T0_XT2_EXT3_EEENS1_16TensorSizeStrideIS8_Lj4EEEiS8_
                                        ; -- End function
	.set _ZN2at6native12_GLOBAL__N_126CatArrayBatchedCopy_contigINS1_10OpaqueTypeILj4EEEjLi4ELi64ELi64EEEvPT_NS1_25CatArrInputTensorMetadataIS5_T0_XT2_EXT3_EEENS1_16TensorSizeStrideIS8_Lj4EEEiS8_.num_vgpr, 14
	.set _ZN2at6native12_GLOBAL__N_126CatArrayBatchedCopy_contigINS1_10OpaqueTypeILj4EEEjLi4ELi64ELi64EEEvPT_NS1_25CatArrInputTensorMetadataIS5_T0_XT2_EXT3_EEENS1_16TensorSizeStrideIS8_Lj4EEEiS8_.num_agpr, 0
	.set _ZN2at6native12_GLOBAL__N_126CatArrayBatchedCopy_contigINS1_10OpaqueTypeILj4EEEjLi4ELi64ELi64EEEvPT_NS1_25CatArrInputTensorMetadataIS5_T0_XT2_EXT3_EEENS1_16TensorSizeStrideIS8_Lj4EEEiS8_.numbered_sgpr, 27
	.set _ZN2at6native12_GLOBAL__N_126CatArrayBatchedCopy_contigINS1_10OpaqueTypeILj4EEEjLi4ELi64ELi64EEEvPT_NS1_25CatArrInputTensorMetadataIS5_T0_XT2_EXT3_EEENS1_16TensorSizeStrideIS8_Lj4EEEiS8_.num_named_barrier, 0
	.set _ZN2at6native12_GLOBAL__N_126CatArrayBatchedCopy_contigINS1_10OpaqueTypeILj4EEEjLi4ELi64ELi64EEEvPT_NS1_25CatArrInputTensorMetadataIS5_T0_XT2_EXT3_EEENS1_16TensorSizeStrideIS8_Lj4EEEiS8_.private_seg_size, 0
	.set _ZN2at6native12_GLOBAL__N_126CatArrayBatchedCopy_contigINS1_10OpaqueTypeILj4EEEjLi4ELi64ELi64EEEvPT_NS1_25CatArrInputTensorMetadataIS5_T0_XT2_EXT3_EEENS1_16TensorSizeStrideIS8_Lj4EEEiS8_.uses_vcc, 1
	.set _ZN2at6native12_GLOBAL__N_126CatArrayBatchedCopy_contigINS1_10OpaqueTypeILj4EEEjLi4ELi64ELi64EEEvPT_NS1_25CatArrInputTensorMetadataIS5_T0_XT2_EXT3_EEENS1_16TensorSizeStrideIS8_Lj4EEEiS8_.uses_flat_scratch, 0
	.set _ZN2at6native12_GLOBAL__N_126CatArrayBatchedCopy_contigINS1_10OpaqueTypeILj4EEEjLi4ELi64ELi64EEEvPT_NS1_25CatArrInputTensorMetadataIS5_T0_XT2_EXT3_EEENS1_16TensorSizeStrideIS8_Lj4EEEiS8_.has_dyn_sized_stack, 0
	.set _ZN2at6native12_GLOBAL__N_126CatArrayBatchedCopy_contigINS1_10OpaqueTypeILj4EEEjLi4ELi64ELi64EEEvPT_NS1_25CatArrInputTensorMetadataIS5_T0_XT2_EXT3_EEENS1_16TensorSizeStrideIS8_Lj4EEEiS8_.has_recursion, 0
	.set _ZN2at6native12_GLOBAL__N_126CatArrayBatchedCopy_contigINS1_10OpaqueTypeILj4EEEjLi4ELi64ELi64EEEvPT_NS1_25CatArrInputTensorMetadataIS5_T0_XT2_EXT3_EEENS1_16TensorSizeStrideIS8_Lj4EEEiS8_.has_indirect_call, 0
	.section	.AMDGPU.csdata,"",@progbits
; Kernel info:
; codeLenInByte = 704
; TotalNumSgprs: 33
; NumVgprs: 14
; NumAgprs: 0
; TotalNumVgprs: 14
; ScratchSize: 0
; MemoryBound: 0
; FloatMode: 240
; IeeeMode: 1
; LDSByteSize: 0 bytes/workgroup (compile time only)
; SGPRBlocks: 4
; VGPRBlocks: 1
; NumSGPRsForWavesPerEU: 33
; NumVGPRsForWavesPerEU: 14
; AccumOffset: 16
; Occupancy: 8
; WaveLimiterHint : 1
; COMPUTE_PGM_RSRC2:SCRATCH_EN: 0
; COMPUTE_PGM_RSRC2:USER_SGPR: 2
; COMPUTE_PGM_RSRC2:TRAP_HANDLER: 0
; COMPUTE_PGM_RSRC2:TGID_X_EN: 1
; COMPUTE_PGM_RSRC2:TGID_Y_EN: 1
; COMPUTE_PGM_RSRC2:TGID_Z_EN: 0
; COMPUTE_PGM_RSRC2:TIDIG_COMP_CNT: 0
; COMPUTE_PGM_RSRC3_GFX90A:ACCUM_OFFSET: 3
; COMPUTE_PGM_RSRC3_GFX90A:TG_SPLIT: 0
	.section	.text._ZN2at6native12_GLOBAL__N_119CatArrayBatchedCopyINS1_10OpaqueTypeILj4EEEjLi4ELi64ELi64EEEvPT_NS1_25CatArrInputTensorMetadataIS5_T0_XT2_EXT3_EEENS1_16TensorSizeStrideIS8_Lj4EEEiS8_,"axG",@progbits,_ZN2at6native12_GLOBAL__N_119CatArrayBatchedCopyINS1_10OpaqueTypeILj4EEEjLi4ELi64ELi64EEEvPT_NS1_25CatArrInputTensorMetadataIS5_T0_XT2_EXT3_EEENS1_16TensorSizeStrideIS8_Lj4EEEiS8_,comdat
	.globl	_ZN2at6native12_GLOBAL__N_119CatArrayBatchedCopyINS1_10OpaqueTypeILj4EEEjLi4ELi64ELi64EEEvPT_NS1_25CatArrInputTensorMetadataIS5_T0_XT2_EXT3_EEENS1_16TensorSizeStrideIS8_Lj4EEEiS8_ ; -- Begin function _ZN2at6native12_GLOBAL__N_119CatArrayBatchedCopyINS1_10OpaqueTypeILj4EEEjLi4ELi64ELi64EEEvPT_NS1_25CatArrInputTensorMetadataIS5_T0_XT2_EXT3_EEENS1_16TensorSizeStrideIS8_Lj4EEEiS8_
	.p2align	8
	.type	_ZN2at6native12_GLOBAL__N_119CatArrayBatchedCopyINS1_10OpaqueTypeILj4EEEjLi4ELi64ELi64EEEvPT_NS1_25CatArrInputTensorMetadataIS5_T0_XT2_EXT3_EEENS1_16TensorSizeStrideIS8_Lj4EEEiS8_,@function
_ZN2at6native12_GLOBAL__N_119CatArrayBatchedCopyINS1_10OpaqueTypeILj4EEEjLi4ELi64ELi64EEEvPT_NS1_25CatArrInputTensorMetadataIS5_T0_XT2_EXT3_EEENS1_16TensorSizeStrideIS8_Lj4EEEiS8_: ; @_ZN2at6native12_GLOBAL__N_119CatArrayBatchedCopyINS1_10OpaqueTypeILj4EEEjLi4ELi64ELi64EEEvPT_NS1_25CatArrInputTensorMetadataIS5_T0_XT2_EXT3_EEENS1_16TensorSizeStrideIS8_Lj4EEEiS8_
; %bb.0:
	s_load_dword s4, s[0:1], 0xd7c
	s_mov_b32 s10, s3
	s_or_b32 s3, s0, 8
	s_add_u32 s16, s0, 0xd70
	s_mov_b32 s11, 0
	s_addc_u32 s17, s1, 0
	s_waitcnt lgkmcnt(0)
	s_and_b32 s18, s4, 0xffff
	s_lshl_b64 s[8:9], s[10:11], 2
	s_add_u32 s4, s3, s8
	s_addc_u32 s5, s1, s9
	s_load_dword s24, s[4:5], 0x400
	s_mul_i32 s2, s2, s18
	v_add_u32_e32 v0, s2, v0
	s_waitcnt lgkmcnt(0)
	v_cmp_gt_u32_e32 vcc, s24, v0
	s_and_saveexec_b64 s[12:13], vcc
	s_cbranch_execz .LBB159_5
; %bb.1:
	s_mul_i32 s7, s10, 28
	s_mul_hi_u32 s2, s10, 28
	s_add_u32 s20, s4, s7
	s_addc_u32 s21, s5, s2
	s_add_u32 s26, s3, s10
	s_addc_u32 s27, s1, 0
	v_mov_b32_e32 v1, 0
	global_load_ubyte v2, v1, s[26:27] offset:1280
	s_mul_hi_u32 s19, s10, 7
	s_mul_i32 s25, s10, 7
	s_load_dwordx4 s[4:7], s[0:1], 0xd58
	s_load_dwordx2 s[22:23], s[0:1], 0xd68
	s_load_dwordx2 s[2:3], s[0:1], 0x0
	s_load_dwordx4 s[12:15], s[0:1], 0xd4c
	s_waitcnt lgkmcnt(0)
	s_load_dword s15, s[16:17], 0x0
                                        ; kill: killed $sgpr0 killed $sgpr1
	s_load_dwordx2 s[0:1], s[20:21], 0x544
	s_load_dword s30, s[20:21], 0x54c
                                        ; kill: killed $sgpr16 killed $sgpr17
	s_mov_b64 s[16:17], 0
	s_waitcnt lgkmcnt(0)
	s_mul_i32 s15, s15, s18
	s_waitcnt vmcnt(0)
	v_and_b32_e32 v2, 1, v2
	v_cmp_eq_u32_e32 vcc, 1, v2
	s_xor_b64 s[10:11], vcc, -1
	s_add_u32 s26, s26, s25
	s_addc_u32 s27, s27, s19
	s_sub_u32 s8, 0, s8
	s_subb_u32 s9, 0, s9
	s_add_u32 s28, s26, s8
	s_addc_u32 s29, s27, s9
	v_cndmask_b32_e64 v2, 0, 1, s[10:11]
	s_load_dword s25, s[28:29], 0x200
	s_load_dword s31, s[28:29], 0x300
	s_load_dwordx4 s[8:11], s[20:21], 0x550
	s_load_dwordx2 s[18:19], s[26:27], 0x0
	s_cmp_eq_u32 s22, 3
	s_waitcnt lgkmcnt(0)
	s_mul_i32 s20, s25, s23
	s_cselect_b32 s14, s31, s14
	s_cselect_b32 s21, s31, s30
	s_cmp_eq_u32 s22, 2
	s_cselect_b32 s13, s31, s13
	s_cselect_b32 s23, s31, s1
	s_cmp_eq_u32 s22, 1
	v_cvt_f32_u32_e32 v3, s14
	v_cvt_f32_u32_e32 v4, s21
	s_cselect_b32 s12, s31, s12
	s_cselect_b32 s22, s31, s0
	v_cvt_f32_u32_e32 v5, s13
	v_cvt_f32_u32_e32 v6, s23
	;; [unrolled: 1-line block ×4, first 2 shown]
	v_rcp_iflag_f32_e32 v3, v3
	v_rcp_iflag_f32_e32 v4, v4
	;; [unrolled: 1-line block ×6, first 2 shown]
	v_mul_f32_e32 v3, 0x4f7ffffe, v3
	v_mul_f32_e32 v4, 0x4f7ffffe, v4
	v_cvt_u32_f32_e32 v3, v3
	v_mul_f32_e32 v5, 0x4f7ffffe, v5
	v_cvt_u32_f32_e32 v9, v4
	;; [unrolled: 2-line block ×5, first 2 shown]
	v_cvt_u32_f32_e32 v10, v4
	s_sub_i32 s25, 0, s14
	s_sub_i32 s26, 0, s21
	;; [unrolled: 1-line block ×4, first 2 shown]
	v_mul_lo_u32 v4, s25, v3
	v_mul_lo_u32 v5, s26, v9
	s_sub_i32 s27, 0, s12
	s_sub_i32 s28, 0, s22
	v_mul_hi_u32 v4, v3, v4
	v_mul_lo_u32 v11, s0, v6
	v_mul_hi_u32 v5, v9, v5
	v_mul_lo_u32 v12, s1, v7
	v_add_u32_e32 v4, v3, v4
	v_mul_hi_u32 v3, v6, v11
	v_mul_lo_u32 v11, s27, v8
	v_add_u32_e32 v5, v9, v5
	;; [unrolled: 3-line block ×3, first 2 shown]
	v_mul_hi_u32 v3, v8, v11
	v_add_u32_e32 v7, v7, v9
	v_mul_hi_u32 v9, v10, v12
	v_add_u32_e32 v8, v8, v3
	v_add_u32_e32 v9, v10, v9
	v_cmp_ne_u32_e64 s[0:1], 1, v2
	s_branch .LBB159_3
.LBB159_2:                              ;   in Loop: Header=BB159_3 Depth=1
	v_lshl_add_u64 v[2:3], v[2:3], 2, s[18:19]
	global_load_dword v12, v[2:3], off
	v_mul_hi_u32 v10, v4, v0
	v_mad_u64_u32 v[2:3], s[28:29], s25, v10, v[0:1]
	v_not_b32_e32 v11, v10
	v_add_u32_e32 v3, 1, v10
	v_cmp_le_u32_e32 vcc, s14, v2
	s_nop 1
	v_cndmask_b32_e32 v3, v10, v3, vcc
	v_mad_u64_u32 v[10:11], s[28:29], s14, v11, v[0:1]
	v_cndmask_b32_e32 v2, v2, v10, vcc
	v_add_u32_e32 v10, 1, v3
	v_cmp_le_u32_e32 vcc, s14, v2
	s_nop 1
	v_cndmask_b32_e32 v2, v3, v10, vcc
	v_mul_hi_u32 v3, v2, v6
	v_mul_lo_u32 v10, v3, s13
	v_sub_u32_e32 v10, v2, v10
	v_add_u32_e32 v11, 1, v3
	v_cmp_le_u32_e32 vcc, s13, v10
	s_nop 1
	v_cndmask_b32_e32 v3, v3, v11, vcc
	v_subrev_u32_e32 v11, s13, v10
	v_cndmask_b32_e32 v10, v10, v11, vcc
	v_add_u32_e32 v11, 1, v3
	v_cmp_le_u32_e32 vcc, s13, v10
	s_nop 1
	v_cndmask_b32_e32 v10, v3, v11, vcc
	v_mul_lo_u32 v3, v10, s13
	v_sub_u32_e32 v3, v2, v3
	v_mul_lo_u32 v11, v3, s6
	v_mad_u64_u32 v[2:3], s[28:29], s25, v2, v[0:1]
	v_mul_hi_u32 v3, v10, v8
	v_mul_lo_u32 v13, v3, s12
	v_sub_u32_e32 v13, v10, v13
	v_add_u32_e32 v14, 1, v3
	v_cmp_le_u32_e32 vcc, s12, v13
	v_mul_lo_u32 v2, v2, s7
	v_add_u32_e32 v0, s15, v0
	v_cndmask_b32_e32 v3, v3, v14, vcc
	v_subrev_u32_e32 v14, s12, v13
	v_cndmask_b32_e32 v13, v13, v14, vcc
	v_add_u32_e32 v14, 1, v3
	v_cmp_le_u32_e32 vcc, s12, v13
	s_nop 1
	v_cndmask_b32_e32 v3, v3, v14, vcc
	v_mul_lo_u32 v13, v3, s12
	v_sub_u32_e32 v10, v10, v13
	v_mul_lo_u32 v3, v3, s4
	v_mul_lo_u32 v10, v10, s5
	v_add3_u32 v2, v3, v2, v11
	v_add3_u32 v2, v2, v10, s20
	v_mov_b32_e32 v3, v1
	v_cmp_le_u32_e32 vcc, s24, v0
	v_lshl_add_u64 v[2:3], v[2:3], 2, s[2:3]
	s_or_b64 s[16:17], vcc, s[16:17]
	s_waitcnt vmcnt(0)
	global_store_dword v[2:3], v12, off
	s_andn2_b64 exec, exec, s[16:17]
	s_cbranch_execz .LBB159_5
.LBB159_3:                              ; =>This Inner Loop Header: Depth=1
	s_and_b64 vcc, exec, s[0:1]
	v_mov_b64_e32 v[2:3], v[0:1]
	s_cbranch_vccnz .LBB159_2
; %bb.4:                                ;   in Loop: Header=BB159_3 Depth=1
	v_mul_hi_u32 v10, v5, v0
	v_mad_u64_u32 v[2:3], s[28:29], s26, v10, v[0:1]
	v_not_b32_e32 v11, v10
	v_add_u32_e32 v3, 1, v10
	v_cmp_le_u32_e32 vcc, s21, v2
	s_nop 1
	v_cndmask_b32_e32 v3, v10, v3, vcc
	v_mad_u64_u32 v[10:11], s[28:29], s21, v11, v[0:1]
	v_cndmask_b32_e32 v2, v2, v10, vcc
	v_add_u32_e32 v10, 1, v3
	v_cmp_le_u32_e32 vcc, s21, v2
	s_nop 1
	v_cndmask_b32_e32 v2, v3, v10, vcc
	v_mul_hi_u32 v3, v2, v7
	v_mul_lo_u32 v10, v3, s23
	v_sub_u32_e32 v10, v2, v10
	v_add_u32_e32 v11, 1, v3
	v_cmp_le_u32_e32 vcc, s23, v10
	s_nop 1
	v_cndmask_b32_e32 v3, v3, v11, vcc
	v_subrev_u32_e32 v11, s23, v10
	v_cndmask_b32_e32 v10, v10, v11, vcc
	v_add_u32_e32 v11, 1, v3
	v_cmp_le_u32_e32 vcc, s23, v10
	s_nop 1
	v_cndmask_b32_e32 v10, v3, v11, vcc
	v_mul_lo_u32 v3, v10, s23
	v_sub_u32_e32 v3, v2, v3
	v_mul_lo_u32 v11, v3, s10
	v_mad_u64_u32 v[2:3], s[28:29], s26, v2, v[0:1]
	v_mul_hi_u32 v3, v10, v9
	v_mul_lo_u32 v12, v3, s22
	v_sub_u32_e32 v12, v10, v12
	v_add_u32_e32 v13, 1, v3
	v_cmp_le_u32_e32 vcc, s22, v12
	v_mul_lo_u32 v2, v2, s11
	s_nop 0
	v_cndmask_b32_e32 v3, v3, v13, vcc
	v_subrev_u32_e32 v13, s22, v12
	v_cndmask_b32_e32 v12, v12, v13, vcc
	v_add_u32_e32 v13, 1, v3
	v_cmp_le_u32_e32 vcc, s22, v12
	s_nop 1
	v_cndmask_b32_e32 v3, v3, v13, vcc
	v_mul_lo_u32 v12, v3, s22
	v_sub_u32_e32 v10, v10, v12
	v_mul_lo_u32 v10, v10, s9
	v_mad_u64_u32 v[2:3], s[28:29], v3, s8, v[2:3]
	v_add3_u32 v2, v2, v11, v10
	v_mov_b32_e32 v3, v1
	s_branch .LBB159_2
.LBB159_5:
	s_endpgm
	.section	.rodata,"a",@progbits
	.p2align	6, 0x0
	.amdhsa_kernel _ZN2at6native12_GLOBAL__N_119CatArrayBatchedCopyINS1_10OpaqueTypeILj4EEEjLi4ELi64ELi64EEEvPT_NS1_25CatArrInputTensorMetadataIS5_T0_XT2_EXT3_EEENS1_16TensorSizeStrideIS8_Lj4EEEiS8_
		.amdhsa_group_segment_fixed_size 0
		.amdhsa_private_segment_fixed_size 0
		.amdhsa_kernarg_size 3696
		.amdhsa_user_sgpr_count 2
		.amdhsa_user_sgpr_dispatch_ptr 0
		.amdhsa_user_sgpr_queue_ptr 0
		.amdhsa_user_sgpr_kernarg_segment_ptr 1
		.amdhsa_user_sgpr_dispatch_id 0
		.amdhsa_user_sgpr_kernarg_preload_length 0
		.amdhsa_user_sgpr_kernarg_preload_offset 0
		.amdhsa_user_sgpr_private_segment_size 0
		.amdhsa_uses_dynamic_stack 0
		.amdhsa_enable_private_segment 0
		.amdhsa_system_sgpr_workgroup_id_x 1
		.amdhsa_system_sgpr_workgroup_id_y 1
		.amdhsa_system_sgpr_workgroup_id_z 0
		.amdhsa_system_sgpr_workgroup_info 0
		.amdhsa_system_vgpr_workitem_id 0
		.amdhsa_next_free_vgpr 15
		.amdhsa_next_free_sgpr 32
		.amdhsa_accum_offset 16
		.amdhsa_reserve_vcc 1
		.amdhsa_float_round_mode_32 0
		.amdhsa_float_round_mode_16_64 0
		.amdhsa_float_denorm_mode_32 3
		.amdhsa_float_denorm_mode_16_64 3
		.amdhsa_dx10_clamp 1
		.amdhsa_ieee_mode 1
		.amdhsa_fp16_overflow 0
		.amdhsa_tg_split 0
		.amdhsa_exception_fp_ieee_invalid_op 0
		.amdhsa_exception_fp_denorm_src 0
		.amdhsa_exception_fp_ieee_div_zero 0
		.amdhsa_exception_fp_ieee_overflow 0
		.amdhsa_exception_fp_ieee_underflow 0
		.amdhsa_exception_fp_ieee_inexact 0
		.amdhsa_exception_int_div_zero 0
	.end_amdhsa_kernel
	.section	.text._ZN2at6native12_GLOBAL__N_119CatArrayBatchedCopyINS1_10OpaqueTypeILj4EEEjLi4ELi64ELi64EEEvPT_NS1_25CatArrInputTensorMetadataIS5_T0_XT2_EXT3_EEENS1_16TensorSizeStrideIS8_Lj4EEEiS8_,"axG",@progbits,_ZN2at6native12_GLOBAL__N_119CatArrayBatchedCopyINS1_10OpaqueTypeILj4EEEjLi4ELi64ELi64EEEvPT_NS1_25CatArrInputTensorMetadataIS5_T0_XT2_EXT3_EEENS1_16TensorSizeStrideIS8_Lj4EEEiS8_,comdat
.Lfunc_end159:
	.size	_ZN2at6native12_GLOBAL__N_119CatArrayBatchedCopyINS1_10OpaqueTypeILj4EEEjLi4ELi64ELi64EEEvPT_NS1_25CatArrInputTensorMetadataIS5_T0_XT2_EXT3_EEENS1_16TensorSizeStrideIS8_Lj4EEEiS8_, .Lfunc_end159-_ZN2at6native12_GLOBAL__N_119CatArrayBatchedCopyINS1_10OpaqueTypeILj4EEEjLi4ELi64ELi64EEEvPT_NS1_25CatArrInputTensorMetadataIS5_T0_XT2_EXT3_EEENS1_16TensorSizeStrideIS8_Lj4EEEiS8_
                                        ; -- End function
	.set _ZN2at6native12_GLOBAL__N_119CatArrayBatchedCopyINS1_10OpaqueTypeILj4EEEjLi4ELi64ELi64EEEvPT_NS1_25CatArrInputTensorMetadataIS5_T0_XT2_EXT3_EEENS1_16TensorSizeStrideIS8_Lj4EEEiS8_.num_vgpr, 15
	.set _ZN2at6native12_GLOBAL__N_119CatArrayBatchedCopyINS1_10OpaqueTypeILj4EEEjLi4ELi64ELi64EEEvPT_NS1_25CatArrInputTensorMetadataIS5_T0_XT2_EXT3_EEENS1_16TensorSizeStrideIS8_Lj4EEEiS8_.num_agpr, 0
	.set _ZN2at6native12_GLOBAL__N_119CatArrayBatchedCopyINS1_10OpaqueTypeILj4EEEjLi4ELi64ELi64EEEvPT_NS1_25CatArrInputTensorMetadataIS5_T0_XT2_EXT3_EEENS1_16TensorSizeStrideIS8_Lj4EEEiS8_.numbered_sgpr, 32
	.set _ZN2at6native12_GLOBAL__N_119CatArrayBatchedCopyINS1_10OpaqueTypeILj4EEEjLi4ELi64ELi64EEEvPT_NS1_25CatArrInputTensorMetadataIS5_T0_XT2_EXT3_EEENS1_16TensorSizeStrideIS8_Lj4EEEiS8_.num_named_barrier, 0
	.set _ZN2at6native12_GLOBAL__N_119CatArrayBatchedCopyINS1_10OpaqueTypeILj4EEEjLi4ELi64ELi64EEEvPT_NS1_25CatArrInputTensorMetadataIS5_T0_XT2_EXT3_EEENS1_16TensorSizeStrideIS8_Lj4EEEiS8_.private_seg_size, 0
	.set _ZN2at6native12_GLOBAL__N_119CatArrayBatchedCopyINS1_10OpaqueTypeILj4EEEjLi4ELi64ELi64EEEvPT_NS1_25CatArrInputTensorMetadataIS5_T0_XT2_EXT3_EEENS1_16TensorSizeStrideIS8_Lj4EEEiS8_.uses_vcc, 1
	.set _ZN2at6native12_GLOBAL__N_119CatArrayBatchedCopyINS1_10OpaqueTypeILj4EEEjLi4ELi64ELi64EEEvPT_NS1_25CatArrInputTensorMetadataIS5_T0_XT2_EXT3_EEENS1_16TensorSizeStrideIS8_Lj4EEEiS8_.uses_flat_scratch, 0
	.set _ZN2at6native12_GLOBAL__N_119CatArrayBatchedCopyINS1_10OpaqueTypeILj4EEEjLi4ELi64ELi64EEEvPT_NS1_25CatArrInputTensorMetadataIS5_T0_XT2_EXT3_EEENS1_16TensorSizeStrideIS8_Lj4EEEiS8_.has_dyn_sized_stack, 0
	.set _ZN2at6native12_GLOBAL__N_119CatArrayBatchedCopyINS1_10OpaqueTypeILj4EEEjLi4ELi64ELi64EEEvPT_NS1_25CatArrInputTensorMetadataIS5_T0_XT2_EXT3_EEENS1_16TensorSizeStrideIS8_Lj4EEEiS8_.has_recursion, 0
	.set _ZN2at6native12_GLOBAL__N_119CatArrayBatchedCopyINS1_10OpaqueTypeILj4EEEjLi4ELi64ELi64EEEvPT_NS1_25CatArrInputTensorMetadataIS5_T0_XT2_EXT3_EEENS1_16TensorSizeStrideIS8_Lj4EEEiS8_.has_indirect_call, 0
	.section	.AMDGPU.csdata,"",@progbits
; Kernel info:
; codeLenInByte = 1204
; TotalNumSgprs: 38
; NumVgprs: 15
; NumAgprs: 0
; TotalNumVgprs: 15
; ScratchSize: 0
; MemoryBound: 0
; FloatMode: 240
; IeeeMode: 1
; LDSByteSize: 0 bytes/workgroup (compile time only)
; SGPRBlocks: 4
; VGPRBlocks: 1
; NumSGPRsForWavesPerEU: 38
; NumVGPRsForWavesPerEU: 15
; AccumOffset: 16
; Occupancy: 8
; WaveLimiterHint : 1
; COMPUTE_PGM_RSRC2:SCRATCH_EN: 0
; COMPUTE_PGM_RSRC2:USER_SGPR: 2
; COMPUTE_PGM_RSRC2:TRAP_HANDLER: 0
; COMPUTE_PGM_RSRC2:TGID_X_EN: 1
; COMPUTE_PGM_RSRC2:TGID_Y_EN: 1
; COMPUTE_PGM_RSRC2:TGID_Z_EN: 0
; COMPUTE_PGM_RSRC2:TIDIG_COMP_CNT: 0
; COMPUTE_PGM_RSRC3_GFX90A:ACCUM_OFFSET: 3
; COMPUTE_PGM_RSRC3_GFX90A:TG_SPLIT: 0
	.section	.text._ZN2at6native12_GLOBAL__N_130CatArrayBatchedCopy_vectorizedINS1_10OpaqueTypeILj8EEEjLi1ELi64ELi64ELi16ELi2EEEvPcNS1_25CatArrInputTensorMetadataIT_T0_XT2_EXT3_EEENS1_16TensorSizeStrideIS8_Lj4EEEiS8_,"axG",@progbits,_ZN2at6native12_GLOBAL__N_130CatArrayBatchedCopy_vectorizedINS1_10OpaqueTypeILj8EEEjLi1ELi64ELi64ELi16ELi2EEEvPcNS1_25CatArrInputTensorMetadataIT_T0_XT2_EXT3_EEENS1_16TensorSizeStrideIS8_Lj4EEEiS8_,comdat
	.globl	_ZN2at6native12_GLOBAL__N_130CatArrayBatchedCopy_vectorizedINS1_10OpaqueTypeILj8EEEjLi1ELi64ELi64ELi16ELi2EEEvPcNS1_25CatArrInputTensorMetadataIT_T0_XT2_EXT3_EEENS1_16TensorSizeStrideIS8_Lj4EEEiS8_ ; -- Begin function _ZN2at6native12_GLOBAL__N_130CatArrayBatchedCopy_vectorizedINS1_10OpaqueTypeILj8EEEjLi1ELi64ELi64ELi16ELi2EEEvPcNS1_25CatArrInputTensorMetadataIT_T0_XT2_EXT3_EEENS1_16TensorSizeStrideIS8_Lj4EEEiS8_
	.p2align	8
	.type	_ZN2at6native12_GLOBAL__N_130CatArrayBatchedCopy_vectorizedINS1_10OpaqueTypeILj8EEEjLi1ELi64ELi64ELi16ELi2EEEvPcNS1_25CatArrInputTensorMetadataIT_T0_XT2_EXT3_EEENS1_16TensorSizeStrideIS8_Lj4EEEiS8_,@function
_ZN2at6native12_GLOBAL__N_130CatArrayBatchedCopy_vectorizedINS1_10OpaqueTypeILj8EEEjLi1ELi64ELi64ELi16ELi2EEEvPcNS1_25CatArrInputTensorMetadataIT_T0_XT2_EXT3_EEENS1_16TensorSizeStrideIS8_Lj4EEEiS8_: ; @_ZN2at6native12_GLOBAL__N_130CatArrayBatchedCopy_vectorizedINS1_10OpaqueTypeILj8EEEjLi1ELi64ELi64ELi16ELi2EEEvPcNS1_25CatArrInputTensorMetadataIT_T0_XT2_EXT3_EEENS1_16TensorSizeStrideIS8_Lj4EEEiS8_
; %bb.0:
	s_mov_b32 s4, s3
	s_load_dword s3, s[0:1], 0xd7c
	s_add_u32 s6, s0, 0xd70
	s_mov_b32 s5, 0
	s_addc_u32 s7, s1, 0
	s_lshl_b64 s[8:9], s[4:5], 2
	s_waitcnt lgkmcnt(0)
	s_and_b32 s11, s3, 0xffff
	s_add_u32 s12, s0, s8
	s_addc_u32 s13, s1, s9
	s_load_dword s4, s[12:13], 0x408
	s_mul_i32 s2, s2, s11
	v_add_u32_e32 v0, s2, v0
	s_add_u32 s2, s12, 8
	s_addc_u32 s3, s13, 0
	s_waitcnt lgkmcnt(0)
	s_lshr_b32 s10, s4, 1
	v_cmp_gt_u32_e32 vcc, s10, v0
	s_and_saveexec_b64 s[12:13], vcc
	s_cbranch_execz .LBB160_3
; %bb.1:
	s_add_u32 s12, s2, s8
	s_addc_u32 s13, s3, s9
	s_sub_u32 s2, 0, s8
	s_subb_u32 s3, 0, s9
	s_add_u32 s8, s12, s2
	s_addc_u32 s9, s13, s3
	s_load_dword s4, s[8:9], 0x200
	s_load_dwordx2 s[14:15], s[0:1], 0x0
	s_load_dword s16, s[0:1], 0xd6c
	s_load_dwordx2 s[2:3], s[12:13], 0x0
	s_load_dword s17, s[0:1], 0xd58
	s_load_dword s18, s[6:7], 0x0
	s_mov_b64 s[0:1], 0
	s_waitcnt lgkmcnt(0)
	s_mul_i32 s4, s4, s16
	s_lshr_b32 s4, s4, 1
	s_lshl_b64 s[4:5], s[4:5], 4
	s_mul_i32 s6, s18, s11
	s_add_u32 s4, s14, s4
	s_addc_u32 s5, s15, s5
	v_mul_lo_u32 v2, s17, v0
	s_mul_i32 s7, s6, s17
	v_mov_b32_e32 v3, 0
.LBB160_2:                              ; =>This Inner Loop Header: Depth=1
	v_mov_b32_e32 v1, v3
	v_lshl_add_u64 v[4:5], v[0:1], 4, s[2:3]
	global_load_dwordx4 v[4:7], v[4:5], off
	v_add_u32_e32 v0, s6, v0
	v_cmp_le_u32_e32 vcc, s10, v0
	v_lshl_add_u64 v[8:9], v[2:3], 4, s[4:5]
	v_add_u32_e32 v2, s7, v2
	s_or_b64 s[0:1], vcc, s[0:1]
	s_waitcnt vmcnt(0)
	global_store_dwordx4 v[8:9], v[4:7], off
	s_andn2_b64 exec, exec, s[0:1]
	s_cbranch_execnz .LBB160_2
.LBB160_3:
	s_endpgm
	.section	.rodata,"a",@progbits
	.p2align	6, 0x0
	.amdhsa_kernel _ZN2at6native12_GLOBAL__N_130CatArrayBatchedCopy_vectorizedINS1_10OpaqueTypeILj8EEEjLi1ELi64ELi64ELi16ELi2EEEvPcNS1_25CatArrInputTensorMetadataIT_T0_XT2_EXT3_EEENS1_16TensorSizeStrideIS8_Lj4EEEiS8_
		.amdhsa_group_segment_fixed_size 0
		.amdhsa_private_segment_fixed_size 0
		.amdhsa_kernarg_size 3696
		.amdhsa_user_sgpr_count 2
		.amdhsa_user_sgpr_dispatch_ptr 0
		.amdhsa_user_sgpr_queue_ptr 0
		.amdhsa_user_sgpr_kernarg_segment_ptr 1
		.amdhsa_user_sgpr_dispatch_id 0
		.amdhsa_user_sgpr_kernarg_preload_length 0
		.amdhsa_user_sgpr_kernarg_preload_offset 0
		.amdhsa_user_sgpr_private_segment_size 0
		.amdhsa_uses_dynamic_stack 0
		.amdhsa_enable_private_segment 0
		.amdhsa_system_sgpr_workgroup_id_x 1
		.amdhsa_system_sgpr_workgroup_id_y 1
		.amdhsa_system_sgpr_workgroup_id_z 0
		.amdhsa_system_sgpr_workgroup_info 0
		.amdhsa_system_vgpr_workitem_id 0
		.amdhsa_next_free_vgpr 10
		.amdhsa_next_free_sgpr 19
		.amdhsa_accum_offset 12
		.amdhsa_reserve_vcc 1
		.amdhsa_float_round_mode_32 0
		.amdhsa_float_round_mode_16_64 0
		.amdhsa_float_denorm_mode_32 3
		.amdhsa_float_denorm_mode_16_64 3
		.amdhsa_dx10_clamp 1
		.amdhsa_ieee_mode 1
		.amdhsa_fp16_overflow 0
		.amdhsa_tg_split 0
		.amdhsa_exception_fp_ieee_invalid_op 0
		.amdhsa_exception_fp_denorm_src 0
		.amdhsa_exception_fp_ieee_div_zero 0
		.amdhsa_exception_fp_ieee_overflow 0
		.amdhsa_exception_fp_ieee_underflow 0
		.amdhsa_exception_fp_ieee_inexact 0
		.amdhsa_exception_int_div_zero 0
	.end_amdhsa_kernel
	.section	.text._ZN2at6native12_GLOBAL__N_130CatArrayBatchedCopy_vectorizedINS1_10OpaqueTypeILj8EEEjLi1ELi64ELi64ELi16ELi2EEEvPcNS1_25CatArrInputTensorMetadataIT_T0_XT2_EXT3_EEENS1_16TensorSizeStrideIS8_Lj4EEEiS8_,"axG",@progbits,_ZN2at6native12_GLOBAL__N_130CatArrayBatchedCopy_vectorizedINS1_10OpaqueTypeILj8EEEjLi1ELi64ELi64ELi16ELi2EEEvPcNS1_25CatArrInputTensorMetadataIT_T0_XT2_EXT3_EEENS1_16TensorSizeStrideIS8_Lj4EEEiS8_,comdat
.Lfunc_end160:
	.size	_ZN2at6native12_GLOBAL__N_130CatArrayBatchedCopy_vectorizedINS1_10OpaqueTypeILj8EEEjLi1ELi64ELi64ELi16ELi2EEEvPcNS1_25CatArrInputTensorMetadataIT_T0_XT2_EXT3_EEENS1_16TensorSizeStrideIS8_Lj4EEEiS8_, .Lfunc_end160-_ZN2at6native12_GLOBAL__N_130CatArrayBatchedCopy_vectorizedINS1_10OpaqueTypeILj8EEEjLi1ELi64ELi64ELi16ELi2EEEvPcNS1_25CatArrInputTensorMetadataIT_T0_XT2_EXT3_EEENS1_16TensorSizeStrideIS8_Lj4EEEiS8_
                                        ; -- End function
	.set _ZN2at6native12_GLOBAL__N_130CatArrayBatchedCopy_vectorizedINS1_10OpaqueTypeILj8EEEjLi1ELi64ELi64ELi16ELi2EEEvPcNS1_25CatArrInputTensorMetadataIT_T0_XT2_EXT3_EEENS1_16TensorSizeStrideIS8_Lj4EEEiS8_.num_vgpr, 10
	.set _ZN2at6native12_GLOBAL__N_130CatArrayBatchedCopy_vectorizedINS1_10OpaqueTypeILj8EEEjLi1ELi64ELi64ELi16ELi2EEEvPcNS1_25CatArrInputTensorMetadataIT_T0_XT2_EXT3_EEENS1_16TensorSizeStrideIS8_Lj4EEEiS8_.num_agpr, 0
	.set _ZN2at6native12_GLOBAL__N_130CatArrayBatchedCopy_vectorizedINS1_10OpaqueTypeILj8EEEjLi1ELi64ELi64ELi16ELi2EEEvPcNS1_25CatArrInputTensorMetadataIT_T0_XT2_EXT3_EEENS1_16TensorSizeStrideIS8_Lj4EEEiS8_.numbered_sgpr, 19
	.set _ZN2at6native12_GLOBAL__N_130CatArrayBatchedCopy_vectorizedINS1_10OpaqueTypeILj8EEEjLi1ELi64ELi64ELi16ELi2EEEvPcNS1_25CatArrInputTensorMetadataIT_T0_XT2_EXT3_EEENS1_16TensorSizeStrideIS8_Lj4EEEiS8_.num_named_barrier, 0
	.set _ZN2at6native12_GLOBAL__N_130CatArrayBatchedCopy_vectorizedINS1_10OpaqueTypeILj8EEEjLi1ELi64ELi64ELi16ELi2EEEvPcNS1_25CatArrInputTensorMetadataIT_T0_XT2_EXT3_EEENS1_16TensorSizeStrideIS8_Lj4EEEiS8_.private_seg_size, 0
	.set _ZN2at6native12_GLOBAL__N_130CatArrayBatchedCopy_vectorizedINS1_10OpaqueTypeILj8EEEjLi1ELi64ELi64ELi16ELi2EEEvPcNS1_25CatArrInputTensorMetadataIT_T0_XT2_EXT3_EEENS1_16TensorSizeStrideIS8_Lj4EEEiS8_.uses_vcc, 1
	.set _ZN2at6native12_GLOBAL__N_130CatArrayBatchedCopy_vectorizedINS1_10OpaqueTypeILj8EEEjLi1ELi64ELi64ELi16ELi2EEEvPcNS1_25CatArrInputTensorMetadataIT_T0_XT2_EXT3_EEENS1_16TensorSizeStrideIS8_Lj4EEEiS8_.uses_flat_scratch, 0
	.set _ZN2at6native12_GLOBAL__N_130CatArrayBatchedCopy_vectorizedINS1_10OpaqueTypeILj8EEEjLi1ELi64ELi64ELi16ELi2EEEvPcNS1_25CatArrInputTensorMetadataIT_T0_XT2_EXT3_EEENS1_16TensorSizeStrideIS8_Lj4EEEiS8_.has_dyn_sized_stack, 0
	.set _ZN2at6native12_GLOBAL__N_130CatArrayBatchedCopy_vectorizedINS1_10OpaqueTypeILj8EEEjLi1ELi64ELi64ELi16ELi2EEEvPcNS1_25CatArrInputTensorMetadataIT_T0_XT2_EXT3_EEENS1_16TensorSizeStrideIS8_Lj4EEEiS8_.has_recursion, 0
	.set _ZN2at6native12_GLOBAL__N_130CatArrayBatchedCopy_vectorizedINS1_10OpaqueTypeILj8EEEjLi1ELi64ELi64ELi16ELi2EEEvPcNS1_25CatArrInputTensorMetadataIT_T0_XT2_EXT3_EEENS1_16TensorSizeStrideIS8_Lj4EEEiS8_.has_indirect_call, 0
	.section	.AMDGPU.csdata,"",@progbits
; Kernel info:
; codeLenInByte = 284
; TotalNumSgprs: 25
; NumVgprs: 10
; NumAgprs: 0
; TotalNumVgprs: 10
; ScratchSize: 0
; MemoryBound: 0
; FloatMode: 240
; IeeeMode: 1
; LDSByteSize: 0 bytes/workgroup (compile time only)
; SGPRBlocks: 3
; VGPRBlocks: 1
; NumSGPRsForWavesPerEU: 25
; NumVGPRsForWavesPerEU: 10
; AccumOffset: 12
; Occupancy: 8
; WaveLimiterHint : 1
; COMPUTE_PGM_RSRC2:SCRATCH_EN: 0
; COMPUTE_PGM_RSRC2:USER_SGPR: 2
; COMPUTE_PGM_RSRC2:TRAP_HANDLER: 0
; COMPUTE_PGM_RSRC2:TGID_X_EN: 1
; COMPUTE_PGM_RSRC2:TGID_Y_EN: 1
; COMPUTE_PGM_RSRC2:TGID_Z_EN: 0
; COMPUTE_PGM_RSRC2:TIDIG_COMP_CNT: 0
; COMPUTE_PGM_RSRC3_GFX90A:ACCUM_OFFSET: 2
; COMPUTE_PGM_RSRC3_GFX90A:TG_SPLIT: 0
	.section	.text._ZN2at6native12_GLOBAL__N_135CatArrayBatchedCopy_alignedK_contigINS1_10OpaqueTypeILj8EEEjLi1ELi64ELi64ELi16EEEvPT_NS1_25CatArrInputTensorMetadataIS5_T0_XT2_EXT3_EEENS1_16TensorSizeStrideIS8_Lj4EEEiS8_,"axG",@progbits,_ZN2at6native12_GLOBAL__N_135CatArrayBatchedCopy_alignedK_contigINS1_10OpaqueTypeILj8EEEjLi1ELi64ELi64ELi16EEEvPT_NS1_25CatArrInputTensorMetadataIS5_T0_XT2_EXT3_EEENS1_16TensorSizeStrideIS8_Lj4EEEiS8_,comdat
	.globl	_ZN2at6native12_GLOBAL__N_135CatArrayBatchedCopy_alignedK_contigINS1_10OpaqueTypeILj8EEEjLi1ELi64ELi64ELi16EEEvPT_NS1_25CatArrInputTensorMetadataIS5_T0_XT2_EXT3_EEENS1_16TensorSizeStrideIS8_Lj4EEEiS8_ ; -- Begin function _ZN2at6native12_GLOBAL__N_135CatArrayBatchedCopy_alignedK_contigINS1_10OpaqueTypeILj8EEEjLi1ELi64ELi64ELi16EEEvPT_NS1_25CatArrInputTensorMetadataIS5_T0_XT2_EXT3_EEENS1_16TensorSizeStrideIS8_Lj4EEEiS8_
	.p2align	8
	.type	_ZN2at6native12_GLOBAL__N_135CatArrayBatchedCopy_alignedK_contigINS1_10OpaqueTypeILj8EEEjLi1ELi64ELi64ELi16EEEvPT_NS1_25CatArrInputTensorMetadataIS5_T0_XT2_EXT3_EEENS1_16TensorSizeStrideIS8_Lj4EEEiS8_,@function
_ZN2at6native12_GLOBAL__N_135CatArrayBatchedCopy_alignedK_contigINS1_10OpaqueTypeILj8EEEjLi1ELi64ELi64ELi16EEEvPT_NS1_25CatArrInputTensorMetadataIS5_T0_XT2_EXT3_EEENS1_16TensorSizeStrideIS8_Lj4EEEiS8_: ; @_ZN2at6native12_GLOBAL__N_135CatArrayBatchedCopy_alignedK_contigINS1_10OpaqueTypeILj8EEEjLi1ELi64ELi64ELi16EEEvPT_NS1_25CatArrInputTensorMetadataIS5_T0_XT2_EXT3_EEENS1_16TensorSizeStrideIS8_Lj4EEEiS8_
; %bb.0:
	s_mov_b32 s4, s3
	s_load_dword s3, s[0:1], 0xd7c
	s_add_u32 s8, s0, 0xd70
	s_addc_u32 s9, s1, 0
	s_mov_b32 s5, 0
	s_waitcnt lgkmcnt(0)
	s_and_b32 s13, s3, 0xffff
	s_mul_i32 s6, s2, s13
	s_lshl_b64 s[2:3], s[4:5], 2
	s_add_u32 s4, s0, s2
	s_addc_u32 s5, s1, s3
	s_load_dword s10, s[4:5], 0x408
	v_add_u32_e32 v1, s6, v0
	v_lshlrev_b32_e32 v0, 1, v1
	s_add_u32 s4, s4, 8
	s_addc_u32 s5, s5, 0
	s_waitcnt lgkmcnt(0)
	v_cmp_gt_u32_e32 vcc, s10, v0
	s_and_saveexec_b64 s[6:7], vcc
	s_cbranch_execz .LBB161_8
; %bb.1:
	s_add_u32 s6, s4, s2
	s_addc_u32 s7, s5, s3
	s_sub_u32 s2, 0, s2
	s_subb_u32 s3, 0, s3
	s_add_u32 s14, s6, s2
	s_addc_u32 s15, s7, s3
	s_load_dword s12, s[14:15], 0x200
	s_load_dword s16, s[0:1], 0xd6c
	s_load_dwordx2 s[2:3], s[0:1], 0x0
	s_load_dwordx2 s[4:5], s[6:7], 0x0
	s_load_dword s11, s[0:1], 0xd58
	v_add_u32_e32 v2, 2, v0
	s_mov_b64 s[0:1], 0
	s_waitcnt lgkmcnt(0)
	s_mul_i32 s12, s12, s16
	v_cmp_ge_u32_e32 vcc, s10, v2
	s_and_saveexec_b64 s[6:7], vcc
	s_cbranch_execz .LBB161_5
; %bb.2:
	s_load_dword s8, s[8:9], 0x0
	v_mul_lo_u32 v2, s11, v0
	v_mul_lo_u32 v1, s11, v1
	v_add_u32_e32 v2, s11, v2
	v_lshlrev_b32_e32 v3, 1, v1
	s_waitcnt lgkmcnt(0)
	s_mul_i32 s9, s8, s13
	s_lshl_b32 s8, s9, 1
	s_mul_i32 s9, s9, s11
	s_lshl_b32 s9, s9, 1
	v_mov_b32_e32 v1, 0
	s_mov_b32 s13, s12
.LBB161_3:                              ; =>This Inner Loop Header: Depth=1
	v_lshl_add_u64 v[4:5], v[0:1], 3, s[4:5]
	global_load_dwordx4 v[4:7], v[4:5], off
	v_add_u32_e32 v0, s8, v0
	v_add_u32_e32 v12, 2, v0
	;; [unrolled: 1-line block ×3, first 2 shown]
	v_mov_b32_e32 v9, v1
	v_add_u32_e32 v10, s13, v2
	s_add_i32 s13, s13, s9
	v_cmp_lt_u32_e32 vcc, s10, v12
	v_mov_b32_e32 v11, v1
	v_lshl_add_u64 v[8:9], v[8:9], 3, s[2:3]
	s_or_b64 s[0:1], vcc, s[0:1]
	v_lshl_add_u64 v[10:11], v[10:11], 3, s[2:3]
	s_waitcnt vmcnt(0)
	global_store_dwordx2 v[8:9], v[4:5], off
	global_store_dwordx2 v[10:11], v[6:7], off
	s_andn2_b64 exec, exec, s[0:1]
	s_cbranch_execnz .LBB161_3
; %bb.4:
	s_or_b64 exec, exec, s[0:1]
.LBB161_5:
	s_or_b64 exec, exec, s[6:7]
	v_cmp_gt_u32_e32 vcc, s10, v0
	s_and_b64 exec, exec, vcc
	s_cbranch_execz .LBB161_8
; %bb.6:
	v_mov_b32_e32 v3, 0
	v_mov_b32_e32 v1, v3
	v_lshl_add_u64 v[4:5], v[0:1], 3, s[4:5]
	v_mul_lo_u32 v1, v0, s11
	v_add_u32_e32 v2, s12, v1
	s_mov_b64 s[0:1], 0
.LBB161_7:                              ; =>This Inner Loop Header: Depth=1
	global_load_dwordx2 v[6:7], v[4:5], off
	v_add_u32_e32 v0, 1, v0
	v_cmp_le_u32_e32 vcc, s10, v0
	v_lshl_add_u64 v[8:9], v[2:3], 3, s[2:3]
	v_lshl_add_u64 v[4:5], v[4:5], 0, 8
	v_add_u32_e32 v2, s11, v2
	s_or_b64 s[0:1], vcc, s[0:1]
	s_waitcnt vmcnt(0)
	global_store_dwordx2 v[8:9], v[6:7], off
	s_andn2_b64 exec, exec, s[0:1]
	s_cbranch_execnz .LBB161_7
.LBB161_8:
	s_endpgm
	.section	.rodata,"a",@progbits
	.p2align	6, 0x0
	.amdhsa_kernel _ZN2at6native12_GLOBAL__N_135CatArrayBatchedCopy_alignedK_contigINS1_10OpaqueTypeILj8EEEjLi1ELi64ELi64ELi16EEEvPT_NS1_25CatArrInputTensorMetadataIS5_T0_XT2_EXT3_EEENS1_16TensorSizeStrideIS8_Lj4EEEiS8_
		.amdhsa_group_segment_fixed_size 0
		.amdhsa_private_segment_fixed_size 0
		.amdhsa_kernarg_size 3696
		.amdhsa_user_sgpr_count 2
		.amdhsa_user_sgpr_dispatch_ptr 0
		.amdhsa_user_sgpr_queue_ptr 0
		.amdhsa_user_sgpr_kernarg_segment_ptr 1
		.amdhsa_user_sgpr_dispatch_id 0
		.amdhsa_user_sgpr_kernarg_preload_length 0
		.amdhsa_user_sgpr_kernarg_preload_offset 0
		.amdhsa_user_sgpr_private_segment_size 0
		.amdhsa_uses_dynamic_stack 0
		.amdhsa_enable_private_segment 0
		.amdhsa_system_sgpr_workgroup_id_x 1
		.amdhsa_system_sgpr_workgroup_id_y 1
		.amdhsa_system_sgpr_workgroup_id_z 0
		.amdhsa_system_sgpr_workgroup_info 0
		.amdhsa_system_vgpr_workitem_id 0
		.amdhsa_next_free_vgpr 13
		.amdhsa_next_free_sgpr 17
		.amdhsa_accum_offset 16
		.amdhsa_reserve_vcc 1
		.amdhsa_float_round_mode_32 0
		.amdhsa_float_round_mode_16_64 0
		.amdhsa_float_denorm_mode_32 3
		.amdhsa_float_denorm_mode_16_64 3
		.amdhsa_dx10_clamp 1
		.amdhsa_ieee_mode 1
		.amdhsa_fp16_overflow 0
		.amdhsa_tg_split 0
		.amdhsa_exception_fp_ieee_invalid_op 0
		.amdhsa_exception_fp_denorm_src 0
		.amdhsa_exception_fp_ieee_div_zero 0
		.amdhsa_exception_fp_ieee_overflow 0
		.amdhsa_exception_fp_ieee_underflow 0
		.amdhsa_exception_fp_ieee_inexact 0
		.amdhsa_exception_int_div_zero 0
	.end_amdhsa_kernel
	.section	.text._ZN2at6native12_GLOBAL__N_135CatArrayBatchedCopy_alignedK_contigINS1_10OpaqueTypeILj8EEEjLi1ELi64ELi64ELi16EEEvPT_NS1_25CatArrInputTensorMetadataIS5_T0_XT2_EXT3_EEENS1_16TensorSizeStrideIS8_Lj4EEEiS8_,"axG",@progbits,_ZN2at6native12_GLOBAL__N_135CatArrayBatchedCopy_alignedK_contigINS1_10OpaqueTypeILj8EEEjLi1ELi64ELi64ELi16EEEvPT_NS1_25CatArrInputTensorMetadataIS5_T0_XT2_EXT3_EEENS1_16TensorSizeStrideIS8_Lj4EEEiS8_,comdat
.Lfunc_end161:
	.size	_ZN2at6native12_GLOBAL__N_135CatArrayBatchedCopy_alignedK_contigINS1_10OpaqueTypeILj8EEEjLi1ELi64ELi64ELi16EEEvPT_NS1_25CatArrInputTensorMetadataIS5_T0_XT2_EXT3_EEENS1_16TensorSizeStrideIS8_Lj4EEEiS8_, .Lfunc_end161-_ZN2at6native12_GLOBAL__N_135CatArrayBatchedCopy_alignedK_contigINS1_10OpaqueTypeILj8EEEjLi1ELi64ELi64ELi16EEEvPT_NS1_25CatArrInputTensorMetadataIS5_T0_XT2_EXT3_EEENS1_16TensorSizeStrideIS8_Lj4EEEiS8_
                                        ; -- End function
	.set _ZN2at6native12_GLOBAL__N_135CatArrayBatchedCopy_alignedK_contigINS1_10OpaqueTypeILj8EEEjLi1ELi64ELi64ELi16EEEvPT_NS1_25CatArrInputTensorMetadataIS5_T0_XT2_EXT3_EEENS1_16TensorSizeStrideIS8_Lj4EEEiS8_.num_vgpr, 13
	.set _ZN2at6native12_GLOBAL__N_135CatArrayBatchedCopy_alignedK_contigINS1_10OpaqueTypeILj8EEEjLi1ELi64ELi64ELi16EEEvPT_NS1_25CatArrInputTensorMetadataIS5_T0_XT2_EXT3_EEENS1_16TensorSizeStrideIS8_Lj4EEEiS8_.num_agpr, 0
	.set _ZN2at6native12_GLOBAL__N_135CatArrayBatchedCopy_alignedK_contigINS1_10OpaqueTypeILj8EEEjLi1ELi64ELi64ELi16EEEvPT_NS1_25CatArrInputTensorMetadataIS5_T0_XT2_EXT3_EEENS1_16TensorSizeStrideIS8_Lj4EEEiS8_.numbered_sgpr, 17
	.set _ZN2at6native12_GLOBAL__N_135CatArrayBatchedCopy_alignedK_contigINS1_10OpaqueTypeILj8EEEjLi1ELi64ELi64ELi16EEEvPT_NS1_25CatArrInputTensorMetadataIS5_T0_XT2_EXT3_EEENS1_16TensorSizeStrideIS8_Lj4EEEiS8_.num_named_barrier, 0
	.set _ZN2at6native12_GLOBAL__N_135CatArrayBatchedCopy_alignedK_contigINS1_10OpaqueTypeILj8EEEjLi1ELi64ELi64ELi16EEEvPT_NS1_25CatArrInputTensorMetadataIS5_T0_XT2_EXT3_EEENS1_16TensorSizeStrideIS8_Lj4EEEiS8_.private_seg_size, 0
	.set _ZN2at6native12_GLOBAL__N_135CatArrayBatchedCopy_alignedK_contigINS1_10OpaqueTypeILj8EEEjLi1ELi64ELi64ELi16EEEvPT_NS1_25CatArrInputTensorMetadataIS5_T0_XT2_EXT3_EEENS1_16TensorSizeStrideIS8_Lj4EEEiS8_.uses_vcc, 1
	.set _ZN2at6native12_GLOBAL__N_135CatArrayBatchedCopy_alignedK_contigINS1_10OpaqueTypeILj8EEEjLi1ELi64ELi64ELi16EEEvPT_NS1_25CatArrInputTensorMetadataIS5_T0_XT2_EXT3_EEENS1_16TensorSizeStrideIS8_Lj4EEEiS8_.uses_flat_scratch, 0
	.set _ZN2at6native12_GLOBAL__N_135CatArrayBatchedCopy_alignedK_contigINS1_10OpaqueTypeILj8EEEjLi1ELi64ELi64ELi16EEEvPT_NS1_25CatArrInputTensorMetadataIS5_T0_XT2_EXT3_EEENS1_16TensorSizeStrideIS8_Lj4EEEiS8_.has_dyn_sized_stack, 0
	.set _ZN2at6native12_GLOBAL__N_135CatArrayBatchedCopy_alignedK_contigINS1_10OpaqueTypeILj8EEEjLi1ELi64ELi64ELi16EEEvPT_NS1_25CatArrInputTensorMetadataIS5_T0_XT2_EXT3_EEENS1_16TensorSizeStrideIS8_Lj4EEEiS8_.has_recursion, 0
	.set _ZN2at6native12_GLOBAL__N_135CatArrayBatchedCopy_alignedK_contigINS1_10OpaqueTypeILj8EEEjLi1ELi64ELi64ELi16EEEvPT_NS1_25CatArrInputTensorMetadataIS5_T0_XT2_EXT3_EEENS1_16TensorSizeStrideIS8_Lj4EEEiS8_.has_indirect_call, 0
	.section	.AMDGPU.csdata,"",@progbits
; Kernel info:
; codeLenInByte = 460
; TotalNumSgprs: 23
; NumVgprs: 13
; NumAgprs: 0
; TotalNumVgprs: 13
; ScratchSize: 0
; MemoryBound: 0
; FloatMode: 240
; IeeeMode: 1
; LDSByteSize: 0 bytes/workgroup (compile time only)
; SGPRBlocks: 2
; VGPRBlocks: 1
; NumSGPRsForWavesPerEU: 23
; NumVGPRsForWavesPerEU: 13
; AccumOffset: 16
; Occupancy: 8
; WaveLimiterHint : 1
; COMPUTE_PGM_RSRC2:SCRATCH_EN: 0
; COMPUTE_PGM_RSRC2:USER_SGPR: 2
; COMPUTE_PGM_RSRC2:TRAP_HANDLER: 0
; COMPUTE_PGM_RSRC2:TGID_X_EN: 1
; COMPUTE_PGM_RSRC2:TGID_Y_EN: 1
; COMPUTE_PGM_RSRC2:TGID_Z_EN: 0
; COMPUTE_PGM_RSRC2:TIDIG_COMP_CNT: 0
; COMPUTE_PGM_RSRC3_GFX90A:ACCUM_OFFSET: 3
; COMPUTE_PGM_RSRC3_GFX90A:TG_SPLIT: 0
	.section	.text._ZN2at6native12_GLOBAL__N_135CatArrayBatchedCopy_alignedK_contigINS1_10OpaqueTypeILj8EEEjLi1ELi64ELi64ELi8EEEvPT_NS1_25CatArrInputTensorMetadataIS5_T0_XT2_EXT3_EEENS1_16TensorSizeStrideIS8_Lj4EEEiS8_,"axG",@progbits,_ZN2at6native12_GLOBAL__N_135CatArrayBatchedCopy_alignedK_contigINS1_10OpaqueTypeILj8EEEjLi1ELi64ELi64ELi8EEEvPT_NS1_25CatArrInputTensorMetadataIS5_T0_XT2_EXT3_EEENS1_16TensorSizeStrideIS8_Lj4EEEiS8_,comdat
	.globl	_ZN2at6native12_GLOBAL__N_135CatArrayBatchedCopy_alignedK_contigINS1_10OpaqueTypeILj8EEEjLi1ELi64ELi64ELi8EEEvPT_NS1_25CatArrInputTensorMetadataIS5_T0_XT2_EXT3_EEENS1_16TensorSizeStrideIS8_Lj4EEEiS8_ ; -- Begin function _ZN2at6native12_GLOBAL__N_135CatArrayBatchedCopy_alignedK_contigINS1_10OpaqueTypeILj8EEEjLi1ELi64ELi64ELi8EEEvPT_NS1_25CatArrInputTensorMetadataIS5_T0_XT2_EXT3_EEENS1_16TensorSizeStrideIS8_Lj4EEEiS8_
	.p2align	8
	.type	_ZN2at6native12_GLOBAL__N_135CatArrayBatchedCopy_alignedK_contigINS1_10OpaqueTypeILj8EEEjLi1ELi64ELi64ELi8EEEvPT_NS1_25CatArrInputTensorMetadataIS5_T0_XT2_EXT3_EEENS1_16TensorSizeStrideIS8_Lj4EEEiS8_,@function
_ZN2at6native12_GLOBAL__N_135CatArrayBatchedCopy_alignedK_contigINS1_10OpaqueTypeILj8EEEjLi1ELi64ELi64ELi8EEEvPT_NS1_25CatArrInputTensorMetadataIS5_T0_XT2_EXT3_EEENS1_16TensorSizeStrideIS8_Lj4EEEiS8_: ; @_ZN2at6native12_GLOBAL__N_135CatArrayBatchedCopy_alignedK_contigINS1_10OpaqueTypeILj8EEEjLi1ELi64ELi64ELi8EEEvPT_NS1_25CatArrInputTensorMetadataIS5_T0_XT2_EXT3_EEENS1_16TensorSizeStrideIS8_Lj4EEEiS8_
; %bb.0:
	s_mov_b32 s4, s3
	s_load_dword s3, s[0:1], 0xd7c
	s_add_u32 s6, s0, 0xd70
	s_mov_b32 s5, 0
	s_addc_u32 s7, s1, 0
	s_lshl_b64 s[4:5], s[4:5], 2
	s_waitcnt lgkmcnt(0)
	s_and_b32 s9, s3, 0xffff
	s_add_u32 s10, s0, s4
	s_addc_u32 s11, s1, s5
	s_load_dword s8, s[10:11], 0x408
	s_mul_i32 s2, s2, s9
	v_add_u32_e32 v0, s2, v0
	s_add_u32 s2, s10, 8
	s_addc_u32 s3, s11, 0
	s_waitcnt lgkmcnt(0)
	v_cmp_gt_u32_e32 vcc, s8, v0
	s_and_saveexec_b64 s[10:11], vcc
	s_cbranch_execz .LBB162_6
; %bb.1:
	s_add_u32 s10, s2, s4
	s_addc_u32 s11, s3, s5
	s_sub_u32 s2, 0, s4
	s_subb_u32 s3, 0, s5
	s_add_u32 s12, s10, s2
	s_load_dword s7, s[6:7], 0x0
	s_addc_u32 s13, s11, s3
	s_load_dword s14, s[12:13], 0x200
	s_load_dword s15, s[0:1], 0xd6c
	s_load_dwordx2 s[4:5], s[10:11], 0x0
	s_load_dword s6, s[0:1], 0xd58
	s_load_dwordx2 s[2:3], s[0:1], 0x0
	s_mov_b64 s[0:1], 0
	s_waitcnt lgkmcnt(0)
	s_mul_i32 s14, s14, s15
	s_mul_i32 s7, s7, s9
	v_mul_lo_u32 v1, s6, v0
	s_mul_i32 s9, s7, s6
	v_add_u32_e32 v2, s14, v1
	v_mov_b32_e32 v1, 0
.LBB162_2:                              ; =>This Inner Loop Header: Depth=1
	v_lshl_add_u64 v[4:5], v[0:1], 3, s[4:5]
	global_load_dwordx2 v[4:5], v[4:5], off
	v_mov_b32_e32 v3, v1
	v_add_u32_e32 v0, s7, v0
	v_lshl_add_u64 v[6:7], v[2:3], 3, s[2:3]
	v_add_u32_e32 v3, 1, v0
	v_cmp_lt_u32_e32 vcc, s8, v3
	v_add_u32_e32 v2, s9, v2
	s_or_b64 s[0:1], vcc, s[0:1]
	s_waitcnt vmcnt(0)
	global_store_dwordx2 v[6:7], v[4:5], off
	s_andn2_b64 exec, exec, s[0:1]
	s_cbranch_execnz .LBB162_2
; %bb.3:
	s_or_b64 exec, exec, s[0:1]
	v_cmp_gt_u32_e32 vcc, s8, v0
	s_and_b64 exec, exec, vcc
	s_cbranch_execz .LBB162_6
; %bb.4:
	v_mov_b32_e32 v3, 0
	v_mov_b32_e32 v1, v3
	v_lshl_add_u64 v[4:5], v[0:1], 3, s[4:5]
	s_mov_b64 s[0:1], 0
.LBB162_5:                              ; =>This Inner Loop Header: Depth=1
	global_load_dwordx2 v[6:7], v[4:5], off
	v_add_u32_e32 v0, 1, v0
	v_cmp_le_u32_e32 vcc, s8, v0
	v_lshl_add_u64 v[8:9], v[2:3], 3, s[2:3]
	v_lshl_add_u64 v[4:5], v[4:5], 0, 8
	v_add_u32_e32 v2, s6, v2
	s_or_b64 s[0:1], vcc, s[0:1]
	s_waitcnt vmcnt(0)
	global_store_dwordx2 v[8:9], v[6:7], off
	s_andn2_b64 exec, exec, s[0:1]
	s_cbranch_execnz .LBB162_5
.LBB162_6:
	s_endpgm
	.section	.rodata,"a",@progbits
	.p2align	6, 0x0
	.amdhsa_kernel _ZN2at6native12_GLOBAL__N_135CatArrayBatchedCopy_alignedK_contigINS1_10OpaqueTypeILj8EEEjLi1ELi64ELi64ELi8EEEvPT_NS1_25CatArrInputTensorMetadataIS5_T0_XT2_EXT3_EEENS1_16TensorSizeStrideIS8_Lj4EEEiS8_
		.amdhsa_group_segment_fixed_size 0
		.amdhsa_private_segment_fixed_size 0
		.amdhsa_kernarg_size 3696
		.amdhsa_user_sgpr_count 2
		.amdhsa_user_sgpr_dispatch_ptr 0
		.amdhsa_user_sgpr_queue_ptr 0
		.amdhsa_user_sgpr_kernarg_segment_ptr 1
		.amdhsa_user_sgpr_dispatch_id 0
		.amdhsa_user_sgpr_kernarg_preload_length 0
		.amdhsa_user_sgpr_kernarg_preload_offset 0
		.amdhsa_user_sgpr_private_segment_size 0
		.amdhsa_uses_dynamic_stack 0
		.amdhsa_enable_private_segment 0
		.amdhsa_system_sgpr_workgroup_id_x 1
		.amdhsa_system_sgpr_workgroup_id_y 1
		.amdhsa_system_sgpr_workgroup_id_z 0
		.amdhsa_system_sgpr_workgroup_info 0
		.amdhsa_system_vgpr_workitem_id 0
		.amdhsa_next_free_vgpr 10
		.amdhsa_next_free_sgpr 16
		.amdhsa_accum_offset 12
		.amdhsa_reserve_vcc 1
		.amdhsa_float_round_mode_32 0
		.amdhsa_float_round_mode_16_64 0
		.amdhsa_float_denorm_mode_32 3
		.amdhsa_float_denorm_mode_16_64 3
		.amdhsa_dx10_clamp 1
		.amdhsa_ieee_mode 1
		.amdhsa_fp16_overflow 0
		.amdhsa_tg_split 0
		.amdhsa_exception_fp_ieee_invalid_op 0
		.amdhsa_exception_fp_denorm_src 0
		.amdhsa_exception_fp_ieee_div_zero 0
		.amdhsa_exception_fp_ieee_overflow 0
		.amdhsa_exception_fp_ieee_underflow 0
		.amdhsa_exception_fp_ieee_inexact 0
		.amdhsa_exception_int_div_zero 0
	.end_amdhsa_kernel
	.section	.text._ZN2at6native12_GLOBAL__N_135CatArrayBatchedCopy_alignedK_contigINS1_10OpaqueTypeILj8EEEjLi1ELi64ELi64ELi8EEEvPT_NS1_25CatArrInputTensorMetadataIS5_T0_XT2_EXT3_EEENS1_16TensorSizeStrideIS8_Lj4EEEiS8_,"axG",@progbits,_ZN2at6native12_GLOBAL__N_135CatArrayBatchedCopy_alignedK_contigINS1_10OpaqueTypeILj8EEEjLi1ELi64ELi64ELi8EEEvPT_NS1_25CatArrInputTensorMetadataIS5_T0_XT2_EXT3_EEENS1_16TensorSizeStrideIS8_Lj4EEEiS8_,comdat
.Lfunc_end162:
	.size	_ZN2at6native12_GLOBAL__N_135CatArrayBatchedCopy_alignedK_contigINS1_10OpaqueTypeILj8EEEjLi1ELi64ELi64ELi8EEEvPT_NS1_25CatArrInputTensorMetadataIS5_T0_XT2_EXT3_EEENS1_16TensorSizeStrideIS8_Lj4EEEiS8_, .Lfunc_end162-_ZN2at6native12_GLOBAL__N_135CatArrayBatchedCopy_alignedK_contigINS1_10OpaqueTypeILj8EEEjLi1ELi64ELi64ELi8EEEvPT_NS1_25CatArrInputTensorMetadataIS5_T0_XT2_EXT3_EEENS1_16TensorSizeStrideIS8_Lj4EEEiS8_
                                        ; -- End function
	.set _ZN2at6native12_GLOBAL__N_135CatArrayBatchedCopy_alignedK_contigINS1_10OpaqueTypeILj8EEEjLi1ELi64ELi64ELi8EEEvPT_NS1_25CatArrInputTensorMetadataIS5_T0_XT2_EXT3_EEENS1_16TensorSizeStrideIS8_Lj4EEEiS8_.num_vgpr, 10
	.set _ZN2at6native12_GLOBAL__N_135CatArrayBatchedCopy_alignedK_contigINS1_10OpaqueTypeILj8EEEjLi1ELi64ELi64ELi8EEEvPT_NS1_25CatArrInputTensorMetadataIS5_T0_XT2_EXT3_EEENS1_16TensorSizeStrideIS8_Lj4EEEiS8_.num_agpr, 0
	.set _ZN2at6native12_GLOBAL__N_135CatArrayBatchedCopy_alignedK_contigINS1_10OpaqueTypeILj8EEEjLi1ELi64ELi64ELi8EEEvPT_NS1_25CatArrInputTensorMetadataIS5_T0_XT2_EXT3_EEENS1_16TensorSizeStrideIS8_Lj4EEEiS8_.numbered_sgpr, 16
	.set _ZN2at6native12_GLOBAL__N_135CatArrayBatchedCopy_alignedK_contigINS1_10OpaqueTypeILj8EEEjLi1ELi64ELi64ELi8EEEvPT_NS1_25CatArrInputTensorMetadataIS5_T0_XT2_EXT3_EEENS1_16TensorSizeStrideIS8_Lj4EEEiS8_.num_named_barrier, 0
	.set _ZN2at6native12_GLOBAL__N_135CatArrayBatchedCopy_alignedK_contigINS1_10OpaqueTypeILj8EEEjLi1ELi64ELi64ELi8EEEvPT_NS1_25CatArrInputTensorMetadataIS5_T0_XT2_EXT3_EEENS1_16TensorSizeStrideIS8_Lj4EEEiS8_.private_seg_size, 0
	.set _ZN2at6native12_GLOBAL__N_135CatArrayBatchedCopy_alignedK_contigINS1_10OpaqueTypeILj8EEEjLi1ELi64ELi64ELi8EEEvPT_NS1_25CatArrInputTensorMetadataIS5_T0_XT2_EXT3_EEENS1_16TensorSizeStrideIS8_Lj4EEEiS8_.uses_vcc, 1
	.set _ZN2at6native12_GLOBAL__N_135CatArrayBatchedCopy_alignedK_contigINS1_10OpaqueTypeILj8EEEjLi1ELi64ELi64ELi8EEEvPT_NS1_25CatArrInputTensorMetadataIS5_T0_XT2_EXT3_EEENS1_16TensorSizeStrideIS8_Lj4EEEiS8_.uses_flat_scratch, 0
	.set _ZN2at6native12_GLOBAL__N_135CatArrayBatchedCopy_alignedK_contigINS1_10OpaqueTypeILj8EEEjLi1ELi64ELi64ELi8EEEvPT_NS1_25CatArrInputTensorMetadataIS5_T0_XT2_EXT3_EEENS1_16TensorSizeStrideIS8_Lj4EEEiS8_.has_dyn_sized_stack, 0
	.set _ZN2at6native12_GLOBAL__N_135CatArrayBatchedCopy_alignedK_contigINS1_10OpaqueTypeILj8EEEjLi1ELi64ELi64ELi8EEEvPT_NS1_25CatArrInputTensorMetadataIS5_T0_XT2_EXT3_EEENS1_16TensorSizeStrideIS8_Lj4EEEiS8_.has_recursion, 0
	.set _ZN2at6native12_GLOBAL__N_135CatArrayBatchedCopy_alignedK_contigINS1_10OpaqueTypeILj8EEEjLi1ELi64ELi64ELi8EEEvPT_NS1_25CatArrInputTensorMetadataIS5_T0_XT2_EXT3_EEENS1_16TensorSizeStrideIS8_Lj4EEEiS8_.has_indirect_call, 0
	.section	.AMDGPU.csdata,"",@progbits
; Kernel info:
; codeLenInByte = 368
; TotalNumSgprs: 22
; NumVgprs: 10
; NumAgprs: 0
; TotalNumVgprs: 10
; ScratchSize: 0
; MemoryBound: 0
; FloatMode: 240
; IeeeMode: 1
; LDSByteSize: 0 bytes/workgroup (compile time only)
; SGPRBlocks: 2
; VGPRBlocks: 1
; NumSGPRsForWavesPerEU: 22
; NumVGPRsForWavesPerEU: 10
; AccumOffset: 12
; Occupancy: 8
; WaveLimiterHint : 1
; COMPUTE_PGM_RSRC2:SCRATCH_EN: 0
; COMPUTE_PGM_RSRC2:USER_SGPR: 2
; COMPUTE_PGM_RSRC2:TRAP_HANDLER: 0
; COMPUTE_PGM_RSRC2:TGID_X_EN: 1
; COMPUTE_PGM_RSRC2:TGID_Y_EN: 1
; COMPUTE_PGM_RSRC2:TGID_Z_EN: 0
; COMPUTE_PGM_RSRC2:TIDIG_COMP_CNT: 0
; COMPUTE_PGM_RSRC3_GFX90A:ACCUM_OFFSET: 2
; COMPUTE_PGM_RSRC3_GFX90A:TG_SPLIT: 0
	.section	.text._ZN2at6native12_GLOBAL__N_126CatArrayBatchedCopy_contigINS1_10OpaqueTypeILj8EEEjLi1ELi64ELi64EEEvPT_NS1_25CatArrInputTensorMetadataIS5_T0_XT2_EXT3_EEENS1_16TensorSizeStrideIS8_Lj4EEEiS8_,"axG",@progbits,_ZN2at6native12_GLOBAL__N_126CatArrayBatchedCopy_contigINS1_10OpaqueTypeILj8EEEjLi1ELi64ELi64EEEvPT_NS1_25CatArrInputTensorMetadataIS5_T0_XT2_EXT3_EEENS1_16TensorSizeStrideIS8_Lj4EEEiS8_,comdat
	.globl	_ZN2at6native12_GLOBAL__N_126CatArrayBatchedCopy_contigINS1_10OpaqueTypeILj8EEEjLi1ELi64ELi64EEEvPT_NS1_25CatArrInputTensorMetadataIS5_T0_XT2_EXT3_EEENS1_16TensorSizeStrideIS8_Lj4EEEiS8_ ; -- Begin function _ZN2at6native12_GLOBAL__N_126CatArrayBatchedCopy_contigINS1_10OpaqueTypeILj8EEEjLi1ELi64ELi64EEEvPT_NS1_25CatArrInputTensorMetadataIS5_T0_XT2_EXT3_EEENS1_16TensorSizeStrideIS8_Lj4EEEiS8_
	.p2align	8
	.type	_ZN2at6native12_GLOBAL__N_126CatArrayBatchedCopy_contigINS1_10OpaqueTypeILj8EEEjLi1ELi64ELi64EEEvPT_NS1_25CatArrInputTensorMetadataIS5_T0_XT2_EXT3_EEENS1_16TensorSizeStrideIS8_Lj4EEEiS8_,@function
_ZN2at6native12_GLOBAL__N_126CatArrayBatchedCopy_contigINS1_10OpaqueTypeILj8EEEjLi1ELi64ELi64EEEvPT_NS1_25CatArrInputTensorMetadataIS5_T0_XT2_EXT3_EEENS1_16TensorSizeStrideIS8_Lj4EEEiS8_: ; @_ZN2at6native12_GLOBAL__N_126CatArrayBatchedCopy_contigINS1_10OpaqueTypeILj8EEEjLi1ELi64ELi64EEEvPT_NS1_25CatArrInputTensorMetadataIS5_T0_XT2_EXT3_EEENS1_16TensorSizeStrideIS8_Lj4EEEiS8_
; %bb.0:
	s_mov_b32 s6, s3
	s_load_dword s3, s[0:1], 0xd7c
	s_add_u32 s4, s0, 0xd70
	s_mov_b32 s7, 0
	s_addc_u32 s5, s1, 0
	s_lshl_b64 s[6:7], s[6:7], 2
	s_waitcnt lgkmcnt(0)
	s_and_b32 s9, s3, 0xffff
	s_add_u32 s10, s0, s6
	s_addc_u32 s11, s1, s7
	s_load_dword s8, s[10:11], 0x408
	s_mul_i32 s2, s2, s9
	v_add_u32_e32 v0, s2, v0
	s_add_u32 s2, s10, 8
	s_addc_u32 s3, s11, 0
	s_waitcnt lgkmcnt(0)
	v_cmp_gt_u32_e32 vcc, s8, v0
	s_and_saveexec_b64 s[10:11], vcc
	s_cbranch_execz .LBB163_3
; %bb.1:
	s_add_u32 s10, s2, s6
	s_addc_u32 s11, s3, s7
	s_sub_u32 s2, 0, s6
	s_subb_u32 s3, 0, s7
	s_add_u32 s6, s10, s2
	s_load_dword s12, s[4:5], 0x0
	s_addc_u32 s7, s11, s3
	s_load_dword s13, s[6:7], 0x200
	s_load_dword s14, s[0:1], 0xd6c
	s_load_dwordx2 s[2:3], s[10:11], 0x0
	s_load_dword s15, s[0:1], 0xd58
	s_load_dwordx2 s[4:5], s[0:1], 0x0
	s_mov_b64 s[0:1], 0
	s_waitcnt lgkmcnt(0)
	s_mul_i32 s13, s13, s14
	s_mul_i32 s6, s12, s9
	v_mul_lo_u32 v1, s15, v0
	v_add_u32_e32 v2, s13, v1
	s_mul_i32 s7, s6, s15
	v_mov_b32_e32 v1, 0
.LBB163_2:                              ; =>This Inner Loop Header: Depth=1
	v_lshl_add_u64 v[4:5], v[0:1], 3, s[2:3]
	global_load_dwordx2 v[4:5], v[4:5], off
	v_add_u32_e32 v0, s6, v0
	v_mov_b32_e32 v3, v1
	v_cmp_le_u32_e32 vcc, s8, v0
	v_lshl_add_u64 v[6:7], v[2:3], 3, s[4:5]
	v_add_u32_e32 v2, s7, v2
	s_or_b64 s[0:1], vcc, s[0:1]
	s_waitcnt vmcnt(0)
	global_store_dwordx2 v[6:7], v[4:5], off
	s_andn2_b64 exec, exec, s[0:1]
	s_cbranch_execnz .LBB163_2
.LBB163_3:
	s_endpgm
	.section	.rodata,"a",@progbits
	.p2align	6, 0x0
	.amdhsa_kernel _ZN2at6native12_GLOBAL__N_126CatArrayBatchedCopy_contigINS1_10OpaqueTypeILj8EEEjLi1ELi64ELi64EEEvPT_NS1_25CatArrInputTensorMetadataIS5_T0_XT2_EXT3_EEENS1_16TensorSizeStrideIS8_Lj4EEEiS8_
		.amdhsa_group_segment_fixed_size 0
		.amdhsa_private_segment_fixed_size 0
		.amdhsa_kernarg_size 3696
		.amdhsa_user_sgpr_count 2
		.amdhsa_user_sgpr_dispatch_ptr 0
		.amdhsa_user_sgpr_queue_ptr 0
		.amdhsa_user_sgpr_kernarg_segment_ptr 1
		.amdhsa_user_sgpr_dispatch_id 0
		.amdhsa_user_sgpr_kernarg_preload_length 0
		.amdhsa_user_sgpr_kernarg_preload_offset 0
		.amdhsa_user_sgpr_private_segment_size 0
		.amdhsa_uses_dynamic_stack 0
		.amdhsa_enable_private_segment 0
		.amdhsa_system_sgpr_workgroup_id_x 1
		.amdhsa_system_sgpr_workgroup_id_y 1
		.amdhsa_system_sgpr_workgroup_id_z 0
		.amdhsa_system_sgpr_workgroup_info 0
		.amdhsa_system_vgpr_workitem_id 0
		.amdhsa_next_free_vgpr 8
		.amdhsa_next_free_sgpr 16
		.amdhsa_accum_offset 8
		.amdhsa_reserve_vcc 1
		.amdhsa_float_round_mode_32 0
		.amdhsa_float_round_mode_16_64 0
		.amdhsa_float_denorm_mode_32 3
		.amdhsa_float_denorm_mode_16_64 3
		.amdhsa_dx10_clamp 1
		.amdhsa_ieee_mode 1
		.amdhsa_fp16_overflow 0
		.amdhsa_tg_split 0
		.amdhsa_exception_fp_ieee_invalid_op 0
		.amdhsa_exception_fp_denorm_src 0
		.amdhsa_exception_fp_ieee_div_zero 0
		.amdhsa_exception_fp_ieee_overflow 0
		.amdhsa_exception_fp_ieee_underflow 0
		.amdhsa_exception_fp_ieee_inexact 0
		.amdhsa_exception_int_div_zero 0
	.end_amdhsa_kernel
	.section	.text._ZN2at6native12_GLOBAL__N_126CatArrayBatchedCopy_contigINS1_10OpaqueTypeILj8EEEjLi1ELi64ELi64EEEvPT_NS1_25CatArrInputTensorMetadataIS5_T0_XT2_EXT3_EEENS1_16TensorSizeStrideIS8_Lj4EEEiS8_,"axG",@progbits,_ZN2at6native12_GLOBAL__N_126CatArrayBatchedCopy_contigINS1_10OpaqueTypeILj8EEEjLi1ELi64ELi64EEEvPT_NS1_25CatArrInputTensorMetadataIS5_T0_XT2_EXT3_EEENS1_16TensorSizeStrideIS8_Lj4EEEiS8_,comdat
.Lfunc_end163:
	.size	_ZN2at6native12_GLOBAL__N_126CatArrayBatchedCopy_contigINS1_10OpaqueTypeILj8EEEjLi1ELi64ELi64EEEvPT_NS1_25CatArrInputTensorMetadataIS5_T0_XT2_EXT3_EEENS1_16TensorSizeStrideIS8_Lj4EEEiS8_, .Lfunc_end163-_ZN2at6native12_GLOBAL__N_126CatArrayBatchedCopy_contigINS1_10OpaqueTypeILj8EEEjLi1ELi64ELi64EEEvPT_NS1_25CatArrInputTensorMetadataIS5_T0_XT2_EXT3_EEENS1_16TensorSizeStrideIS8_Lj4EEEiS8_
                                        ; -- End function
	.set _ZN2at6native12_GLOBAL__N_126CatArrayBatchedCopy_contigINS1_10OpaqueTypeILj8EEEjLi1ELi64ELi64EEEvPT_NS1_25CatArrInputTensorMetadataIS5_T0_XT2_EXT3_EEENS1_16TensorSizeStrideIS8_Lj4EEEiS8_.num_vgpr, 8
	.set _ZN2at6native12_GLOBAL__N_126CatArrayBatchedCopy_contigINS1_10OpaqueTypeILj8EEEjLi1ELi64ELi64EEEvPT_NS1_25CatArrInputTensorMetadataIS5_T0_XT2_EXT3_EEENS1_16TensorSizeStrideIS8_Lj4EEEiS8_.num_agpr, 0
	.set _ZN2at6native12_GLOBAL__N_126CatArrayBatchedCopy_contigINS1_10OpaqueTypeILj8EEEjLi1ELi64ELi64EEEvPT_NS1_25CatArrInputTensorMetadataIS5_T0_XT2_EXT3_EEENS1_16TensorSizeStrideIS8_Lj4EEEiS8_.numbered_sgpr, 16
	.set _ZN2at6native12_GLOBAL__N_126CatArrayBatchedCopy_contigINS1_10OpaqueTypeILj8EEEjLi1ELi64ELi64EEEvPT_NS1_25CatArrInputTensorMetadataIS5_T0_XT2_EXT3_EEENS1_16TensorSizeStrideIS8_Lj4EEEiS8_.num_named_barrier, 0
	.set _ZN2at6native12_GLOBAL__N_126CatArrayBatchedCopy_contigINS1_10OpaqueTypeILj8EEEjLi1ELi64ELi64EEEvPT_NS1_25CatArrInputTensorMetadataIS5_T0_XT2_EXT3_EEENS1_16TensorSizeStrideIS8_Lj4EEEiS8_.private_seg_size, 0
	.set _ZN2at6native12_GLOBAL__N_126CatArrayBatchedCopy_contigINS1_10OpaqueTypeILj8EEEjLi1ELi64ELi64EEEvPT_NS1_25CatArrInputTensorMetadataIS5_T0_XT2_EXT3_EEENS1_16TensorSizeStrideIS8_Lj4EEEiS8_.uses_vcc, 1
	.set _ZN2at6native12_GLOBAL__N_126CatArrayBatchedCopy_contigINS1_10OpaqueTypeILj8EEEjLi1ELi64ELi64EEEvPT_NS1_25CatArrInputTensorMetadataIS5_T0_XT2_EXT3_EEENS1_16TensorSizeStrideIS8_Lj4EEEiS8_.uses_flat_scratch, 0
	.set _ZN2at6native12_GLOBAL__N_126CatArrayBatchedCopy_contigINS1_10OpaqueTypeILj8EEEjLi1ELi64ELi64EEEvPT_NS1_25CatArrInputTensorMetadataIS5_T0_XT2_EXT3_EEENS1_16TensorSizeStrideIS8_Lj4EEEiS8_.has_dyn_sized_stack, 0
	.set _ZN2at6native12_GLOBAL__N_126CatArrayBatchedCopy_contigINS1_10OpaqueTypeILj8EEEjLi1ELi64ELi64EEEvPT_NS1_25CatArrInputTensorMetadataIS5_T0_XT2_EXT3_EEENS1_16TensorSizeStrideIS8_Lj4EEEiS8_.has_recursion, 0
	.set _ZN2at6native12_GLOBAL__N_126CatArrayBatchedCopy_contigINS1_10OpaqueTypeILj8EEEjLi1ELi64ELi64EEEvPT_NS1_25CatArrInputTensorMetadataIS5_T0_XT2_EXT3_EEENS1_16TensorSizeStrideIS8_Lj4EEEiS8_.has_indirect_call, 0
	.section	.AMDGPU.csdata,"",@progbits
; Kernel info:
; codeLenInByte = 268
; TotalNumSgprs: 22
; NumVgprs: 8
; NumAgprs: 0
; TotalNumVgprs: 8
; ScratchSize: 0
; MemoryBound: 0
; FloatMode: 240
; IeeeMode: 1
; LDSByteSize: 0 bytes/workgroup (compile time only)
; SGPRBlocks: 2
; VGPRBlocks: 0
; NumSGPRsForWavesPerEU: 22
; NumVGPRsForWavesPerEU: 8
; AccumOffset: 8
; Occupancy: 8
; WaveLimiterHint : 1
; COMPUTE_PGM_RSRC2:SCRATCH_EN: 0
; COMPUTE_PGM_RSRC2:USER_SGPR: 2
; COMPUTE_PGM_RSRC2:TRAP_HANDLER: 0
; COMPUTE_PGM_RSRC2:TGID_X_EN: 1
; COMPUTE_PGM_RSRC2:TGID_Y_EN: 1
; COMPUTE_PGM_RSRC2:TGID_Z_EN: 0
; COMPUTE_PGM_RSRC2:TIDIG_COMP_CNT: 0
; COMPUTE_PGM_RSRC3_GFX90A:ACCUM_OFFSET: 1
; COMPUTE_PGM_RSRC3_GFX90A:TG_SPLIT: 0
	.section	.text._ZN2at6native12_GLOBAL__N_119CatArrayBatchedCopyINS1_10OpaqueTypeILj8EEEjLi1ELi64ELi64EEEvPT_NS1_25CatArrInputTensorMetadataIS5_T0_XT2_EXT3_EEENS1_16TensorSizeStrideIS8_Lj4EEEiS8_,"axG",@progbits,_ZN2at6native12_GLOBAL__N_119CatArrayBatchedCopyINS1_10OpaqueTypeILj8EEEjLi1ELi64ELi64EEEvPT_NS1_25CatArrInputTensorMetadataIS5_T0_XT2_EXT3_EEENS1_16TensorSizeStrideIS8_Lj4EEEiS8_,comdat
	.globl	_ZN2at6native12_GLOBAL__N_119CatArrayBatchedCopyINS1_10OpaqueTypeILj8EEEjLi1ELi64ELi64EEEvPT_NS1_25CatArrInputTensorMetadataIS5_T0_XT2_EXT3_EEENS1_16TensorSizeStrideIS8_Lj4EEEiS8_ ; -- Begin function _ZN2at6native12_GLOBAL__N_119CatArrayBatchedCopyINS1_10OpaqueTypeILj8EEEjLi1ELi64ELi64EEEvPT_NS1_25CatArrInputTensorMetadataIS5_T0_XT2_EXT3_EEENS1_16TensorSizeStrideIS8_Lj4EEEiS8_
	.p2align	8
	.type	_ZN2at6native12_GLOBAL__N_119CatArrayBatchedCopyINS1_10OpaqueTypeILj8EEEjLi1ELi64ELi64EEEvPT_NS1_25CatArrInputTensorMetadataIS5_T0_XT2_EXT3_EEENS1_16TensorSizeStrideIS8_Lj4EEEiS8_,@function
_ZN2at6native12_GLOBAL__N_119CatArrayBatchedCopyINS1_10OpaqueTypeILj8EEEjLi1ELi64ELi64EEEvPT_NS1_25CatArrInputTensorMetadataIS5_T0_XT2_EXT3_EEENS1_16TensorSizeStrideIS8_Lj4EEEiS8_: ; @_ZN2at6native12_GLOBAL__N_119CatArrayBatchedCopyINS1_10OpaqueTypeILj8EEEjLi1ELi64ELi64EEEvPT_NS1_25CatArrInputTensorMetadataIS5_T0_XT2_EXT3_EEENS1_16TensorSizeStrideIS8_Lj4EEEiS8_
; %bb.0:
	s_load_dword s5, s[0:1], 0xd7c
	s_mov_b32 s4, s3
	s_or_b32 s3, s0, 8
	s_add_u32 s8, s0, 0xd70
	s_addc_u32 s9, s1, 0
	s_waitcnt lgkmcnt(0)
	s_and_b32 s13, s5, 0xffff
	s_mov_b32 s5, 0
	s_lshl_b64 s[6:7], s[4:5], 2
	s_add_u32 s10, s3, s6
	s_addc_u32 s11, s1, s7
	s_load_dword s12, s[10:11], 0x400
	s_mul_i32 s2, s2, s13
	v_add_u32_e32 v4, s2, v0
	s_waitcnt lgkmcnt(0)
	v_cmp_gt_u32_e32 vcc, s12, v4
	s_and_saveexec_b64 s[14:15], vcc
	s_cbranch_execz .LBB164_3
; %bb.1:
	s_mul_i32 s14, s4, 28
	s_mul_hi_u32 s2, s4, 28
	s_add_u32 s10, s10, s14
	s_addc_u32 s11, s11, s2
	s_add_u32 s14, s3, s4
	s_addc_u32 s15, s1, 0
	v_mov_b32_e32 v1, 0
	global_load_ubyte v0, v1, s[14:15] offset:1280
	s_load_dword s5, s[8:9], 0x0
	s_load_dwordx2 s[2:3], s[0:1], 0x0
	s_load_dword s16, s[0:1], 0xd6c
	s_load_dword s17, s[10:11], 0x550
	;; [unrolled: 1-line block ×3, first 2 shown]
	s_waitcnt lgkmcnt(0)
	s_mul_i32 s8, s5, s13
	s_mul_hi_u32 s9, s4, 7
	s_mul_i32 s4, s4, 7
	s_mov_b64 s[0:1], 0
	v_mul_lo_u32 v2, s18, v4
	s_waitcnt vmcnt(0)
	v_readfirstlane_b32 s5, v0
	s_and_b32 s13, 1, s5
	s_add_u32 s10, s14, s4
	s_addc_u32 s11, s15, s9
	s_sub_u32 s4, 0, s6
	s_subb_u32 s5, 0, s7
	s_add_u32 s6, s10, s4
	s_addc_u32 s7, s11, s5
	s_load_dwordx2 s[4:5], s[10:11], 0x0
	s_load_dword s9, s[6:7], 0x200
	s_cmp_eq_u32 s13, 1
	s_cselect_b32 s6, 1, s17
	v_mul_lo_u32 v0, s6, v4
	s_mul_i32 s6, s8, s6
	s_waitcnt lgkmcnt(0)
	s_mul_i32 s9, s9, s16
	v_add_u32_e32 v2, s9, v2
	s_mul_i32 s7, s8, s18
.LBB164_2:                              ; =>This Inner Loop Header: Depth=1
	v_lshl_add_u64 v[6:7], v[0:1], 3, s[4:5]
	global_load_dwordx2 v[6:7], v[6:7], off
	v_add_u32_e32 v4, s8, v4
	v_mov_b32_e32 v3, v1
	v_cmp_le_u32_e32 vcc, s12, v4
	v_add_u32_e32 v0, s6, v0
	v_lshl_add_u64 v[8:9], v[2:3], 3, s[2:3]
	v_add_u32_e32 v2, s7, v2
	s_or_b64 s[0:1], vcc, s[0:1]
	s_waitcnt vmcnt(0)
	global_store_dwordx2 v[8:9], v[6:7], off
	s_andn2_b64 exec, exec, s[0:1]
	s_cbranch_execnz .LBB164_2
.LBB164_3:
	s_endpgm
	.section	.rodata,"a",@progbits
	.p2align	6, 0x0
	.amdhsa_kernel _ZN2at6native12_GLOBAL__N_119CatArrayBatchedCopyINS1_10OpaqueTypeILj8EEEjLi1ELi64ELi64EEEvPT_NS1_25CatArrInputTensorMetadataIS5_T0_XT2_EXT3_EEENS1_16TensorSizeStrideIS8_Lj4EEEiS8_
		.amdhsa_group_segment_fixed_size 0
		.amdhsa_private_segment_fixed_size 0
		.amdhsa_kernarg_size 3696
		.amdhsa_user_sgpr_count 2
		.amdhsa_user_sgpr_dispatch_ptr 0
		.amdhsa_user_sgpr_queue_ptr 0
		.amdhsa_user_sgpr_kernarg_segment_ptr 1
		.amdhsa_user_sgpr_dispatch_id 0
		.amdhsa_user_sgpr_kernarg_preload_length 0
		.amdhsa_user_sgpr_kernarg_preload_offset 0
		.amdhsa_user_sgpr_private_segment_size 0
		.amdhsa_uses_dynamic_stack 0
		.amdhsa_enable_private_segment 0
		.amdhsa_system_sgpr_workgroup_id_x 1
		.amdhsa_system_sgpr_workgroup_id_y 1
		.amdhsa_system_sgpr_workgroup_id_z 0
		.amdhsa_system_sgpr_workgroup_info 0
		.amdhsa_system_vgpr_workitem_id 0
		.amdhsa_next_free_vgpr 10
		.amdhsa_next_free_sgpr 19
		.amdhsa_accum_offset 12
		.amdhsa_reserve_vcc 1
		.amdhsa_float_round_mode_32 0
		.amdhsa_float_round_mode_16_64 0
		.amdhsa_float_denorm_mode_32 3
		.amdhsa_float_denorm_mode_16_64 3
		.amdhsa_dx10_clamp 1
		.amdhsa_ieee_mode 1
		.amdhsa_fp16_overflow 0
		.amdhsa_tg_split 0
		.amdhsa_exception_fp_ieee_invalid_op 0
		.amdhsa_exception_fp_denorm_src 0
		.amdhsa_exception_fp_ieee_div_zero 0
		.amdhsa_exception_fp_ieee_overflow 0
		.amdhsa_exception_fp_ieee_underflow 0
		.amdhsa_exception_fp_ieee_inexact 0
		.amdhsa_exception_int_div_zero 0
	.end_amdhsa_kernel
	.section	.text._ZN2at6native12_GLOBAL__N_119CatArrayBatchedCopyINS1_10OpaqueTypeILj8EEEjLi1ELi64ELi64EEEvPT_NS1_25CatArrInputTensorMetadataIS5_T0_XT2_EXT3_EEENS1_16TensorSizeStrideIS8_Lj4EEEiS8_,"axG",@progbits,_ZN2at6native12_GLOBAL__N_119CatArrayBatchedCopyINS1_10OpaqueTypeILj8EEEjLi1ELi64ELi64EEEvPT_NS1_25CatArrInputTensorMetadataIS5_T0_XT2_EXT3_EEENS1_16TensorSizeStrideIS8_Lj4EEEiS8_,comdat
.Lfunc_end164:
	.size	_ZN2at6native12_GLOBAL__N_119CatArrayBatchedCopyINS1_10OpaqueTypeILj8EEEjLi1ELi64ELi64EEEvPT_NS1_25CatArrInputTensorMetadataIS5_T0_XT2_EXT3_EEENS1_16TensorSizeStrideIS8_Lj4EEEiS8_, .Lfunc_end164-_ZN2at6native12_GLOBAL__N_119CatArrayBatchedCopyINS1_10OpaqueTypeILj8EEEjLi1ELi64ELi64EEEvPT_NS1_25CatArrInputTensorMetadataIS5_T0_XT2_EXT3_EEENS1_16TensorSizeStrideIS8_Lj4EEEiS8_
                                        ; -- End function
	.set _ZN2at6native12_GLOBAL__N_119CatArrayBatchedCopyINS1_10OpaqueTypeILj8EEEjLi1ELi64ELi64EEEvPT_NS1_25CatArrInputTensorMetadataIS5_T0_XT2_EXT3_EEENS1_16TensorSizeStrideIS8_Lj4EEEiS8_.num_vgpr, 10
	.set _ZN2at6native12_GLOBAL__N_119CatArrayBatchedCopyINS1_10OpaqueTypeILj8EEEjLi1ELi64ELi64EEEvPT_NS1_25CatArrInputTensorMetadataIS5_T0_XT2_EXT3_EEENS1_16TensorSizeStrideIS8_Lj4EEEiS8_.num_agpr, 0
	.set _ZN2at6native12_GLOBAL__N_119CatArrayBatchedCopyINS1_10OpaqueTypeILj8EEEjLi1ELi64ELi64EEEvPT_NS1_25CatArrInputTensorMetadataIS5_T0_XT2_EXT3_EEENS1_16TensorSizeStrideIS8_Lj4EEEiS8_.numbered_sgpr, 19
	.set _ZN2at6native12_GLOBAL__N_119CatArrayBatchedCopyINS1_10OpaqueTypeILj8EEEjLi1ELi64ELi64EEEvPT_NS1_25CatArrInputTensorMetadataIS5_T0_XT2_EXT3_EEENS1_16TensorSizeStrideIS8_Lj4EEEiS8_.num_named_barrier, 0
	.set _ZN2at6native12_GLOBAL__N_119CatArrayBatchedCopyINS1_10OpaqueTypeILj8EEEjLi1ELi64ELi64EEEvPT_NS1_25CatArrInputTensorMetadataIS5_T0_XT2_EXT3_EEENS1_16TensorSizeStrideIS8_Lj4EEEiS8_.private_seg_size, 0
	.set _ZN2at6native12_GLOBAL__N_119CatArrayBatchedCopyINS1_10OpaqueTypeILj8EEEjLi1ELi64ELi64EEEvPT_NS1_25CatArrInputTensorMetadataIS5_T0_XT2_EXT3_EEENS1_16TensorSizeStrideIS8_Lj4EEEiS8_.uses_vcc, 1
	.set _ZN2at6native12_GLOBAL__N_119CatArrayBatchedCopyINS1_10OpaqueTypeILj8EEEjLi1ELi64ELi64EEEvPT_NS1_25CatArrInputTensorMetadataIS5_T0_XT2_EXT3_EEENS1_16TensorSizeStrideIS8_Lj4EEEiS8_.uses_flat_scratch, 0
	.set _ZN2at6native12_GLOBAL__N_119CatArrayBatchedCopyINS1_10OpaqueTypeILj8EEEjLi1ELi64ELi64EEEvPT_NS1_25CatArrInputTensorMetadataIS5_T0_XT2_EXT3_EEENS1_16TensorSizeStrideIS8_Lj4EEEiS8_.has_dyn_sized_stack, 0
	.set _ZN2at6native12_GLOBAL__N_119CatArrayBatchedCopyINS1_10OpaqueTypeILj8EEEjLi1ELi64ELi64EEEvPT_NS1_25CatArrInputTensorMetadataIS5_T0_XT2_EXT3_EEENS1_16TensorSizeStrideIS8_Lj4EEEiS8_.has_recursion, 0
	.set _ZN2at6native12_GLOBAL__N_119CatArrayBatchedCopyINS1_10OpaqueTypeILj8EEEjLi1ELi64ELi64EEEvPT_NS1_25CatArrInputTensorMetadataIS5_T0_XT2_EXT3_EEENS1_16TensorSizeStrideIS8_Lj4EEEiS8_.has_indirect_call, 0
	.section	.AMDGPU.csdata,"",@progbits
; Kernel info:
; codeLenInByte = 352
; TotalNumSgprs: 25
; NumVgprs: 10
; NumAgprs: 0
; TotalNumVgprs: 10
; ScratchSize: 0
; MemoryBound: 0
; FloatMode: 240
; IeeeMode: 1
; LDSByteSize: 0 bytes/workgroup (compile time only)
; SGPRBlocks: 3
; VGPRBlocks: 1
; NumSGPRsForWavesPerEU: 25
; NumVGPRsForWavesPerEU: 10
; AccumOffset: 12
; Occupancy: 8
; WaveLimiterHint : 1
; COMPUTE_PGM_RSRC2:SCRATCH_EN: 0
; COMPUTE_PGM_RSRC2:USER_SGPR: 2
; COMPUTE_PGM_RSRC2:TRAP_HANDLER: 0
; COMPUTE_PGM_RSRC2:TGID_X_EN: 1
; COMPUTE_PGM_RSRC2:TGID_Y_EN: 1
; COMPUTE_PGM_RSRC2:TGID_Z_EN: 0
; COMPUTE_PGM_RSRC2:TIDIG_COMP_CNT: 0
; COMPUTE_PGM_RSRC3_GFX90A:ACCUM_OFFSET: 2
; COMPUTE_PGM_RSRC3_GFX90A:TG_SPLIT: 0
	.section	.text._ZN2at6native12_GLOBAL__N_130CatArrayBatchedCopy_vectorizedINS1_10OpaqueTypeILj8EEEjLi2ELi64ELi64ELi16ELi2EEEvPcNS1_25CatArrInputTensorMetadataIT_T0_XT2_EXT3_EEENS1_16TensorSizeStrideIS8_Lj4EEEiS8_,"axG",@progbits,_ZN2at6native12_GLOBAL__N_130CatArrayBatchedCopy_vectorizedINS1_10OpaqueTypeILj8EEEjLi2ELi64ELi64ELi16ELi2EEEvPcNS1_25CatArrInputTensorMetadataIT_T0_XT2_EXT3_EEENS1_16TensorSizeStrideIS8_Lj4EEEiS8_,comdat
	.globl	_ZN2at6native12_GLOBAL__N_130CatArrayBatchedCopy_vectorizedINS1_10OpaqueTypeILj8EEEjLi2ELi64ELi64ELi16ELi2EEEvPcNS1_25CatArrInputTensorMetadataIT_T0_XT2_EXT3_EEENS1_16TensorSizeStrideIS8_Lj4EEEiS8_ ; -- Begin function _ZN2at6native12_GLOBAL__N_130CatArrayBatchedCopy_vectorizedINS1_10OpaqueTypeILj8EEEjLi2ELi64ELi64ELi16ELi2EEEvPcNS1_25CatArrInputTensorMetadataIT_T0_XT2_EXT3_EEENS1_16TensorSizeStrideIS8_Lj4EEEiS8_
	.p2align	8
	.type	_ZN2at6native12_GLOBAL__N_130CatArrayBatchedCopy_vectorizedINS1_10OpaqueTypeILj8EEEjLi2ELi64ELi64ELi16ELi2EEEvPcNS1_25CatArrInputTensorMetadataIT_T0_XT2_EXT3_EEENS1_16TensorSizeStrideIS8_Lj4EEEiS8_,@function
_ZN2at6native12_GLOBAL__N_130CatArrayBatchedCopy_vectorizedINS1_10OpaqueTypeILj8EEEjLi2ELi64ELi64ELi16ELi2EEEvPcNS1_25CatArrInputTensorMetadataIT_T0_XT2_EXT3_EEENS1_16TensorSizeStrideIS8_Lj4EEEiS8_: ; @_ZN2at6native12_GLOBAL__N_130CatArrayBatchedCopy_vectorizedINS1_10OpaqueTypeILj8EEEjLi2ELi64ELi64ELi16ELi2EEEvPcNS1_25CatArrInputTensorMetadataIT_T0_XT2_EXT3_EEENS1_16TensorSizeStrideIS8_Lj4EEEiS8_
; %bb.0:
	s_mov_b32 s6, s3
	s_load_dword s3, s[0:1], 0xd7c
	s_add_u32 s4, s0, 0xd70
	s_mov_b32 s7, 0
	s_addc_u32 s5, s1, 0
	s_lshl_b64 s[8:9], s[6:7], 2
	s_waitcnt lgkmcnt(0)
	s_and_b32 s11, s3, 0xffff
	s_add_u32 s12, s0, s8
	s_addc_u32 s13, s1, s9
	s_load_dword s6, s[12:13], 0x408
	s_mul_i32 s2, s2, s11
	v_add_u32_e32 v0, s2, v0
	s_add_u32 s2, s12, 8
	s_addc_u32 s3, s13, 0
	s_waitcnt lgkmcnt(0)
	s_lshr_b32 s10, s6, 1
	v_cmp_gt_u32_e32 vcc, s10, v0
	s_and_saveexec_b64 s[12:13], vcc
	s_cbranch_execz .LBB165_3
; %bb.1:
	s_add_u32 s14, s2, s8
	s_addc_u32 s15, s3, s9
	s_sub_u32 s2, 0, s8
	s_load_dwordx2 s[12:13], s[0:1], 0xd68
	s_subb_u32 s3, 0, s9
	s_add_u32 s8, s14, s2
	s_addc_u32 s9, s15, s3
	s_load_dword s6, s[8:9], 0x200
	s_load_dword s16, s[8:9], 0x300
	s_load_dwordx2 s[2:3], s[0:1], 0xd58
	s_load_dword s17, s[0:1], 0xd4c
	s_waitcnt lgkmcnt(0)
	s_mul_i32 s6, s6, s13
	s_lshr_b32 s6, s6, 1
	s_mul_i32 s16, s16, s13
	s_lshr_b32 s8, s16, 1
	s_lshl_b64 s[6:7], s[6:7], 4
	s_cmp_eq_u32 s12, 1
	s_cselect_b32 s8, s8, s17
	v_cvt_f32_u32_e32 v1, s8
	s_load_dword s9, s[4:5], 0x0
	s_load_dwordx2 s[12:13], s[0:1], 0x0
	s_mov_b64 s[4:5], 0
	s_load_dwordx2 s[0:1], s[14:15], 0x0
	v_rcp_iflag_f32_e32 v1, v1
	s_waitcnt lgkmcnt(0)
	s_mul_i32 s9, s9, s11
	s_add_u32 s6, s12, s6
	s_addc_u32 s7, s13, s7
	v_mul_f32_e32 v1, 0x4f7ffffe, v1
	v_cvt_u32_f32_e32 v1, v1
	s_sub_i32 s11, 0, s8
	v_mul_lo_u32 v2, s11, v1
	v_mul_hi_u32 v2, v1, v2
	v_add_u32_e32 v2, v1, v2
	v_mov_b32_e32 v1, 0
.LBB165_2:                              ; =>This Inner Loop Header: Depth=1
	v_lshl_add_u64 v[4:5], v[0:1], 4, s[0:1]
	global_load_dwordx4 v[4:7], v[4:5], off
	v_mul_hi_u32 v3, v2, v0
	v_mul_lo_u32 v8, s8, v3
	v_not_b32_e32 v9, v3
	v_sub_u32_e32 v11, v0, v8
	v_add_u32_e32 v10, 1, v3
	v_mad_u64_u32 v[8:9], s[12:13], s8, v9, v[0:1]
	v_cmp_le_u32_e32 vcc, s8, v11
	s_nop 1
	v_cndmask_b32_e32 v3, v3, v10, vcc
	v_cndmask_b32_e32 v8, v11, v8, vcc
	v_add_u32_e32 v9, 1, v3
	v_cmp_le_u32_e32 vcc, s8, v8
	s_nop 1
	v_cndmask_b32_e32 v3, v3, v9, vcc
	v_mad_u64_u32 v[8:9], s[12:13], s11, v3, v[0:1]
	v_mul_lo_u32 v10, v3, s2
	v_add_u32_e32 v0, s9, v0
	v_mad_u64_u32 v[8:9], s[12:13], v8, s3, v[10:11]
	v_cmp_le_u32_e32 vcc, s10, v0
	v_mov_b32_e32 v9, v1
	s_or_b64 s[4:5], vcc, s[4:5]
	v_lshl_add_u64 v[8:9], v[8:9], 4, s[6:7]
	s_waitcnt vmcnt(0)
	global_store_dwordx4 v[8:9], v[4:7], off
	s_andn2_b64 exec, exec, s[4:5]
	s_cbranch_execnz .LBB165_2
.LBB165_3:
	s_endpgm
	.section	.rodata,"a",@progbits
	.p2align	6, 0x0
	.amdhsa_kernel _ZN2at6native12_GLOBAL__N_130CatArrayBatchedCopy_vectorizedINS1_10OpaqueTypeILj8EEEjLi2ELi64ELi64ELi16ELi2EEEvPcNS1_25CatArrInputTensorMetadataIT_T0_XT2_EXT3_EEENS1_16TensorSizeStrideIS8_Lj4EEEiS8_
		.amdhsa_group_segment_fixed_size 0
		.amdhsa_private_segment_fixed_size 0
		.amdhsa_kernarg_size 3696
		.amdhsa_user_sgpr_count 2
		.amdhsa_user_sgpr_dispatch_ptr 0
		.amdhsa_user_sgpr_queue_ptr 0
		.amdhsa_user_sgpr_kernarg_segment_ptr 1
		.amdhsa_user_sgpr_dispatch_id 0
		.amdhsa_user_sgpr_kernarg_preload_length 0
		.amdhsa_user_sgpr_kernarg_preload_offset 0
		.amdhsa_user_sgpr_private_segment_size 0
		.amdhsa_uses_dynamic_stack 0
		.amdhsa_enable_private_segment 0
		.amdhsa_system_sgpr_workgroup_id_x 1
		.amdhsa_system_sgpr_workgroup_id_y 1
		.amdhsa_system_sgpr_workgroup_id_z 0
		.amdhsa_system_sgpr_workgroup_info 0
		.amdhsa_system_vgpr_workitem_id 0
		.amdhsa_next_free_vgpr 12
		.amdhsa_next_free_sgpr 18
		.amdhsa_accum_offset 12
		.amdhsa_reserve_vcc 1
		.amdhsa_float_round_mode_32 0
		.amdhsa_float_round_mode_16_64 0
		.amdhsa_float_denorm_mode_32 3
		.amdhsa_float_denorm_mode_16_64 3
		.amdhsa_dx10_clamp 1
		.amdhsa_ieee_mode 1
		.amdhsa_fp16_overflow 0
		.amdhsa_tg_split 0
		.amdhsa_exception_fp_ieee_invalid_op 0
		.amdhsa_exception_fp_denorm_src 0
		.amdhsa_exception_fp_ieee_div_zero 0
		.amdhsa_exception_fp_ieee_overflow 0
		.amdhsa_exception_fp_ieee_underflow 0
		.amdhsa_exception_fp_ieee_inexact 0
		.amdhsa_exception_int_div_zero 0
	.end_amdhsa_kernel
	.section	.text._ZN2at6native12_GLOBAL__N_130CatArrayBatchedCopy_vectorizedINS1_10OpaqueTypeILj8EEEjLi2ELi64ELi64ELi16ELi2EEEvPcNS1_25CatArrInputTensorMetadataIT_T0_XT2_EXT3_EEENS1_16TensorSizeStrideIS8_Lj4EEEiS8_,"axG",@progbits,_ZN2at6native12_GLOBAL__N_130CatArrayBatchedCopy_vectorizedINS1_10OpaqueTypeILj8EEEjLi2ELi64ELi64ELi16ELi2EEEvPcNS1_25CatArrInputTensorMetadataIT_T0_XT2_EXT3_EEENS1_16TensorSizeStrideIS8_Lj4EEEiS8_,comdat
.Lfunc_end165:
	.size	_ZN2at6native12_GLOBAL__N_130CatArrayBatchedCopy_vectorizedINS1_10OpaqueTypeILj8EEEjLi2ELi64ELi64ELi16ELi2EEEvPcNS1_25CatArrInputTensorMetadataIT_T0_XT2_EXT3_EEENS1_16TensorSizeStrideIS8_Lj4EEEiS8_, .Lfunc_end165-_ZN2at6native12_GLOBAL__N_130CatArrayBatchedCopy_vectorizedINS1_10OpaqueTypeILj8EEEjLi2ELi64ELi64ELi16ELi2EEEvPcNS1_25CatArrInputTensorMetadataIT_T0_XT2_EXT3_EEENS1_16TensorSizeStrideIS8_Lj4EEEiS8_
                                        ; -- End function
	.set _ZN2at6native12_GLOBAL__N_130CatArrayBatchedCopy_vectorizedINS1_10OpaqueTypeILj8EEEjLi2ELi64ELi64ELi16ELi2EEEvPcNS1_25CatArrInputTensorMetadataIT_T0_XT2_EXT3_EEENS1_16TensorSizeStrideIS8_Lj4EEEiS8_.num_vgpr, 12
	.set _ZN2at6native12_GLOBAL__N_130CatArrayBatchedCopy_vectorizedINS1_10OpaqueTypeILj8EEEjLi2ELi64ELi64ELi16ELi2EEEvPcNS1_25CatArrInputTensorMetadataIT_T0_XT2_EXT3_EEENS1_16TensorSizeStrideIS8_Lj4EEEiS8_.num_agpr, 0
	.set _ZN2at6native12_GLOBAL__N_130CatArrayBatchedCopy_vectorizedINS1_10OpaqueTypeILj8EEEjLi2ELi64ELi64ELi16ELi2EEEvPcNS1_25CatArrInputTensorMetadataIT_T0_XT2_EXT3_EEENS1_16TensorSizeStrideIS8_Lj4EEEiS8_.numbered_sgpr, 18
	.set _ZN2at6native12_GLOBAL__N_130CatArrayBatchedCopy_vectorizedINS1_10OpaqueTypeILj8EEEjLi2ELi64ELi64ELi16ELi2EEEvPcNS1_25CatArrInputTensorMetadataIT_T0_XT2_EXT3_EEENS1_16TensorSizeStrideIS8_Lj4EEEiS8_.num_named_barrier, 0
	.set _ZN2at6native12_GLOBAL__N_130CatArrayBatchedCopy_vectorizedINS1_10OpaqueTypeILj8EEEjLi2ELi64ELi64ELi16ELi2EEEvPcNS1_25CatArrInputTensorMetadataIT_T0_XT2_EXT3_EEENS1_16TensorSizeStrideIS8_Lj4EEEiS8_.private_seg_size, 0
	.set _ZN2at6native12_GLOBAL__N_130CatArrayBatchedCopy_vectorizedINS1_10OpaqueTypeILj8EEEjLi2ELi64ELi64ELi16ELi2EEEvPcNS1_25CatArrInputTensorMetadataIT_T0_XT2_EXT3_EEENS1_16TensorSizeStrideIS8_Lj4EEEiS8_.uses_vcc, 1
	.set _ZN2at6native12_GLOBAL__N_130CatArrayBatchedCopy_vectorizedINS1_10OpaqueTypeILj8EEEjLi2ELi64ELi64ELi16ELi2EEEvPcNS1_25CatArrInputTensorMetadataIT_T0_XT2_EXT3_EEENS1_16TensorSizeStrideIS8_Lj4EEEiS8_.uses_flat_scratch, 0
	.set _ZN2at6native12_GLOBAL__N_130CatArrayBatchedCopy_vectorizedINS1_10OpaqueTypeILj8EEEjLi2ELi64ELi64ELi16ELi2EEEvPcNS1_25CatArrInputTensorMetadataIT_T0_XT2_EXT3_EEENS1_16TensorSizeStrideIS8_Lj4EEEiS8_.has_dyn_sized_stack, 0
	.set _ZN2at6native12_GLOBAL__N_130CatArrayBatchedCopy_vectorizedINS1_10OpaqueTypeILj8EEEjLi2ELi64ELi64ELi16ELi2EEEvPcNS1_25CatArrInputTensorMetadataIT_T0_XT2_EXT3_EEENS1_16TensorSizeStrideIS8_Lj4EEEiS8_.has_recursion, 0
	.set _ZN2at6native12_GLOBAL__N_130CatArrayBatchedCopy_vectorizedINS1_10OpaqueTypeILj8EEEjLi2ELi64ELi64ELi16ELi2EEEvPcNS1_25CatArrInputTensorMetadataIT_T0_XT2_EXT3_EEENS1_16TensorSizeStrideIS8_Lj4EEEiS8_.has_indirect_call, 0
	.section	.AMDGPU.csdata,"",@progbits
; Kernel info:
; codeLenInByte = 440
; TotalNumSgprs: 24
; NumVgprs: 12
; NumAgprs: 0
; TotalNumVgprs: 12
; ScratchSize: 0
; MemoryBound: 0
; FloatMode: 240
; IeeeMode: 1
; LDSByteSize: 0 bytes/workgroup (compile time only)
; SGPRBlocks: 2
; VGPRBlocks: 1
; NumSGPRsForWavesPerEU: 24
; NumVGPRsForWavesPerEU: 12
; AccumOffset: 12
; Occupancy: 8
; WaveLimiterHint : 1
; COMPUTE_PGM_RSRC2:SCRATCH_EN: 0
; COMPUTE_PGM_RSRC2:USER_SGPR: 2
; COMPUTE_PGM_RSRC2:TRAP_HANDLER: 0
; COMPUTE_PGM_RSRC2:TGID_X_EN: 1
; COMPUTE_PGM_RSRC2:TGID_Y_EN: 1
; COMPUTE_PGM_RSRC2:TGID_Z_EN: 0
; COMPUTE_PGM_RSRC2:TIDIG_COMP_CNT: 0
; COMPUTE_PGM_RSRC3_GFX90A:ACCUM_OFFSET: 2
; COMPUTE_PGM_RSRC3_GFX90A:TG_SPLIT: 0
	.section	.text._ZN2at6native12_GLOBAL__N_135CatArrayBatchedCopy_alignedK_contigINS1_10OpaqueTypeILj8EEEjLi2ELi64ELi64ELi16EEEvPT_NS1_25CatArrInputTensorMetadataIS5_T0_XT2_EXT3_EEENS1_16TensorSizeStrideIS8_Lj4EEEiS8_,"axG",@progbits,_ZN2at6native12_GLOBAL__N_135CatArrayBatchedCopy_alignedK_contigINS1_10OpaqueTypeILj8EEEjLi2ELi64ELi64ELi16EEEvPT_NS1_25CatArrInputTensorMetadataIS5_T0_XT2_EXT3_EEENS1_16TensorSizeStrideIS8_Lj4EEEiS8_,comdat
	.globl	_ZN2at6native12_GLOBAL__N_135CatArrayBatchedCopy_alignedK_contigINS1_10OpaqueTypeILj8EEEjLi2ELi64ELi64ELi16EEEvPT_NS1_25CatArrInputTensorMetadataIS5_T0_XT2_EXT3_EEENS1_16TensorSizeStrideIS8_Lj4EEEiS8_ ; -- Begin function _ZN2at6native12_GLOBAL__N_135CatArrayBatchedCopy_alignedK_contigINS1_10OpaqueTypeILj8EEEjLi2ELi64ELi64ELi16EEEvPT_NS1_25CatArrInputTensorMetadataIS5_T0_XT2_EXT3_EEENS1_16TensorSizeStrideIS8_Lj4EEEiS8_
	.p2align	8
	.type	_ZN2at6native12_GLOBAL__N_135CatArrayBatchedCopy_alignedK_contigINS1_10OpaqueTypeILj8EEEjLi2ELi64ELi64ELi16EEEvPT_NS1_25CatArrInputTensorMetadataIS5_T0_XT2_EXT3_EEENS1_16TensorSizeStrideIS8_Lj4EEEiS8_,@function
_ZN2at6native12_GLOBAL__N_135CatArrayBatchedCopy_alignedK_contigINS1_10OpaqueTypeILj8EEEjLi2ELi64ELi64ELi16EEEvPT_NS1_25CatArrInputTensorMetadataIS5_T0_XT2_EXT3_EEENS1_16TensorSizeStrideIS8_Lj4EEEiS8_: ; @_ZN2at6native12_GLOBAL__N_135CatArrayBatchedCopy_alignedK_contigINS1_10OpaqueTypeILj8EEEjLi2ELi64ELi64ELi16EEEvPT_NS1_25CatArrInputTensorMetadataIS5_T0_XT2_EXT3_EEENS1_16TensorSizeStrideIS8_Lj4EEEiS8_
; %bb.0:
	s_mov_b32 s4, s3
	s_load_dword s3, s[0:1], 0xd7c
	s_add_u32 s14, s0, 0xd70
	s_mov_b32 s5, 0
	s_addc_u32 s15, s1, 0
	s_lshl_b64 s[4:5], s[4:5], 2
	s_waitcnt lgkmcnt(0)
	s_and_b32 s19, s3, 0xffff
	s_add_u32 s6, s0, s4
	s_addc_u32 s7, s1, s5
	s_load_dword s16, s[6:7], 0x408
	s_mul_i32 s2, s2, s19
	v_add_lshl_u32 v0, s2, v0, 1
	s_add_u32 s2, s6, 8
	s_addc_u32 s3, s7, 0
	s_waitcnt lgkmcnt(0)
	v_cmp_gt_u32_e32 vcc, s16, v0
	s_and_saveexec_b64 s[6:7], vcc
	s_cbranch_execz .LBB166_8
; %bb.1:
	s_add_u32 s10, s2, s4
	s_addc_u32 s11, s3, s5
	s_sub_u32 s2, 0, s4
	s_subb_u32 s3, 0, s5
	s_add_u32 s12, s10, s2
	s_addc_u32 s13, s11, s3
	s_load_dword s20, s[12:13], 0x200
	s_load_dwordx2 s[2:3], s[0:1], 0x0
	s_load_dwordx2 s[8:9], s[0:1], 0xd68
	s_load_dword s17, s[0:1], 0xd4c
	s_load_dwordx2 s[4:5], s[0:1], 0xd58
	s_load_dwordx2 s[6:7], s[10:11], 0x0
	s_load_dword s18, s[12:13], 0x300
	v_add_u32_e32 v1, 2, v0
	s_mov_b64 s[10:11], 0
	s_waitcnt lgkmcnt(0)
	s_mul_i32 s9, s20, s9
	v_cmp_ge_u32_e32 vcc, s16, v1
	s_and_saveexec_b64 s[12:13], vcc
	s_cbranch_execz .LBB166_5
; %bb.2:
	s_load_dword s0, s[14:15], 0x0
	s_waitcnt lgkmcnt(0)
	s_mul_i32 s0, s0, s19
	s_lshl_b32 s14, s0, 1
	s_cmp_eq_u32 s8, 1
	s_cselect_b32 s15, s18, s17
	v_cvt_f32_u32_e32 v1, s15
	s_sub_i32 s19, 0, s15
	v_rcp_iflag_f32_e32 v1, v1
	s_nop 0
	v_mul_f32_e32 v1, 0x4f7ffffe, v1
	v_cvt_u32_f32_e32 v2, v1
	v_mov_b32_e32 v1, 0
	v_mul_lo_u32 v3, s19, v2
	v_mul_hi_u32 v3, v2, v3
	v_add_u32_e32 v2, v2, v3
	v_add_u32_e32 v3, 1, v0
.LBB166_3:                              ; =>This Inner Loop Header: Depth=1
	v_lshl_add_u64 v[4:5], v[0:1], 3, s[6:7]
	global_load_dwordx4 v[4:7], v[4:5], off
	v_mul_hi_u32 v10, v2, v0
	v_mul_hi_u32 v14, v2, v3
	v_add_u32_e32 v8, 1, v0
	v_mov_b32_e32 v9, v1
	v_not_b32_e32 v16, v10
	v_mad_u64_u32 v[12:13], s[0:1], s19, v10, v[0:1]
	v_not_b32_e32 v18, v14
	v_add_u32_e32 v13, 1, v10
	v_mul_hi_u32 v20, v8, v2
	v_mad_u64_u32 v[14:15], s[0:1], s19, v14, v[8:9]
	v_cmp_le_u32_e32 vcc, s15, v12
	v_mad_u64_u32 v[16:17], s[0:1], s15, v16, v[0:1]
	s_nop 0
	v_cndmask_b32_e32 v10, v10, v13, vcc
	v_add_u32_e32 v13, 1, v20
	v_cmp_le_u32_e64 s[0:1], s15, v14
	v_mad_u64_u32 v[18:19], s[20:21], s15, v18, v[8:9]
	v_cndmask_b32_e32 v8, v12, v16, vcc
	v_add_u32_e32 v12, 1, v10
	v_cndmask_b32_e64 v15, v20, v13, s[0:1]
	v_cndmask_b32_e64 v13, v14, v18, s[0:1]
	v_cmp_le_u32_e32 vcc, s15, v8
	v_mov_b32_e32 v11, v1
	v_add_u32_e32 v3, s14, v3
	v_cndmask_b32_e32 v8, v10, v12, vcc
	v_add_u32_e32 v10, 1, v15
	v_cmp_le_u32_e32 vcc, s15, v13
	v_mad_u64_u32 v[12:13], s[0:1], s19, v8, v[0:1]
	s_nop 0
	v_cndmask_b32_e32 v10, v15, v10, vcc
	v_mul_lo_u32 v14, v12, s5
	v_mad_u64_u32 v[12:13], s[0:1], s19, v10, v[0:1]
	v_add_u32_e32 v0, s14, v0
	v_mul_lo_u32 v8, v8, s4
	v_mul_lo_u32 v12, s5, v12
	v_add_u32_e32 v13, 2, v0
	v_mul_lo_u32 v10, v10, s4
	v_add3_u32 v8, v14, v8, s9
	v_add_u32_e32 v12, s5, v12
	v_cmp_lt_u32_e32 vcc, s16, v13
	v_lshl_add_u64 v[8:9], v[8:9], 3, s[2:3]
	v_add3_u32 v10, v12, v10, s9
	s_or_b64 s[10:11], vcc, s[10:11]
	v_lshl_add_u64 v[10:11], v[10:11], 3, s[2:3]
	s_waitcnt vmcnt(0)
	global_store_dwordx2 v[8:9], v[4:5], off
	global_store_dwordx2 v[10:11], v[6:7], off
	s_andn2_b64 exec, exec, s[10:11]
	s_cbranch_execnz .LBB166_3
; %bb.4:
	s_or_b64 exec, exec, s[10:11]
.LBB166_5:
	s_or_b64 exec, exec, s[12:13]
	v_cmp_gt_u32_e32 vcc, s16, v0
	s_and_b64 exec, exec, vcc
	s_cbranch_execz .LBB166_8
; %bb.6:
	s_cmp_eq_u32 s8, 1
	s_cselect_b32 s8, s18, s17
	v_cvt_f32_u32_e32 v1, s8
	v_mov_b32_e32 v3, 0
	s_sub_i32 s10, 0, s8
	v_mov_b32_e32 v5, v3
	v_rcp_iflag_f32_e32 v1, v1
	s_nop 0
	v_mul_f32_e32 v1, 0x4f7ffffe, v1
	v_cvt_u32_f32_e32 v2, v1
	v_mov_b32_e32 v1, v3
	v_lshl_add_u64 v[6:7], v[0:1], 3, s[6:7]
	v_mul_lo_u32 v1, s10, v2
	v_mul_hi_u32 v1, v2, v1
	v_add_u32_e32 v4, v2, v1
	v_mad_u64_u32 v[8:9], s[0:1], v0, v4, 0
	s_mov_b64 s[0:1], 0
.LBB166_7:                              ; =>This Inner Loop Header: Depth=1
	global_load_dwordx2 v[10:11], v[6:7], off
	v_mul_lo_u32 v1, s8, v9
	v_not_b32_e32 v2, v9
	v_sub_u32_e32 v1, v0, v1
	v_add_u32_e32 v14, 1, v9
	v_mad_u64_u32 v[12:13], s[6:7], s8, v2, v[0:1]
	v_cmp_le_u32_e32 vcc, s8, v1
	v_lshl_add_u64 v[6:7], v[6:7], 0, 8
	s_nop 0
	v_cndmask_b32_e32 v2, v9, v14, vcc
	v_cndmask_b32_e32 v1, v1, v12, vcc
	v_add_u32_e32 v12, 1, v2
	v_cmp_le_u32_e32 vcc, s8, v1
	v_lshl_add_u64 v[8:9], v[8:9], 0, v[4:5]
	s_nop 0
	v_cndmask_b32_e32 v1, v2, v12, vcc
	v_mad_u64_u32 v[12:13], s[6:7], s10, v1, v[0:1]
	v_mul_lo_u32 v1, v1, s4
	v_add_u32_e32 v0, 1, v0
	v_mul_lo_u32 v2, v12, s5
	v_cmp_le_u32_e32 vcc, s16, v0
	v_add3_u32 v2, v2, v1, s9
	s_or_b64 s[0:1], vcc, s[0:1]
	v_lshl_add_u64 v[12:13], v[2:3], 3, s[2:3]
	s_waitcnt vmcnt(0)
	global_store_dwordx2 v[12:13], v[10:11], off
	s_andn2_b64 exec, exec, s[0:1]
	s_cbranch_execnz .LBB166_7
.LBB166_8:
	s_endpgm
	.section	.rodata,"a",@progbits
	.p2align	6, 0x0
	.amdhsa_kernel _ZN2at6native12_GLOBAL__N_135CatArrayBatchedCopy_alignedK_contigINS1_10OpaqueTypeILj8EEEjLi2ELi64ELi64ELi16EEEvPT_NS1_25CatArrInputTensorMetadataIS5_T0_XT2_EXT3_EEENS1_16TensorSizeStrideIS8_Lj4EEEiS8_
		.amdhsa_group_segment_fixed_size 0
		.amdhsa_private_segment_fixed_size 0
		.amdhsa_kernarg_size 3696
		.amdhsa_user_sgpr_count 2
		.amdhsa_user_sgpr_dispatch_ptr 0
		.amdhsa_user_sgpr_queue_ptr 0
		.amdhsa_user_sgpr_kernarg_segment_ptr 1
		.amdhsa_user_sgpr_dispatch_id 0
		.amdhsa_user_sgpr_kernarg_preload_length 0
		.amdhsa_user_sgpr_kernarg_preload_offset 0
		.amdhsa_user_sgpr_private_segment_size 0
		.amdhsa_uses_dynamic_stack 0
		.amdhsa_enable_private_segment 0
		.amdhsa_system_sgpr_workgroup_id_x 1
		.amdhsa_system_sgpr_workgroup_id_y 1
		.amdhsa_system_sgpr_workgroup_id_z 0
		.amdhsa_system_sgpr_workgroup_info 0
		.amdhsa_system_vgpr_workitem_id 0
		.amdhsa_next_free_vgpr 21
		.amdhsa_next_free_sgpr 22
		.amdhsa_accum_offset 24
		.amdhsa_reserve_vcc 1
		.amdhsa_float_round_mode_32 0
		.amdhsa_float_round_mode_16_64 0
		.amdhsa_float_denorm_mode_32 3
		.amdhsa_float_denorm_mode_16_64 3
		.amdhsa_dx10_clamp 1
		.amdhsa_ieee_mode 1
		.amdhsa_fp16_overflow 0
		.amdhsa_tg_split 0
		.amdhsa_exception_fp_ieee_invalid_op 0
		.amdhsa_exception_fp_denorm_src 0
		.amdhsa_exception_fp_ieee_div_zero 0
		.amdhsa_exception_fp_ieee_overflow 0
		.amdhsa_exception_fp_ieee_underflow 0
		.amdhsa_exception_fp_ieee_inexact 0
		.amdhsa_exception_int_div_zero 0
	.end_amdhsa_kernel
	.section	.text._ZN2at6native12_GLOBAL__N_135CatArrayBatchedCopy_alignedK_contigINS1_10OpaqueTypeILj8EEEjLi2ELi64ELi64ELi16EEEvPT_NS1_25CatArrInputTensorMetadataIS5_T0_XT2_EXT3_EEENS1_16TensorSizeStrideIS8_Lj4EEEiS8_,"axG",@progbits,_ZN2at6native12_GLOBAL__N_135CatArrayBatchedCopy_alignedK_contigINS1_10OpaqueTypeILj8EEEjLi2ELi64ELi64ELi16EEEvPT_NS1_25CatArrInputTensorMetadataIS5_T0_XT2_EXT3_EEENS1_16TensorSizeStrideIS8_Lj4EEEiS8_,comdat
.Lfunc_end166:
	.size	_ZN2at6native12_GLOBAL__N_135CatArrayBatchedCopy_alignedK_contigINS1_10OpaqueTypeILj8EEEjLi2ELi64ELi64ELi16EEEvPT_NS1_25CatArrInputTensorMetadataIS5_T0_XT2_EXT3_EEENS1_16TensorSizeStrideIS8_Lj4EEEiS8_, .Lfunc_end166-_ZN2at6native12_GLOBAL__N_135CatArrayBatchedCopy_alignedK_contigINS1_10OpaqueTypeILj8EEEjLi2ELi64ELi64ELi16EEEvPT_NS1_25CatArrInputTensorMetadataIS5_T0_XT2_EXT3_EEENS1_16TensorSizeStrideIS8_Lj4EEEiS8_
                                        ; -- End function
	.set _ZN2at6native12_GLOBAL__N_135CatArrayBatchedCopy_alignedK_contigINS1_10OpaqueTypeILj8EEEjLi2ELi64ELi64ELi16EEEvPT_NS1_25CatArrInputTensorMetadataIS5_T0_XT2_EXT3_EEENS1_16TensorSizeStrideIS8_Lj4EEEiS8_.num_vgpr, 21
	.set _ZN2at6native12_GLOBAL__N_135CatArrayBatchedCopy_alignedK_contigINS1_10OpaqueTypeILj8EEEjLi2ELi64ELi64ELi16EEEvPT_NS1_25CatArrInputTensorMetadataIS5_T0_XT2_EXT3_EEENS1_16TensorSizeStrideIS8_Lj4EEEiS8_.num_agpr, 0
	.set _ZN2at6native12_GLOBAL__N_135CatArrayBatchedCopy_alignedK_contigINS1_10OpaqueTypeILj8EEEjLi2ELi64ELi64ELi16EEEvPT_NS1_25CatArrInputTensorMetadataIS5_T0_XT2_EXT3_EEENS1_16TensorSizeStrideIS8_Lj4EEEiS8_.numbered_sgpr, 22
	.set _ZN2at6native12_GLOBAL__N_135CatArrayBatchedCopy_alignedK_contigINS1_10OpaqueTypeILj8EEEjLi2ELi64ELi64ELi16EEEvPT_NS1_25CatArrInputTensorMetadataIS5_T0_XT2_EXT3_EEENS1_16TensorSizeStrideIS8_Lj4EEEiS8_.num_named_barrier, 0
	.set _ZN2at6native12_GLOBAL__N_135CatArrayBatchedCopy_alignedK_contigINS1_10OpaqueTypeILj8EEEjLi2ELi64ELi64ELi16EEEvPT_NS1_25CatArrInputTensorMetadataIS5_T0_XT2_EXT3_EEENS1_16TensorSizeStrideIS8_Lj4EEEiS8_.private_seg_size, 0
	.set _ZN2at6native12_GLOBAL__N_135CatArrayBatchedCopy_alignedK_contigINS1_10OpaqueTypeILj8EEEjLi2ELi64ELi64ELi16EEEvPT_NS1_25CatArrInputTensorMetadataIS5_T0_XT2_EXT3_EEENS1_16TensorSizeStrideIS8_Lj4EEEiS8_.uses_vcc, 1
	.set _ZN2at6native12_GLOBAL__N_135CatArrayBatchedCopy_alignedK_contigINS1_10OpaqueTypeILj8EEEjLi2ELi64ELi64ELi16EEEvPT_NS1_25CatArrInputTensorMetadataIS5_T0_XT2_EXT3_EEENS1_16TensorSizeStrideIS8_Lj4EEEiS8_.uses_flat_scratch, 0
	.set _ZN2at6native12_GLOBAL__N_135CatArrayBatchedCopy_alignedK_contigINS1_10OpaqueTypeILj8EEEjLi2ELi64ELi64ELi16EEEvPT_NS1_25CatArrInputTensorMetadataIS5_T0_XT2_EXT3_EEENS1_16TensorSizeStrideIS8_Lj4EEEiS8_.has_dyn_sized_stack, 0
	.set _ZN2at6native12_GLOBAL__N_135CatArrayBatchedCopy_alignedK_contigINS1_10OpaqueTypeILj8EEEjLi2ELi64ELi64ELi16EEEvPT_NS1_25CatArrInputTensorMetadataIS5_T0_XT2_EXT3_EEENS1_16TensorSizeStrideIS8_Lj4EEEiS8_.has_recursion, 0
	.set _ZN2at6native12_GLOBAL__N_135CatArrayBatchedCopy_alignedK_contigINS1_10OpaqueTypeILj8EEEjLi2ELi64ELi64ELi16EEEvPT_NS1_25CatArrInputTensorMetadataIS5_T0_XT2_EXT3_EEENS1_16TensorSizeStrideIS8_Lj4EEEiS8_.has_indirect_call, 0
	.section	.AMDGPU.csdata,"",@progbits
; Kernel info:
; codeLenInByte = 856
; TotalNumSgprs: 28
; NumVgprs: 21
; NumAgprs: 0
; TotalNumVgprs: 21
; ScratchSize: 0
; MemoryBound: 0
; FloatMode: 240
; IeeeMode: 1
; LDSByteSize: 0 bytes/workgroup (compile time only)
; SGPRBlocks: 3
; VGPRBlocks: 2
; NumSGPRsForWavesPerEU: 28
; NumVGPRsForWavesPerEU: 21
; AccumOffset: 24
; Occupancy: 8
; WaveLimiterHint : 1
; COMPUTE_PGM_RSRC2:SCRATCH_EN: 0
; COMPUTE_PGM_RSRC2:USER_SGPR: 2
; COMPUTE_PGM_RSRC2:TRAP_HANDLER: 0
; COMPUTE_PGM_RSRC2:TGID_X_EN: 1
; COMPUTE_PGM_RSRC2:TGID_Y_EN: 1
; COMPUTE_PGM_RSRC2:TGID_Z_EN: 0
; COMPUTE_PGM_RSRC2:TIDIG_COMP_CNT: 0
; COMPUTE_PGM_RSRC3_GFX90A:ACCUM_OFFSET: 5
; COMPUTE_PGM_RSRC3_GFX90A:TG_SPLIT: 0
	.section	.text._ZN2at6native12_GLOBAL__N_135CatArrayBatchedCopy_alignedK_contigINS1_10OpaqueTypeILj8EEEjLi2ELi64ELi64ELi8EEEvPT_NS1_25CatArrInputTensorMetadataIS5_T0_XT2_EXT3_EEENS1_16TensorSizeStrideIS8_Lj4EEEiS8_,"axG",@progbits,_ZN2at6native12_GLOBAL__N_135CatArrayBatchedCopy_alignedK_contigINS1_10OpaqueTypeILj8EEEjLi2ELi64ELi64ELi8EEEvPT_NS1_25CatArrInputTensorMetadataIS5_T0_XT2_EXT3_EEENS1_16TensorSizeStrideIS8_Lj4EEEiS8_,comdat
	.globl	_ZN2at6native12_GLOBAL__N_135CatArrayBatchedCopy_alignedK_contigINS1_10OpaqueTypeILj8EEEjLi2ELi64ELi64ELi8EEEvPT_NS1_25CatArrInputTensorMetadataIS5_T0_XT2_EXT3_EEENS1_16TensorSizeStrideIS8_Lj4EEEiS8_ ; -- Begin function _ZN2at6native12_GLOBAL__N_135CatArrayBatchedCopy_alignedK_contigINS1_10OpaqueTypeILj8EEEjLi2ELi64ELi64ELi8EEEvPT_NS1_25CatArrInputTensorMetadataIS5_T0_XT2_EXT3_EEENS1_16TensorSizeStrideIS8_Lj4EEEiS8_
	.p2align	8
	.type	_ZN2at6native12_GLOBAL__N_135CatArrayBatchedCopy_alignedK_contigINS1_10OpaqueTypeILj8EEEjLi2ELi64ELi64ELi8EEEvPT_NS1_25CatArrInputTensorMetadataIS5_T0_XT2_EXT3_EEENS1_16TensorSizeStrideIS8_Lj4EEEiS8_,@function
_ZN2at6native12_GLOBAL__N_135CatArrayBatchedCopy_alignedK_contigINS1_10OpaqueTypeILj8EEEjLi2ELi64ELi64ELi8EEEvPT_NS1_25CatArrInputTensorMetadataIS5_T0_XT2_EXT3_EEENS1_16TensorSizeStrideIS8_Lj4EEEiS8_: ; @_ZN2at6native12_GLOBAL__N_135CatArrayBatchedCopy_alignedK_contigINS1_10OpaqueTypeILj8EEEjLi2ELi64ELi64ELi8EEEvPT_NS1_25CatArrInputTensorMetadataIS5_T0_XT2_EXT3_EEENS1_16TensorSizeStrideIS8_Lj4EEEiS8_
; %bb.0:
	s_mov_b32 s4, s3
	s_load_dword s3, s[0:1], 0xd7c
	s_add_u32 s8, s0, 0xd70
	s_mov_b32 s5, 0
	s_addc_u32 s9, s1, 0
	s_lshl_b64 s[4:5], s[4:5], 2
	s_waitcnt lgkmcnt(0)
	s_and_b32 s12, s3, 0xffff
	s_add_u32 s6, s0, s4
	s_addc_u32 s7, s1, s5
	s_load_dword s10, s[6:7], 0x408
	s_mul_i32 s2, s2, s12
	v_add_u32_e32 v2, s2, v0
	s_add_u32 s2, s6, 8
	s_addc_u32 s3, s7, 0
	s_waitcnt lgkmcnt(0)
	v_cmp_gt_u32_e32 vcc, s10, v2
	s_and_saveexec_b64 s[6:7], vcc
	s_cbranch_execz .LBB167_6
; %bb.1:
	s_add_u32 s14, s2, s4
	s_addc_u32 s15, s3, s5
	s_sub_u32 s2, 0, s4
	s_subb_u32 s3, 0, s5
	s_add_u32 s16, s14, s2
	s_addc_u32 s17, s15, s3
	s_load_dword s4, s[16:17], 0x300
	s_load_dwordx2 s[18:19], s[0:1], 0xd68
	s_load_dword s5, s[0:1], 0xd4c
	s_load_dwordx2 s[2:3], s[0:1], 0xd58
	v_mov_b32_e32 v5, 0
	v_add_u32_e32 v3, 1, v2
	s_waitcnt lgkmcnt(0)
	s_cmp_eq_u32 s18, 1
	s_cselect_b32 s11, s4, s5
	v_cvt_f32_u32_e32 v0, s11
	s_load_dwordx2 s[4:5], s[0:1], 0x0
	s_load_dwordx2 s[6:7], s[14:15], 0x0
	s_load_dword s13, s[16:17], 0x200
	s_mov_b64 s[0:1], 0
	s_load_dword s8, s[8:9], 0x0
	v_rcp_iflag_f32_e32 v0, v0
	s_sub_i32 s9, 0, s11
	s_waitcnt lgkmcnt(0)
	s_mul_i32 s12, s8, s12
	v_mul_f32_e32 v0, 0x4f7ffffe, v0
	v_cvt_u32_f32_e32 v0, v0
	s_mul_i32 s8, s13, s19
	v_mul_lo_u32 v1, s9, v0
	v_mul_hi_u32 v1, v0, v1
	v_add_u32_e32 v0, v0, v1
	v_mov_b32_e32 v1, v5
.LBB167_2:                              ; =>This Inner Loop Header: Depth=1
	v_add_u32_e32 v4, -1, v3
	v_lshl_add_u64 v[6:7], v[4:5], 3, s[6:7]
	global_load_dwordx2 v[6:7], v[6:7], off
	v_mul_hi_u32 v8, v0, v2
	v_add_u32_e32 v3, s12, v3
	v_mul_lo_u32 v9, s11, v8
	v_not_b32_e32 v8, v8
	v_mul_hi_u32 v10, v4, v0
	v_cmp_lt_u32_e32 vcc, s10, v3
	v_sub_u32_e32 v11, v2, v9
	v_mad_u64_u32 v[8:9], s[14:15], s11, v8, v[2:3]
	v_add_u32_e32 v9, 1, v10
	s_or_b64 s[0:1], vcc, s[0:1]
	v_cmp_le_u32_e32 vcc, s11, v11
	v_add_u32_e32 v2, s12, v2
	s_nop 0
	v_cndmask_b32_e32 v9, v10, v9, vcc
	v_cndmask_b32_e32 v8, v11, v8, vcc
	v_add_u32_e32 v10, 1, v9
	v_cmp_le_u32_e32 vcc, s11, v8
	s_nop 1
	v_cndmask_b32_e32 v10, v9, v10, vcc
	v_mad_u64_u32 v[8:9], s[14:15], s9, v10, v[4:5]
	v_mul_lo_u32 v4, v10, s2
	v_mul_lo_u32 v8, v8, s3
	v_add3_u32 v4, v8, v4, s8
	v_lshl_add_u64 v[8:9], v[4:5], 3, s[4:5]
	s_waitcnt vmcnt(0)
	global_store_dwordx2 v[8:9], v[6:7], off
	s_andn2_b64 exec, exec, s[0:1]
	s_cbranch_execnz .LBB167_2
; %bb.3:
	s_or_b64 exec, exec, s[0:1]
	v_add_u32_e32 v2, -1, v3
	v_cmp_gt_u32_e32 vcc, s10, v2
	s_and_b64 exec, exec, vcc
	s_cbranch_execz .LBB167_6
; %bb.4:
	v_mov_b32_e32 v5, 0
	v_mov_b32_e32 v3, v5
	v_mad_u64_u32 v[6:7], s[0:1], v0, v2, 0
	v_lshl_add_u64 v[8:9], v[2:3], 3, s[6:7]
	s_mov_b64 s[0:1], 0
.LBB167_5:                              ; =>This Inner Loop Header: Depth=1
	global_load_dwordx2 v[10:11], v[8:9], off
	v_not_b32_e32 v3, v7
	v_mul_lo_u32 v4, s11, v7
	v_mad_u64_u32 v[12:13], s[6:7], s11, v3, v[2:3]
	v_sub_u32_e32 v3, v2, v4
	v_add_u32_e32 v14, 1, v7
	v_cmp_le_u32_e32 vcc, s11, v3
	v_lshl_add_u64 v[8:9], v[8:9], 0, 8
	s_nop 0
	v_cndmask_b32_e32 v4, v7, v14, vcc
	v_cndmask_b32_e32 v3, v3, v12, vcc
	v_add_u32_e32 v12, 1, v4
	v_cmp_le_u32_e32 vcc, s11, v3
	v_lshl_add_u64 v[6:7], v[6:7], 0, v[0:1]
	s_nop 0
	v_cndmask_b32_e32 v3, v4, v12, vcc
	v_mad_u64_u32 v[12:13], s[6:7], s9, v3, v[2:3]
	v_mul_lo_u32 v3, v3, s2
	v_add_u32_e32 v2, 1, v2
	v_mul_lo_u32 v4, v12, s3
	v_cmp_le_u32_e32 vcc, s10, v2
	v_add3_u32 v4, v3, s8, v4
	s_or_b64 s[0:1], vcc, s[0:1]
	v_lshl_add_u64 v[12:13], v[4:5], 3, s[4:5]
	s_waitcnt vmcnt(0)
	global_store_dwordx2 v[12:13], v[10:11], off
	s_andn2_b64 exec, exec, s[0:1]
	s_cbranch_execnz .LBB167_5
.LBB167_6:
	s_endpgm
	.section	.rodata,"a",@progbits
	.p2align	6, 0x0
	.amdhsa_kernel _ZN2at6native12_GLOBAL__N_135CatArrayBatchedCopy_alignedK_contigINS1_10OpaqueTypeILj8EEEjLi2ELi64ELi64ELi8EEEvPT_NS1_25CatArrInputTensorMetadataIS5_T0_XT2_EXT3_EEENS1_16TensorSizeStrideIS8_Lj4EEEiS8_
		.amdhsa_group_segment_fixed_size 0
		.amdhsa_private_segment_fixed_size 0
		.amdhsa_kernarg_size 3696
		.amdhsa_user_sgpr_count 2
		.amdhsa_user_sgpr_dispatch_ptr 0
		.amdhsa_user_sgpr_queue_ptr 0
		.amdhsa_user_sgpr_kernarg_segment_ptr 1
		.amdhsa_user_sgpr_dispatch_id 0
		.amdhsa_user_sgpr_kernarg_preload_length 0
		.amdhsa_user_sgpr_kernarg_preload_offset 0
		.amdhsa_user_sgpr_private_segment_size 0
		.amdhsa_uses_dynamic_stack 0
		.amdhsa_enable_private_segment 0
		.amdhsa_system_sgpr_workgroup_id_x 1
		.amdhsa_system_sgpr_workgroup_id_y 1
		.amdhsa_system_sgpr_workgroup_id_z 0
		.amdhsa_system_sgpr_workgroup_info 0
		.amdhsa_system_vgpr_workitem_id 0
		.amdhsa_next_free_vgpr 15
		.amdhsa_next_free_sgpr 20
		.amdhsa_accum_offset 16
		.amdhsa_reserve_vcc 1
		.amdhsa_float_round_mode_32 0
		.amdhsa_float_round_mode_16_64 0
		.amdhsa_float_denorm_mode_32 3
		.amdhsa_float_denorm_mode_16_64 3
		.amdhsa_dx10_clamp 1
		.amdhsa_ieee_mode 1
		.amdhsa_fp16_overflow 0
		.amdhsa_tg_split 0
		.amdhsa_exception_fp_ieee_invalid_op 0
		.amdhsa_exception_fp_denorm_src 0
		.amdhsa_exception_fp_ieee_div_zero 0
		.amdhsa_exception_fp_ieee_overflow 0
		.amdhsa_exception_fp_ieee_underflow 0
		.amdhsa_exception_fp_ieee_inexact 0
		.amdhsa_exception_int_div_zero 0
	.end_amdhsa_kernel
	.section	.text._ZN2at6native12_GLOBAL__N_135CatArrayBatchedCopy_alignedK_contigINS1_10OpaqueTypeILj8EEEjLi2ELi64ELi64ELi8EEEvPT_NS1_25CatArrInputTensorMetadataIS5_T0_XT2_EXT3_EEENS1_16TensorSizeStrideIS8_Lj4EEEiS8_,"axG",@progbits,_ZN2at6native12_GLOBAL__N_135CatArrayBatchedCopy_alignedK_contigINS1_10OpaqueTypeILj8EEEjLi2ELi64ELi64ELi8EEEvPT_NS1_25CatArrInputTensorMetadataIS5_T0_XT2_EXT3_EEENS1_16TensorSizeStrideIS8_Lj4EEEiS8_,comdat
.Lfunc_end167:
	.size	_ZN2at6native12_GLOBAL__N_135CatArrayBatchedCopy_alignedK_contigINS1_10OpaqueTypeILj8EEEjLi2ELi64ELi64ELi8EEEvPT_NS1_25CatArrInputTensorMetadataIS5_T0_XT2_EXT3_EEENS1_16TensorSizeStrideIS8_Lj4EEEiS8_, .Lfunc_end167-_ZN2at6native12_GLOBAL__N_135CatArrayBatchedCopy_alignedK_contigINS1_10OpaqueTypeILj8EEEjLi2ELi64ELi64ELi8EEEvPT_NS1_25CatArrInputTensorMetadataIS5_T0_XT2_EXT3_EEENS1_16TensorSizeStrideIS8_Lj4EEEiS8_
                                        ; -- End function
	.set _ZN2at6native12_GLOBAL__N_135CatArrayBatchedCopy_alignedK_contigINS1_10OpaqueTypeILj8EEEjLi2ELi64ELi64ELi8EEEvPT_NS1_25CatArrInputTensorMetadataIS5_T0_XT2_EXT3_EEENS1_16TensorSizeStrideIS8_Lj4EEEiS8_.num_vgpr, 15
	.set _ZN2at6native12_GLOBAL__N_135CatArrayBatchedCopy_alignedK_contigINS1_10OpaqueTypeILj8EEEjLi2ELi64ELi64ELi8EEEvPT_NS1_25CatArrInputTensorMetadataIS5_T0_XT2_EXT3_EEENS1_16TensorSizeStrideIS8_Lj4EEEiS8_.num_agpr, 0
	.set _ZN2at6native12_GLOBAL__N_135CatArrayBatchedCopy_alignedK_contigINS1_10OpaqueTypeILj8EEEjLi2ELi64ELi64ELi8EEEvPT_NS1_25CatArrInputTensorMetadataIS5_T0_XT2_EXT3_EEENS1_16TensorSizeStrideIS8_Lj4EEEiS8_.numbered_sgpr, 20
	.set _ZN2at6native12_GLOBAL__N_135CatArrayBatchedCopy_alignedK_contigINS1_10OpaqueTypeILj8EEEjLi2ELi64ELi64ELi8EEEvPT_NS1_25CatArrInputTensorMetadataIS5_T0_XT2_EXT3_EEENS1_16TensorSizeStrideIS8_Lj4EEEiS8_.num_named_barrier, 0
	.set _ZN2at6native12_GLOBAL__N_135CatArrayBatchedCopy_alignedK_contigINS1_10OpaqueTypeILj8EEEjLi2ELi64ELi64ELi8EEEvPT_NS1_25CatArrInputTensorMetadataIS5_T0_XT2_EXT3_EEENS1_16TensorSizeStrideIS8_Lj4EEEiS8_.private_seg_size, 0
	.set _ZN2at6native12_GLOBAL__N_135CatArrayBatchedCopy_alignedK_contigINS1_10OpaqueTypeILj8EEEjLi2ELi64ELi64ELi8EEEvPT_NS1_25CatArrInputTensorMetadataIS5_T0_XT2_EXT3_EEENS1_16TensorSizeStrideIS8_Lj4EEEiS8_.uses_vcc, 1
	.set _ZN2at6native12_GLOBAL__N_135CatArrayBatchedCopy_alignedK_contigINS1_10OpaqueTypeILj8EEEjLi2ELi64ELi64ELi8EEEvPT_NS1_25CatArrInputTensorMetadataIS5_T0_XT2_EXT3_EEENS1_16TensorSizeStrideIS8_Lj4EEEiS8_.uses_flat_scratch, 0
	.set _ZN2at6native12_GLOBAL__N_135CatArrayBatchedCopy_alignedK_contigINS1_10OpaqueTypeILj8EEEjLi2ELi64ELi64ELi8EEEvPT_NS1_25CatArrInputTensorMetadataIS5_T0_XT2_EXT3_EEENS1_16TensorSizeStrideIS8_Lj4EEEiS8_.has_dyn_sized_stack, 0
	.set _ZN2at6native12_GLOBAL__N_135CatArrayBatchedCopy_alignedK_contigINS1_10OpaqueTypeILj8EEEjLi2ELi64ELi64ELi8EEEvPT_NS1_25CatArrInputTensorMetadataIS5_T0_XT2_EXT3_EEENS1_16TensorSizeStrideIS8_Lj4EEEiS8_.has_recursion, 0
	.set _ZN2at6native12_GLOBAL__N_135CatArrayBatchedCopy_alignedK_contigINS1_10OpaqueTypeILj8EEEjLi2ELi64ELi64ELi8EEEvPT_NS1_25CatArrInputTensorMetadataIS5_T0_XT2_EXT3_EEENS1_16TensorSizeStrideIS8_Lj4EEEiS8_.has_indirect_call, 0
	.section	.AMDGPU.csdata,"",@progbits
; Kernel info:
; codeLenInByte = 644
; TotalNumSgprs: 26
; NumVgprs: 15
; NumAgprs: 0
; TotalNumVgprs: 15
; ScratchSize: 0
; MemoryBound: 0
; FloatMode: 240
; IeeeMode: 1
; LDSByteSize: 0 bytes/workgroup (compile time only)
; SGPRBlocks: 3
; VGPRBlocks: 1
; NumSGPRsForWavesPerEU: 26
; NumVGPRsForWavesPerEU: 15
; AccumOffset: 16
; Occupancy: 8
; WaveLimiterHint : 1
; COMPUTE_PGM_RSRC2:SCRATCH_EN: 0
; COMPUTE_PGM_RSRC2:USER_SGPR: 2
; COMPUTE_PGM_RSRC2:TRAP_HANDLER: 0
; COMPUTE_PGM_RSRC2:TGID_X_EN: 1
; COMPUTE_PGM_RSRC2:TGID_Y_EN: 1
; COMPUTE_PGM_RSRC2:TGID_Z_EN: 0
; COMPUTE_PGM_RSRC2:TIDIG_COMP_CNT: 0
; COMPUTE_PGM_RSRC3_GFX90A:ACCUM_OFFSET: 3
; COMPUTE_PGM_RSRC3_GFX90A:TG_SPLIT: 0
	.section	.text._ZN2at6native12_GLOBAL__N_126CatArrayBatchedCopy_contigINS1_10OpaqueTypeILj8EEEjLi2ELi64ELi64EEEvPT_NS1_25CatArrInputTensorMetadataIS5_T0_XT2_EXT3_EEENS1_16TensorSizeStrideIS8_Lj4EEEiS8_,"axG",@progbits,_ZN2at6native12_GLOBAL__N_126CatArrayBatchedCopy_contigINS1_10OpaqueTypeILj8EEEjLi2ELi64ELi64EEEvPT_NS1_25CatArrInputTensorMetadataIS5_T0_XT2_EXT3_EEENS1_16TensorSizeStrideIS8_Lj4EEEiS8_,comdat
	.globl	_ZN2at6native12_GLOBAL__N_126CatArrayBatchedCopy_contigINS1_10OpaqueTypeILj8EEEjLi2ELi64ELi64EEEvPT_NS1_25CatArrInputTensorMetadataIS5_T0_XT2_EXT3_EEENS1_16TensorSizeStrideIS8_Lj4EEEiS8_ ; -- Begin function _ZN2at6native12_GLOBAL__N_126CatArrayBatchedCopy_contigINS1_10OpaqueTypeILj8EEEjLi2ELi64ELi64EEEvPT_NS1_25CatArrInputTensorMetadataIS5_T0_XT2_EXT3_EEENS1_16TensorSizeStrideIS8_Lj4EEEiS8_
	.p2align	8
	.type	_ZN2at6native12_GLOBAL__N_126CatArrayBatchedCopy_contigINS1_10OpaqueTypeILj8EEEjLi2ELi64ELi64EEEvPT_NS1_25CatArrInputTensorMetadataIS5_T0_XT2_EXT3_EEENS1_16TensorSizeStrideIS8_Lj4EEEiS8_,@function
_ZN2at6native12_GLOBAL__N_126CatArrayBatchedCopy_contigINS1_10OpaqueTypeILj8EEEjLi2ELi64ELi64EEEvPT_NS1_25CatArrInputTensorMetadataIS5_T0_XT2_EXT3_EEENS1_16TensorSizeStrideIS8_Lj4EEEiS8_: ; @_ZN2at6native12_GLOBAL__N_126CatArrayBatchedCopy_contigINS1_10OpaqueTypeILj8EEEjLi2ELi64ELi64EEEvPT_NS1_25CatArrInputTensorMetadataIS5_T0_XT2_EXT3_EEENS1_16TensorSizeStrideIS8_Lj4EEEiS8_
; %bb.0:
	s_mov_b32 s4, s3
	s_load_dword s3, s[0:1], 0xd7c
	s_add_u32 s6, s0, 0xd70
	s_mov_b32 s5, 0
	s_addc_u32 s7, s1, 0
	s_lshl_b64 s[4:5], s[4:5], 2
	s_waitcnt lgkmcnt(0)
	s_and_b32 s10, s3, 0xffff
	s_add_u32 s12, s0, s4
	s_addc_u32 s13, s1, s5
	s_load_dword s8, s[12:13], 0x408
	s_mul_i32 s2, s2, s10
	v_add_u32_e32 v0, s2, v0
	s_add_u32 s2, s12, 8
	s_addc_u32 s3, s13, 0
	s_waitcnt lgkmcnt(0)
	v_cmp_gt_u32_e32 vcc, s8, v0
	s_and_saveexec_b64 s[12:13], vcc
	s_cbranch_execz .LBB168_3
; %bb.1:
	s_add_u32 s12, s2, s4
	s_addc_u32 s13, s3, s5
	s_sub_u32 s2, 0, s4
	s_subb_u32 s3, 0, s5
	s_add_u32 s14, s12, s2
	s_addc_u32 s15, s13, s3
	s_load_dword s4, s[14:15], 0x300
	s_load_dwordx2 s[16:17], s[0:1], 0xd68
	s_load_dword s5, s[0:1], 0xd4c
	s_load_dwordx2 s[2:3], s[0:1], 0xd58
	s_waitcnt lgkmcnt(0)
	s_cmp_eq_u32 s16, 1
	s_cselect_b32 s9, s4, s5
	v_cvt_f32_u32_e32 v1, s9
	s_load_dwordx2 s[4:5], s[0:1], 0x0
	s_load_dword s11, s[6:7], 0x0
	s_nop 0
	s_load_dwordx2 s[0:1], s[12:13], 0x0
	s_load_dword s16, s[14:15], 0x200
	s_sub_i32 s12, 0, s9
	v_rcp_iflag_f32_e32 v1, v1
	s_mov_b64 s[6:7], 0
	s_waitcnt lgkmcnt(0)
	s_mul_i32 s10, s11, s10
	s_mul_i32 s11, s16, s17
	v_mul_f32_e32 v1, 0x4f7ffffe, v1
	v_cvt_u32_f32_e32 v1, v1
	v_mul_lo_u32 v2, s12, v1
	v_mul_hi_u32 v2, v1, v2
	v_add_u32_e32 v2, v1, v2
	v_mov_b32_e32 v1, 0
.LBB168_2:                              ; =>This Inner Loop Header: Depth=1
	v_lshl_add_u64 v[4:5], v[0:1], 3, s[0:1]
	global_load_dwordx2 v[4:5], v[4:5], off
	v_mul_hi_u32 v3, v2, v0
	v_mul_lo_u32 v6, s9, v3
	v_not_b32_e32 v8, v3
	v_sub_u32_e32 v6, v0, v6
	v_add_u32_e32 v10, 1, v3
	v_mad_u64_u32 v[8:9], s[14:15], s9, v8, v[0:1]
	v_cmp_le_u32_e32 vcc, s9, v6
	v_mov_b32_e32 v7, v1
	s_nop 0
	v_cndmask_b32_e32 v3, v3, v10, vcc
	v_cndmask_b32_e32 v6, v6, v8, vcc
	v_add_u32_e32 v8, 1, v3
	v_cmp_le_u32_e32 vcc, s9, v6
	s_nop 1
	v_cndmask_b32_e32 v3, v3, v8, vcc
	v_mad_u64_u32 v[8:9], s[14:15], s12, v3, v[0:1]
	v_mul_lo_u32 v3, v3, s2
	v_add_u32_e32 v0, s10, v0
	v_mul_lo_u32 v6, v8, s3
	v_cmp_le_u32_e32 vcc, s8, v0
	v_add3_u32 v6, v3, s11, v6
	s_or_b64 s[6:7], vcc, s[6:7]
	v_lshl_add_u64 v[6:7], v[6:7], 3, s[4:5]
	s_waitcnt vmcnt(0)
	global_store_dwordx2 v[6:7], v[4:5], off
	s_andn2_b64 exec, exec, s[6:7]
	s_cbranch_execnz .LBB168_2
.LBB168_3:
	s_endpgm
	.section	.rodata,"a",@progbits
	.p2align	6, 0x0
	.amdhsa_kernel _ZN2at6native12_GLOBAL__N_126CatArrayBatchedCopy_contigINS1_10OpaqueTypeILj8EEEjLi2ELi64ELi64EEEvPT_NS1_25CatArrInputTensorMetadataIS5_T0_XT2_EXT3_EEENS1_16TensorSizeStrideIS8_Lj4EEEiS8_
		.amdhsa_group_segment_fixed_size 0
		.amdhsa_private_segment_fixed_size 0
		.amdhsa_kernarg_size 3696
		.amdhsa_user_sgpr_count 2
		.amdhsa_user_sgpr_dispatch_ptr 0
		.amdhsa_user_sgpr_queue_ptr 0
		.amdhsa_user_sgpr_kernarg_segment_ptr 1
		.amdhsa_user_sgpr_dispatch_id 0
		.amdhsa_user_sgpr_kernarg_preload_length 0
		.amdhsa_user_sgpr_kernarg_preload_offset 0
		.amdhsa_user_sgpr_private_segment_size 0
		.amdhsa_uses_dynamic_stack 0
		.amdhsa_enable_private_segment 0
		.amdhsa_system_sgpr_workgroup_id_x 1
		.amdhsa_system_sgpr_workgroup_id_y 1
		.amdhsa_system_sgpr_workgroup_id_z 0
		.amdhsa_system_sgpr_workgroup_info 0
		.amdhsa_system_vgpr_workitem_id 0
		.amdhsa_next_free_vgpr 11
		.amdhsa_next_free_sgpr 18
		.amdhsa_accum_offset 12
		.amdhsa_reserve_vcc 1
		.amdhsa_float_round_mode_32 0
		.amdhsa_float_round_mode_16_64 0
		.amdhsa_float_denorm_mode_32 3
		.amdhsa_float_denorm_mode_16_64 3
		.amdhsa_dx10_clamp 1
		.amdhsa_ieee_mode 1
		.amdhsa_fp16_overflow 0
		.amdhsa_tg_split 0
		.amdhsa_exception_fp_ieee_invalid_op 0
		.amdhsa_exception_fp_denorm_src 0
		.amdhsa_exception_fp_ieee_div_zero 0
		.amdhsa_exception_fp_ieee_overflow 0
		.amdhsa_exception_fp_ieee_underflow 0
		.amdhsa_exception_fp_ieee_inexact 0
		.amdhsa_exception_int_div_zero 0
	.end_amdhsa_kernel
	.section	.text._ZN2at6native12_GLOBAL__N_126CatArrayBatchedCopy_contigINS1_10OpaqueTypeILj8EEEjLi2ELi64ELi64EEEvPT_NS1_25CatArrInputTensorMetadataIS5_T0_XT2_EXT3_EEENS1_16TensorSizeStrideIS8_Lj4EEEiS8_,"axG",@progbits,_ZN2at6native12_GLOBAL__N_126CatArrayBatchedCopy_contigINS1_10OpaqueTypeILj8EEEjLi2ELi64ELi64EEEvPT_NS1_25CatArrInputTensorMetadataIS5_T0_XT2_EXT3_EEENS1_16TensorSizeStrideIS8_Lj4EEEiS8_,comdat
.Lfunc_end168:
	.size	_ZN2at6native12_GLOBAL__N_126CatArrayBatchedCopy_contigINS1_10OpaqueTypeILj8EEEjLi2ELi64ELi64EEEvPT_NS1_25CatArrInputTensorMetadataIS5_T0_XT2_EXT3_EEENS1_16TensorSizeStrideIS8_Lj4EEEiS8_, .Lfunc_end168-_ZN2at6native12_GLOBAL__N_126CatArrayBatchedCopy_contigINS1_10OpaqueTypeILj8EEEjLi2ELi64ELi64EEEvPT_NS1_25CatArrInputTensorMetadataIS5_T0_XT2_EXT3_EEENS1_16TensorSizeStrideIS8_Lj4EEEiS8_
                                        ; -- End function
	.set _ZN2at6native12_GLOBAL__N_126CatArrayBatchedCopy_contigINS1_10OpaqueTypeILj8EEEjLi2ELi64ELi64EEEvPT_NS1_25CatArrInputTensorMetadataIS5_T0_XT2_EXT3_EEENS1_16TensorSizeStrideIS8_Lj4EEEiS8_.num_vgpr, 11
	.set _ZN2at6native12_GLOBAL__N_126CatArrayBatchedCopy_contigINS1_10OpaqueTypeILj8EEEjLi2ELi64ELi64EEEvPT_NS1_25CatArrInputTensorMetadataIS5_T0_XT2_EXT3_EEENS1_16TensorSizeStrideIS8_Lj4EEEiS8_.num_agpr, 0
	.set _ZN2at6native12_GLOBAL__N_126CatArrayBatchedCopy_contigINS1_10OpaqueTypeILj8EEEjLi2ELi64ELi64EEEvPT_NS1_25CatArrInputTensorMetadataIS5_T0_XT2_EXT3_EEENS1_16TensorSizeStrideIS8_Lj4EEEiS8_.numbered_sgpr, 18
	.set _ZN2at6native12_GLOBAL__N_126CatArrayBatchedCopy_contigINS1_10OpaqueTypeILj8EEEjLi2ELi64ELi64EEEvPT_NS1_25CatArrInputTensorMetadataIS5_T0_XT2_EXT3_EEENS1_16TensorSizeStrideIS8_Lj4EEEiS8_.num_named_barrier, 0
	.set _ZN2at6native12_GLOBAL__N_126CatArrayBatchedCopy_contigINS1_10OpaqueTypeILj8EEEjLi2ELi64ELi64EEEvPT_NS1_25CatArrInputTensorMetadataIS5_T0_XT2_EXT3_EEENS1_16TensorSizeStrideIS8_Lj4EEEiS8_.private_seg_size, 0
	.set _ZN2at6native12_GLOBAL__N_126CatArrayBatchedCopy_contigINS1_10OpaqueTypeILj8EEEjLi2ELi64ELi64EEEvPT_NS1_25CatArrInputTensorMetadataIS5_T0_XT2_EXT3_EEENS1_16TensorSizeStrideIS8_Lj4EEEiS8_.uses_vcc, 1
	.set _ZN2at6native12_GLOBAL__N_126CatArrayBatchedCopy_contigINS1_10OpaqueTypeILj8EEEjLi2ELi64ELi64EEEvPT_NS1_25CatArrInputTensorMetadataIS5_T0_XT2_EXT3_EEENS1_16TensorSizeStrideIS8_Lj4EEEiS8_.uses_flat_scratch, 0
	.set _ZN2at6native12_GLOBAL__N_126CatArrayBatchedCopy_contigINS1_10OpaqueTypeILj8EEEjLi2ELi64ELi64EEEvPT_NS1_25CatArrInputTensorMetadataIS5_T0_XT2_EXT3_EEENS1_16TensorSizeStrideIS8_Lj4EEEiS8_.has_dyn_sized_stack, 0
	.set _ZN2at6native12_GLOBAL__N_126CatArrayBatchedCopy_contigINS1_10OpaqueTypeILj8EEEjLi2ELi64ELi64EEEvPT_NS1_25CatArrInputTensorMetadataIS5_T0_XT2_EXT3_EEENS1_16TensorSizeStrideIS8_Lj4EEEiS8_.has_recursion, 0
	.set _ZN2at6native12_GLOBAL__N_126CatArrayBatchedCopy_contigINS1_10OpaqueTypeILj8EEEjLi2ELi64ELi64EEEvPT_NS1_25CatArrInputTensorMetadataIS5_T0_XT2_EXT3_EEENS1_16TensorSizeStrideIS8_Lj4EEEiS8_.has_indirect_call, 0
	.section	.AMDGPU.csdata,"",@progbits
; Kernel info:
; codeLenInByte = 424
; TotalNumSgprs: 24
; NumVgprs: 11
; NumAgprs: 0
; TotalNumVgprs: 11
; ScratchSize: 0
; MemoryBound: 0
; FloatMode: 240
; IeeeMode: 1
; LDSByteSize: 0 bytes/workgroup (compile time only)
; SGPRBlocks: 2
; VGPRBlocks: 1
; NumSGPRsForWavesPerEU: 24
; NumVGPRsForWavesPerEU: 11
; AccumOffset: 12
; Occupancy: 8
; WaveLimiterHint : 1
; COMPUTE_PGM_RSRC2:SCRATCH_EN: 0
; COMPUTE_PGM_RSRC2:USER_SGPR: 2
; COMPUTE_PGM_RSRC2:TRAP_HANDLER: 0
; COMPUTE_PGM_RSRC2:TGID_X_EN: 1
; COMPUTE_PGM_RSRC2:TGID_Y_EN: 1
; COMPUTE_PGM_RSRC2:TGID_Z_EN: 0
; COMPUTE_PGM_RSRC2:TIDIG_COMP_CNT: 0
; COMPUTE_PGM_RSRC3_GFX90A:ACCUM_OFFSET: 2
; COMPUTE_PGM_RSRC3_GFX90A:TG_SPLIT: 0
	.section	.text._ZN2at6native12_GLOBAL__N_119CatArrayBatchedCopyINS1_10OpaqueTypeILj8EEEjLi2ELi64ELi64EEEvPT_NS1_25CatArrInputTensorMetadataIS5_T0_XT2_EXT3_EEENS1_16TensorSizeStrideIS8_Lj4EEEiS8_,"axG",@progbits,_ZN2at6native12_GLOBAL__N_119CatArrayBatchedCopyINS1_10OpaqueTypeILj8EEEjLi2ELi64ELi64EEEvPT_NS1_25CatArrInputTensorMetadataIS5_T0_XT2_EXT3_EEENS1_16TensorSizeStrideIS8_Lj4EEEiS8_,comdat
	.globl	_ZN2at6native12_GLOBAL__N_119CatArrayBatchedCopyINS1_10OpaqueTypeILj8EEEjLi2ELi64ELi64EEEvPT_NS1_25CatArrInputTensorMetadataIS5_T0_XT2_EXT3_EEENS1_16TensorSizeStrideIS8_Lj4EEEiS8_ ; -- Begin function _ZN2at6native12_GLOBAL__N_119CatArrayBatchedCopyINS1_10OpaqueTypeILj8EEEjLi2ELi64ELi64EEEvPT_NS1_25CatArrInputTensorMetadataIS5_T0_XT2_EXT3_EEENS1_16TensorSizeStrideIS8_Lj4EEEiS8_
	.p2align	8
	.type	_ZN2at6native12_GLOBAL__N_119CatArrayBatchedCopyINS1_10OpaqueTypeILj8EEEjLi2ELi64ELi64EEEvPT_NS1_25CatArrInputTensorMetadataIS5_T0_XT2_EXT3_EEENS1_16TensorSizeStrideIS8_Lj4EEEiS8_,@function
_ZN2at6native12_GLOBAL__N_119CatArrayBatchedCopyINS1_10OpaqueTypeILj8EEEjLi2ELi64ELi64EEEvPT_NS1_25CatArrInputTensorMetadataIS5_T0_XT2_EXT3_EEENS1_16TensorSizeStrideIS8_Lj4EEEiS8_: ; @_ZN2at6native12_GLOBAL__N_119CatArrayBatchedCopyINS1_10OpaqueTypeILj8EEEjLi2ELi64ELi64EEEvPT_NS1_25CatArrInputTensorMetadataIS5_T0_XT2_EXT3_EEENS1_16TensorSizeStrideIS8_Lj4EEEiS8_
; %bb.0:
	s_load_dword s4, s[0:1], 0xd7c
	s_mov_b32 s6, s3
	s_or_b32 s3, s0, 8
	s_add_u32 s10, s0, 0xd70
	s_mov_b32 s7, 0
	s_addc_u32 s11, s1, 0
	s_waitcnt lgkmcnt(0)
	s_and_b32 s15, s4, 0xffff
	s_lshl_b64 s[8:9], s[6:7], 2
	s_add_u32 s4, s3, s8
	s_addc_u32 s5, s1, s9
	s_load_dword s12, s[4:5], 0x400
	s_mul_i32 s2, s2, s15
	v_add_u32_e32 v0, s2, v0
	s_waitcnt lgkmcnt(0)
	v_cmp_gt_u32_e32 vcc, s12, v0
	s_and_saveexec_b64 s[16:17], vcc
	s_cbranch_execz .LBB169_5
; %bb.1:
	s_mul_i32 s13, s6, 28
	s_mul_hi_u32 s2, s6, 28
	s_add_u32 s16, s4, s13
	s_addc_u32 s17, s5, s2
	s_add_u32 s18, s3, s6
	s_addc_u32 s19, s1, 0
	v_mov_b32_e32 v1, 0
	global_load_ubyte v2, v1, s[18:19] offset:1280
	s_load_dwordx2 s[2:3], s[0:1], 0x0
	s_load_dwordx2 s[20:21], s[0:1], 0xd68
	;; [unrolled: 1-line block ×3, first 2 shown]
	s_load_dword s13, s[0:1], 0xd4c
	s_load_dword s22, s[10:11], 0x0
	s_mul_hi_u32 s7, s6, 7
	s_mul_i32 s6, s6, 7
	s_waitcnt lgkmcnt(0)
	s_mul_i32 s15, s22, s15
	s_waitcnt vmcnt(0)
	v_and_b32_e32 v2, 1, v2
	v_cmp_eq_u32_e32 vcc, 1, v2
	s_xor_b64 s[0:1], vcc, -1
	s_add_u32 s10, s18, s6
	s_addc_u32 s11, s19, s7
	s_sub_u32 s6, 0, s8
	s_subb_u32 s7, 0, s9
	s_add_u32 s18, s10, s6
	s_addc_u32 s19, s11, s7
	s_load_dword s14, s[18:19], 0x300
	s_load_dword s23, s[16:17], 0x544
	s_load_dwordx2 s[6:7], s[16:17], 0x550
	s_load_dwordx2 s[8:9], s[10:11], 0x0
	s_load_dword s24, s[18:19], 0x200
	s_cmp_eq_u32 s20, 1
	s_waitcnt lgkmcnt(0)
	s_cselect_b32 s13, s14, s13
	s_cselect_b32 s14, s14, s23
	v_cvt_f32_u32_e32 v2, s13
	v_cvt_f32_u32_e32 v3, s14
	s_sub_i32 s17, 0, s13
	s_sub_i32 s18, 0, s14
	v_rcp_iflag_f32_e32 v2, v2
	v_rcp_iflag_f32_e32 v3, v3
	v_cndmask_b32_e64 v6, 0, 1, s[0:1]
	s_mov_b64 s[10:11], 0
	v_mul_f32_e32 v2, 0x4f7ffffe, v2
	v_mul_f32_e32 v3, 0x4f7ffffe, v3
	v_cvt_u32_f32_e32 v2, v2
	v_cvt_u32_f32_e32 v3, v3
	s_mul_i32 s16, s24, s21
	v_cmp_ne_u32_e64 s[0:1], 1, v6
	v_mul_lo_u32 v4, s17, v2
	v_mul_lo_u32 v5, s18, v3
	v_mul_hi_u32 v4, v2, v4
	v_mul_hi_u32 v5, v3, v5
	v_add_u32_e32 v4, v2, v4
	v_add_u32_e32 v5, v3, v5
	s_branch .LBB169_3
.LBB169_2:                              ;   in Loop: Header=BB169_3 Depth=1
	v_lshl_add_u64 v[2:3], v[2:3], 3, s[8:9]
	global_load_dwordx2 v[2:3], v[2:3], off
	v_mul_hi_u32 v8, v4, v0
	v_mad_u64_u32 v[6:7], s[20:21], s17, v8, v[0:1]
	v_not_b32_e32 v9, v8
	v_add_u32_e32 v7, 1, v8
	v_cmp_le_u32_e32 vcc, s13, v6
	s_nop 1
	v_cndmask_b32_e32 v7, v8, v7, vcc
	v_mad_u64_u32 v[8:9], s[20:21], s13, v9, v[0:1]
	v_cndmask_b32_e32 v6, v6, v8, vcc
	v_add_u32_e32 v8, 1, v7
	v_cmp_le_u32_e32 vcc, s13, v6
	s_nop 1
	v_cndmask_b32_e32 v8, v7, v8, vcc
	v_mad_u64_u32 v[6:7], s[20:21], s17, v8, v[0:1]
	v_mul_lo_u32 v6, v6, s5
	v_mul_lo_u32 v7, v8, s4
	v_add_u32_e32 v0, s15, v0
	v_add3_u32 v6, v6, v7, s16
	v_mov_b32_e32 v7, v1
	v_cmp_le_u32_e32 vcc, s12, v0
	v_lshl_add_u64 v[6:7], v[6:7], 3, s[2:3]
	s_or_b64 s[10:11], vcc, s[10:11]
	s_waitcnt vmcnt(0)
	global_store_dwordx2 v[6:7], v[2:3], off
	s_andn2_b64 exec, exec, s[10:11]
	s_cbranch_execz .LBB169_5
.LBB169_3:                              ; =>This Inner Loop Header: Depth=1
	s_and_b64 vcc, exec, s[0:1]
	v_mov_b64_e32 v[2:3], v[0:1]
	s_cbranch_vccnz .LBB169_2
; %bb.4:                                ;   in Loop: Header=BB169_3 Depth=1
	v_mul_hi_u32 v6, v5, v0
	v_mad_u64_u32 v[2:3], s[20:21], s18, v6, v[0:1]
	v_not_b32_e32 v7, v6
	v_add_u32_e32 v3, 1, v6
	v_cmp_le_u32_e32 vcc, s14, v2
	s_nop 1
	v_cndmask_b32_e32 v3, v6, v3, vcc
	v_mad_u64_u32 v[6:7], s[20:21], s14, v7, v[0:1]
	v_cndmask_b32_e32 v2, v2, v6, vcc
	v_add_u32_e32 v6, 1, v3
	v_cmp_le_u32_e32 vcc, s14, v2
	s_nop 1
	v_cndmask_b32_e32 v6, v3, v6, vcc
	v_mad_u64_u32 v[2:3], s[20:21], s18, v6, v[0:1]
	v_mul_lo_u32 v6, v6, s6
	v_mad_u64_u32 v[2:3], s[20:21], v2, s7, v[6:7]
	v_mov_b32_e32 v3, v1
	s_branch .LBB169_2
.LBB169_5:
	s_endpgm
	.section	.rodata,"a",@progbits
	.p2align	6, 0x0
	.amdhsa_kernel _ZN2at6native12_GLOBAL__N_119CatArrayBatchedCopyINS1_10OpaqueTypeILj8EEEjLi2ELi64ELi64EEEvPT_NS1_25CatArrInputTensorMetadataIS5_T0_XT2_EXT3_EEENS1_16TensorSizeStrideIS8_Lj4EEEiS8_
		.amdhsa_group_segment_fixed_size 0
		.amdhsa_private_segment_fixed_size 0
		.amdhsa_kernarg_size 3696
		.amdhsa_user_sgpr_count 2
		.amdhsa_user_sgpr_dispatch_ptr 0
		.amdhsa_user_sgpr_queue_ptr 0
		.amdhsa_user_sgpr_kernarg_segment_ptr 1
		.amdhsa_user_sgpr_dispatch_id 0
		.amdhsa_user_sgpr_kernarg_preload_length 0
		.amdhsa_user_sgpr_kernarg_preload_offset 0
		.amdhsa_user_sgpr_private_segment_size 0
		.amdhsa_uses_dynamic_stack 0
		.amdhsa_enable_private_segment 0
		.amdhsa_system_sgpr_workgroup_id_x 1
		.amdhsa_system_sgpr_workgroup_id_y 1
		.amdhsa_system_sgpr_workgroup_id_z 0
		.amdhsa_system_sgpr_workgroup_info 0
		.amdhsa_system_vgpr_workitem_id 0
		.amdhsa_next_free_vgpr 10
		.amdhsa_next_free_sgpr 25
		.amdhsa_accum_offset 12
		.amdhsa_reserve_vcc 1
		.amdhsa_float_round_mode_32 0
		.amdhsa_float_round_mode_16_64 0
		.amdhsa_float_denorm_mode_32 3
		.amdhsa_float_denorm_mode_16_64 3
		.amdhsa_dx10_clamp 1
		.amdhsa_ieee_mode 1
		.amdhsa_fp16_overflow 0
		.amdhsa_tg_split 0
		.amdhsa_exception_fp_ieee_invalid_op 0
		.amdhsa_exception_fp_denorm_src 0
		.amdhsa_exception_fp_ieee_div_zero 0
		.amdhsa_exception_fp_ieee_overflow 0
		.amdhsa_exception_fp_ieee_underflow 0
		.amdhsa_exception_fp_ieee_inexact 0
		.amdhsa_exception_int_div_zero 0
	.end_amdhsa_kernel
	.section	.text._ZN2at6native12_GLOBAL__N_119CatArrayBatchedCopyINS1_10OpaqueTypeILj8EEEjLi2ELi64ELi64EEEvPT_NS1_25CatArrInputTensorMetadataIS5_T0_XT2_EXT3_EEENS1_16TensorSizeStrideIS8_Lj4EEEiS8_,"axG",@progbits,_ZN2at6native12_GLOBAL__N_119CatArrayBatchedCopyINS1_10OpaqueTypeILj8EEEjLi2ELi64ELi64EEEvPT_NS1_25CatArrInputTensorMetadataIS5_T0_XT2_EXT3_EEENS1_16TensorSizeStrideIS8_Lj4EEEiS8_,comdat
.Lfunc_end169:
	.size	_ZN2at6native12_GLOBAL__N_119CatArrayBatchedCopyINS1_10OpaqueTypeILj8EEEjLi2ELi64ELi64EEEvPT_NS1_25CatArrInputTensorMetadataIS5_T0_XT2_EXT3_EEENS1_16TensorSizeStrideIS8_Lj4EEEiS8_, .Lfunc_end169-_ZN2at6native12_GLOBAL__N_119CatArrayBatchedCopyINS1_10OpaqueTypeILj8EEEjLi2ELi64ELi64EEEvPT_NS1_25CatArrInputTensorMetadataIS5_T0_XT2_EXT3_EEENS1_16TensorSizeStrideIS8_Lj4EEEiS8_
                                        ; -- End function
	.set _ZN2at6native12_GLOBAL__N_119CatArrayBatchedCopyINS1_10OpaqueTypeILj8EEEjLi2ELi64ELi64EEEvPT_NS1_25CatArrInputTensorMetadataIS5_T0_XT2_EXT3_EEENS1_16TensorSizeStrideIS8_Lj4EEEiS8_.num_vgpr, 10
	.set _ZN2at6native12_GLOBAL__N_119CatArrayBatchedCopyINS1_10OpaqueTypeILj8EEEjLi2ELi64ELi64EEEvPT_NS1_25CatArrInputTensorMetadataIS5_T0_XT2_EXT3_EEENS1_16TensorSizeStrideIS8_Lj4EEEiS8_.num_agpr, 0
	.set _ZN2at6native12_GLOBAL__N_119CatArrayBatchedCopyINS1_10OpaqueTypeILj8EEEjLi2ELi64ELi64EEEvPT_NS1_25CatArrInputTensorMetadataIS5_T0_XT2_EXT3_EEENS1_16TensorSizeStrideIS8_Lj4EEEiS8_.numbered_sgpr, 25
	.set _ZN2at6native12_GLOBAL__N_119CatArrayBatchedCopyINS1_10OpaqueTypeILj8EEEjLi2ELi64ELi64EEEvPT_NS1_25CatArrInputTensorMetadataIS5_T0_XT2_EXT3_EEENS1_16TensorSizeStrideIS8_Lj4EEEiS8_.num_named_barrier, 0
	.set _ZN2at6native12_GLOBAL__N_119CatArrayBatchedCopyINS1_10OpaqueTypeILj8EEEjLi2ELi64ELi64EEEvPT_NS1_25CatArrInputTensorMetadataIS5_T0_XT2_EXT3_EEENS1_16TensorSizeStrideIS8_Lj4EEEiS8_.private_seg_size, 0
	.set _ZN2at6native12_GLOBAL__N_119CatArrayBatchedCopyINS1_10OpaqueTypeILj8EEEjLi2ELi64ELi64EEEvPT_NS1_25CatArrInputTensorMetadataIS5_T0_XT2_EXT3_EEENS1_16TensorSizeStrideIS8_Lj4EEEiS8_.uses_vcc, 1
	.set _ZN2at6native12_GLOBAL__N_119CatArrayBatchedCopyINS1_10OpaqueTypeILj8EEEjLi2ELi64ELi64EEEvPT_NS1_25CatArrInputTensorMetadataIS5_T0_XT2_EXT3_EEENS1_16TensorSizeStrideIS8_Lj4EEEiS8_.uses_flat_scratch, 0
	.set _ZN2at6native12_GLOBAL__N_119CatArrayBatchedCopyINS1_10OpaqueTypeILj8EEEjLi2ELi64ELi64EEEvPT_NS1_25CatArrInputTensorMetadataIS5_T0_XT2_EXT3_EEENS1_16TensorSizeStrideIS8_Lj4EEEiS8_.has_dyn_sized_stack, 0
	.set _ZN2at6native12_GLOBAL__N_119CatArrayBatchedCopyINS1_10OpaqueTypeILj8EEEjLi2ELi64ELi64EEEvPT_NS1_25CatArrInputTensorMetadataIS5_T0_XT2_EXT3_EEENS1_16TensorSizeStrideIS8_Lj4EEEiS8_.has_recursion, 0
	.set _ZN2at6native12_GLOBAL__N_119CatArrayBatchedCopyINS1_10OpaqueTypeILj8EEEjLi2ELi64ELi64EEEvPT_NS1_25CatArrInputTensorMetadataIS5_T0_XT2_EXT3_EEENS1_16TensorSizeStrideIS8_Lj4EEEiS8_.has_indirect_call, 0
	.section	.AMDGPU.csdata,"",@progbits
; Kernel info:
; codeLenInByte = 660
; TotalNumSgprs: 31
; NumVgprs: 10
; NumAgprs: 0
; TotalNumVgprs: 10
; ScratchSize: 0
; MemoryBound: 0
; FloatMode: 240
; IeeeMode: 1
; LDSByteSize: 0 bytes/workgroup (compile time only)
; SGPRBlocks: 3
; VGPRBlocks: 1
; NumSGPRsForWavesPerEU: 31
; NumVGPRsForWavesPerEU: 10
; AccumOffset: 12
; Occupancy: 8
; WaveLimiterHint : 1
; COMPUTE_PGM_RSRC2:SCRATCH_EN: 0
; COMPUTE_PGM_RSRC2:USER_SGPR: 2
; COMPUTE_PGM_RSRC2:TRAP_HANDLER: 0
; COMPUTE_PGM_RSRC2:TGID_X_EN: 1
; COMPUTE_PGM_RSRC2:TGID_Y_EN: 1
; COMPUTE_PGM_RSRC2:TGID_Z_EN: 0
; COMPUTE_PGM_RSRC2:TIDIG_COMP_CNT: 0
; COMPUTE_PGM_RSRC3_GFX90A:ACCUM_OFFSET: 2
; COMPUTE_PGM_RSRC3_GFX90A:TG_SPLIT: 0
	.section	.text._ZN2at6native12_GLOBAL__N_130CatArrayBatchedCopy_vectorizedINS1_10OpaqueTypeILj8EEEjLi3ELi64ELi64ELi16ELi2EEEvPcNS1_25CatArrInputTensorMetadataIT_T0_XT2_EXT3_EEENS1_16TensorSizeStrideIS8_Lj4EEEiS8_,"axG",@progbits,_ZN2at6native12_GLOBAL__N_130CatArrayBatchedCopy_vectorizedINS1_10OpaqueTypeILj8EEEjLi3ELi64ELi64ELi16ELi2EEEvPcNS1_25CatArrInputTensorMetadataIT_T0_XT2_EXT3_EEENS1_16TensorSizeStrideIS8_Lj4EEEiS8_,comdat
	.globl	_ZN2at6native12_GLOBAL__N_130CatArrayBatchedCopy_vectorizedINS1_10OpaqueTypeILj8EEEjLi3ELi64ELi64ELi16ELi2EEEvPcNS1_25CatArrInputTensorMetadataIT_T0_XT2_EXT3_EEENS1_16TensorSizeStrideIS8_Lj4EEEiS8_ ; -- Begin function _ZN2at6native12_GLOBAL__N_130CatArrayBatchedCopy_vectorizedINS1_10OpaqueTypeILj8EEEjLi3ELi64ELi64ELi16ELi2EEEvPcNS1_25CatArrInputTensorMetadataIT_T0_XT2_EXT3_EEENS1_16TensorSizeStrideIS8_Lj4EEEiS8_
	.p2align	8
	.type	_ZN2at6native12_GLOBAL__N_130CatArrayBatchedCopy_vectorizedINS1_10OpaqueTypeILj8EEEjLi3ELi64ELi64ELi16ELi2EEEvPcNS1_25CatArrInputTensorMetadataIT_T0_XT2_EXT3_EEENS1_16TensorSizeStrideIS8_Lj4EEEiS8_,@function
_ZN2at6native12_GLOBAL__N_130CatArrayBatchedCopy_vectorizedINS1_10OpaqueTypeILj8EEEjLi3ELi64ELi64ELi16ELi2EEEvPcNS1_25CatArrInputTensorMetadataIT_T0_XT2_EXT3_EEENS1_16TensorSizeStrideIS8_Lj4EEEiS8_: ; @_ZN2at6native12_GLOBAL__N_130CatArrayBatchedCopy_vectorizedINS1_10OpaqueTypeILj8EEEjLi3ELi64ELi64ELi16ELi2EEEvPcNS1_25CatArrInputTensorMetadataIT_T0_XT2_EXT3_EEENS1_16TensorSizeStrideIS8_Lj4EEEiS8_
; %bb.0:
	s_mov_b32 s8, s3
	s_load_dword s3, s[0:1], 0xd7c
	s_add_u32 s10, s0, 0xd70
	s_mov_b32 s9, 0
	s_addc_u32 s11, s1, 0
	s_lshl_b64 s[12:13], s[8:9], 2
	s_waitcnt lgkmcnt(0)
	s_and_b32 s15, s3, 0xffff
	s_add_u32 s4, s0, s12
	s_addc_u32 s5, s1, s13
	s_load_dword s6, s[4:5], 0x408
	s_mul_i32 s2, s2, s15
	v_add_u32_e32 v0, s2, v0
	s_add_u32 s2, s4, 8
	s_addc_u32 s3, s5, 0
	s_waitcnt lgkmcnt(0)
	s_lshr_b32 s14, s6, 1
	v_cmp_gt_u32_e32 vcc, s14, v0
	s_and_saveexec_b64 s[4:5], vcc
	s_cbranch_execz .LBB170_3
; %bb.1:
	s_add_u32 s18, s2, s12
	s_addc_u32 s19, s3, s13
	s_load_dwordx2 s[16:17], s[0:1], 0xd68
	s_load_dwordx4 s[4:7], s[0:1], 0xd58
	s_sub_u32 s2, 0, s12
	s_subb_u32 s3, 0, s13
	s_add_u32 s12, s18, s2
	s_addc_u32 s13, s19, s3
	s_load_dwordx2 s[2:3], s[18:19], 0x0
	s_waitcnt lgkmcnt(0)
	s_load_dword s7, s[12:13], 0x200
	s_load_dword s24, s[12:13], 0x300
	s_load_dwordx2 s[20:21], s[0:1], 0x0
	s_load_dwordx2 s[22:23], s[0:1], 0xd4c
	s_load_dword s25, s[10:11], 0x0
	s_waitcnt lgkmcnt(0)
	s_mul_i32 s7, s7, s17
	s_lshr_b32 s8, s7, 1
	s_mul_i32 s24, s24, s17
	s_lshr_b32 s11, s24, 1
	s_lshl_b64 s[8:9], s[8:9], 4
	s_cmp_eq_u32 s16, 2
	s_cselect_b32 s7, s11, s23
	v_cvt_f32_u32_e32 v1, s7
	s_cmp_eq_u32 s16, 1
	s_cselect_b32 s11, s11, s22
	v_cvt_f32_u32_e32 v2, s11
	v_rcp_iflag_f32_e32 v1, v1
	s_add_u32 s8, s20, s8
	s_addc_u32 s9, s21, s9
	v_rcp_iflag_f32_e32 v2, v2
	v_mul_f32_e32 v1, 0x4f7ffffe, v1
	v_cvt_u32_f32_e32 v1, v1
	s_sub_i32 s12, 0, s7
	v_mul_f32_e32 v2, 0x4f7ffffe, v2
	v_cvt_u32_f32_e32 v4, v2
	v_mul_lo_u32 v3, s12, v1
	v_mul_hi_u32 v3, v1, v3
	s_sub_i32 s13, 0, s11
	v_add_u32_e32 v2, v1, v3
	v_mul_lo_u32 v3, s13, v4
	v_mul_hi_u32 v3, v4, v3
	s_mov_b64 s[0:1], 0
	s_mul_i32 s10, s25, s15
	v_mov_b32_e32 v1, 0
	v_add_u32_e32 v3, v4, v3
.LBB170_2:                              ; =>This Inner Loop Header: Depth=1
	v_lshl_add_u64 v[4:5], v[0:1], 4, s[2:3]
	global_load_dwordx4 v[4:7], v[4:5], off
	v_mul_hi_u32 v8, v2, v0
	v_mul_lo_u32 v10, s7, v8
	v_not_b32_e32 v11, v8
	v_sub_u32_e32 v13, v0, v10
	v_add_u32_e32 v12, 1, v8
	v_mad_u64_u32 v[10:11], s[16:17], s7, v11, v[0:1]
	v_cmp_le_u32_e32 vcc, s7, v13
	v_mov_b32_e32 v9, v1
	s_nop 0
	v_cndmask_b32_e32 v8, v8, v12, vcc
	v_cndmask_b32_e32 v10, v13, v10, vcc
	v_add_u32_e32 v11, 1, v8
	v_cmp_le_u32_e32 vcc, s7, v10
	s_nop 1
	v_cndmask_b32_e32 v8, v8, v11, vcc
	v_mad_u64_u32 v[10:11], s[16:17], s12, v8, v[0:1]
	v_mul_hi_u32 v11, v8, v3
	v_add_u32_e32 v0, s10, v0
	v_mul_lo_u32 v12, v11, s11
	v_cmp_le_u32_e32 vcc, s14, v0
	v_sub_u32_e32 v12, v8, v12
	v_add_u32_e32 v13, 1, v11
	s_or_b64 s[0:1], vcc, s[0:1]
	v_cmp_le_u32_e32 vcc, s11, v12
	v_mul_lo_u32 v10, v10, s6
	s_nop 0
	v_cndmask_b32_e32 v11, v11, v13, vcc
	v_subrev_u32_e32 v13, s11, v12
	v_cndmask_b32_e32 v12, v12, v13, vcc
	v_add_u32_e32 v13, 1, v11
	v_cmp_le_u32_e32 vcc, s11, v12
	s_nop 1
	v_cndmask_b32_e32 v11, v11, v13, vcc
	v_mul_lo_u32 v12, v11, s11
	v_sub_u32_e32 v8, v8, v12
	v_mul_lo_u32 v11, v11, s4
	v_mul_lo_u32 v8, v8, s5
	v_add3_u32 v8, v10, v11, v8
	v_lshl_add_u64 v[8:9], v[8:9], 4, s[8:9]
	s_waitcnt vmcnt(0)
	global_store_dwordx4 v[8:9], v[4:7], off
	s_andn2_b64 exec, exec, s[0:1]
	s_cbranch_execnz .LBB170_2
.LBB170_3:
	s_endpgm
	.section	.rodata,"a",@progbits
	.p2align	6, 0x0
	.amdhsa_kernel _ZN2at6native12_GLOBAL__N_130CatArrayBatchedCopy_vectorizedINS1_10OpaqueTypeILj8EEEjLi3ELi64ELi64ELi16ELi2EEEvPcNS1_25CatArrInputTensorMetadataIT_T0_XT2_EXT3_EEENS1_16TensorSizeStrideIS8_Lj4EEEiS8_
		.amdhsa_group_segment_fixed_size 0
		.amdhsa_private_segment_fixed_size 0
		.amdhsa_kernarg_size 3696
		.amdhsa_user_sgpr_count 2
		.amdhsa_user_sgpr_dispatch_ptr 0
		.amdhsa_user_sgpr_queue_ptr 0
		.amdhsa_user_sgpr_kernarg_segment_ptr 1
		.amdhsa_user_sgpr_dispatch_id 0
		.amdhsa_user_sgpr_kernarg_preload_length 0
		.amdhsa_user_sgpr_kernarg_preload_offset 0
		.amdhsa_user_sgpr_private_segment_size 0
		.amdhsa_uses_dynamic_stack 0
		.amdhsa_enable_private_segment 0
		.amdhsa_system_sgpr_workgroup_id_x 1
		.amdhsa_system_sgpr_workgroup_id_y 1
		.amdhsa_system_sgpr_workgroup_id_z 0
		.amdhsa_system_sgpr_workgroup_info 0
		.amdhsa_system_vgpr_workitem_id 0
		.amdhsa_next_free_vgpr 14
		.amdhsa_next_free_sgpr 26
		.amdhsa_accum_offset 16
		.amdhsa_reserve_vcc 1
		.amdhsa_float_round_mode_32 0
		.amdhsa_float_round_mode_16_64 0
		.amdhsa_float_denorm_mode_32 3
		.amdhsa_float_denorm_mode_16_64 3
		.amdhsa_dx10_clamp 1
		.amdhsa_ieee_mode 1
		.amdhsa_fp16_overflow 0
		.amdhsa_tg_split 0
		.amdhsa_exception_fp_ieee_invalid_op 0
		.amdhsa_exception_fp_denorm_src 0
		.amdhsa_exception_fp_ieee_div_zero 0
		.amdhsa_exception_fp_ieee_overflow 0
		.amdhsa_exception_fp_ieee_underflow 0
		.amdhsa_exception_fp_ieee_inexact 0
		.amdhsa_exception_int_div_zero 0
	.end_amdhsa_kernel
	.section	.text._ZN2at6native12_GLOBAL__N_130CatArrayBatchedCopy_vectorizedINS1_10OpaqueTypeILj8EEEjLi3ELi64ELi64ELi16ELi2EEEvPcNS1_25CatArrInputTensorMetadataIT_T0_XT2_EXT3_EEENS1_16TensorSizeStrideIS8_Lj4EEEiS8_,"axG",@progbits,_ZN2at6native12_GLOBAL__N_130CatArrayBatchedCopy_vectorizedINS1_10OpaqueTypeILj8EEEjLi3ELi64ELi64ELi16ELi2EEEvPcNS1_25CatArrInputTensorMetadataIT_T0_XT2_EXT3_EEENS1_16TensorSizeStrideIS8_Lj4EEEiS8_,comdat
.Lfunc_end170:
	.size	_ZN2at6native12_GLOBAL__N_130CatArrayBatchedCopy_vectorizedINS1_10OpaqueTypeILj8EEEjLi3ELi64ELi64ELi16ELi2EEEvPcNS1_25CatArrInputTensorMetadataIT_T0_XT2_EXT3_EEENS1_16TensorSizeStrideIS8_Lj4EEEiS8_, .Lfunc_end170-_ZN2at6native12_GLOBAL__N_130CatArrayBatchedCopy_vectorizedINS1_10OpaqueTypeILj8EEEjLi3ELi64ELi64ELi16ELi2EEEvPcNS1_25CatArrInputTensorMetadataIT_T0_XT2_EXT3_EEENS1_16TensorSizeStrideIS8_Lj4EEEiS8_
                                        ; -- End function
	.set _ZN2at6native12_GLOBAL__N_130CatArrayBatchedCopy_vectorizedINS1_10OpaqueTypeILj8EEEjLi3ELi64ELi64ELi16ELi2EEEvPcNS1_25CatArrInputTensorMetadataIT_T0_XT2_EXT3_EEENS1_16TensorSizeStrideIS8_Lj4EEEiS8_.num_vgpr, 14
	.set _ZN2at6native12_GLOBAL__N_130CatArrayBatchedCopy_vectorizedINS1_10OpaqueTypeILj8EEEjLi3ELi64ELi64ELi16ELi2EEEvPcNS1_25CatArrInputTensorMetadataIT_T0_XT2_EXT3_EEENS1_16TensorSizeStrideIS8_Lj4EEEiS8_.num_agpr, 0
	.set _ZN2at6native12_GLOBAL__N_130CatArrayBatchedCopy_vectorizedINS1_10OpaqueTypeILj8EEEjLi3ELi64ELi64ELi16ELi2EEEvPcNS1_25CatArrInputTensorMetadataIT_T0_XT2_EXT3_EEENS1_16TensorSizeStrideIS8_Lj4EEEiS8_.numbered_sgpr, 26
	.set _ZN2at6native12_GLOBAL__N_130CatArrayBatchedCopy_vectorizedINS1_10OpaqueTypeILj8EEEjLi3ELi64ELi64ELi16ELi2EEEvPcNS1_25CatArrInputTensorMetadataIT_T0_XT2_EXT3_EEENS1_16TensorSizeStrideIS8_Lj4EEEiS8_.num_named_barrier, 0
	.set _ZN2at6native12_GLOBAL__N_130CatArrayBatchedCopy_vectorizedINS1_10OpaqueTypeILj8EEEjLi3ELi64ELi64ELi16ELi2EEEvPcNS1_25CatArrInputTensorMetadataIT_T0_XT2_EXT3_EEENS1_16TensorSizeStrideIS8_Lj4EEEiS8_.private_seg_size, 0
	.set _ZN2at6native12_GLOBAL__N_130CatArrayBatchedCopy_vectorizedINS1_10OpaqueTypeILj8EEEjLi3ELi64ELi64ELi16ELi2EEEvPcNS1_25CatArrInputTensorMetadataIT_T0_XT2_EXT3_EEENS1_16TensorSizeStrideIS8_Lj4EEEiS8_.uses_vcc, 1
	.set _ZN2at6native12_GLOBAL__N_130CatArrayBatchedCopy_vectorizedINS1_10OpaqueTypeILj8EEEjLi3ELi64ELi64ELi16ELi2EEEvPcNS1_25CatArrInputTensorMetadataIT_T0_XT2_EXT3_EEENS1_16TensorSizeStrideIS8_Lj4EEEiS8_.uses_flat_scratch, 0
	.set _ZN2at6native12_GLOBAL__N_130CatArrayBatchedCopy_vectorizedINS1_10OpaqueTypeILj8EEEjLi3ELi64ELi64ELi16ELi2EEEvPcNS1_25CatArrInputTensorMetadataIT_T0_XT2_EXT3_EEENS1_16TensorSizeStrideIS8_Lj4EEEiS8_.has_dyn_sized_stack, 0
	.set _ZN2at6native12_GLOBAL__N_130CatArrayBatchedCopy_vectorizedINS1_10OpaqueTypeILj8EEEjLi3ELi64ELi64ELi16ELi2EEEvPcNS1_25CatArrInputTensorMetadataIT_T0_XT2_EXT3_EEENS1_16TensorSizeStrideIS8_Lj4EEEiS8_.has_recursion, 0
	.set _ZN2at6native12_GLOBAL__N_130CatArrayBatchedCopy_vectorizedINS1_10OpaqueTypeILj8EEEjLi3ELi64ELi64ELi16ELi2EEEvPcNS1_25CatArrInputTensorMetadataIT_T0_XT2_EXT3_EEENS1_16TensorSizeStrideIS8_Lj4EEEiS8_.has_indirect_call, 0
	.section	.AMDGPU.csdata,"",@progbits
; Kernel info:
; codeLenInByte = 580
; TotalNumSgprs: 32
; NumVgprs: 14
; NumAgprs: 0
; TotalNumVgprs: 14
; ScratchSize: 0
; MemoryBound: 0
; FloatMode: 240
; IeeeMode: 1
; LDSByteSize: 0 bytes/workgroup (compile time only)
; SGPRBlocks: 3
; VGPRBlocks: 1
; NumSGPRsForWavesPerEU: 32
; NumVGPRsForWavesPerEU: 14
; AccumOffset: 16
; Occupancy: 8
; WaveLimiterHint : 1
; COMPUTE_PGM_RSRC2:SCRATCH_EN: 0
; COMPUTE_PGM_RSRC2:USER_SGPR: 2
; COMPUTE_PGM_RSRC2:TRAP_HANDLER: 0
; COMPUTE_PGM_RSRC2:TGID_X_EN: 1
; COMPUTE_PGM_RSRC2:TGID_Y_EN: 1
; COMPUTE_PGM_RSRC2:TGID_Z_EN: 0
; COMPUTE_PGM_RSRC2:TIDIG_COMP_CNT: 0
; COMPUTE_PGM_RSRC3_GFX90A:ACCUM_OFFSET: 3
; COMPUTE_PGM_RSRC3_GFX90A:TG_SPLIT: 0
	.section	.text._ZN2at6native12_GLOBAL__N_135CatArrayBatchedCopy_alignedK_contigINS1_10OpaqueTypeILj8EEEjLi3ELi64ELi64ELi16EEEvPT_NS1_25CatArrInputTensorMetadataIS5_T0_XT2_EXT3_EEENS1_16TensorSizeStrideIS8_Lj4EEEiS8_,"axG",@progbits,_ZN2at6native12_GLOBAL__N_135CatArrayBatchedCopy_alignedK_contigINS1_10OpaqueTypeILj8EEEjLi3ELi64ELi64ELi16EEEvPT_NS1_25CatArrInputTensorMetadataIS5_T0_XT2_EXT3_EEENS1_16TensorSizeStrideIS8_Lj4EEEiS8_,comdat
	.globl	_ZN2at6native12_GLOBAL__N_135CatArrayBatchedCopy_alignedK_contigINS1_10OpaqueTypeILj8EEEjLi3ELi64ELi64ELi16EEEvPT_NS1_25CatArrInputTensorMetadataIS5_T0_XT2_EXT3_EEENS1_16TensorSizeStrideIS8_Lj4EEEiS8_ ; -- Begin function _ZN2at6native12_GLOBAL__N_135CatArrayBatchedCopy_alignedK_contigINS1_10OpaqueTypeILj8EEEjLi3ELi64ELi64ELi16EEEvPT_NS1_25CatArrInputTensorMetadataIS5_T0_XT2_EXT3_EEENS1_16TensorSizeStrideIS8_Lj4EEEiS8_
	.p2align	8
	.type	_ZN2at6native12_GLOBAL__N_135CatArrayBatchedCopy_alignedK_contigINS1_10OpaqueTypeILj8EEEjLi3ELi64ELi64ELi16EEEvPT_NS1_25CatArrInputTensorMetadataIS5_T0_XT2_EXT3_EEENS1_16TensorSizeStrideIS8_Lj4EEEiS8_,@function
_ZN2at6native12_GLOBAL__N_135CatArrayBatchedCopy_alignedK_contigINS1_10OpaqueTypeILj8EEEjLi3ELi64ELi64ELi16EEEvPT_NS1_25CatArrInputTensorMetadataIS5_T0_XT2_EXT3_EEENS1_16TensorSizeStrideIS8_Lj4EEEiS8_: ; @_ZN2at6native12_GLOBAL__N_135CatArrayBatchedCopy_alignedK_contigINS1_10OpaqueTypeILj8EEEjLi3ELi64ELi64ELi16EEEvPT_NS1_25CatArrInputTensorMetadataIS5_T0_XT2_EXT3_EEENS1_16TensorSizeStrideIS8_Lj4EEEiS8_
; %bb.0:
	s_mov_b32 s4, s3
	s_load_dword s3, s[0:1], 0xd7c
	s_add_u32 s18, s0, 0xd70
	s_mov_b32 s5, 0
	s_addc_u32 s19, s1, 0
	s_lshl_b64 s[8:9], s[4:5], 2
	s_waitcnt lgkmcnt(0)
	s_and_b32 s22, s3, 0xffff
	s_add_u32 s4, s0, s8
	s_addc_u32 s5, s1, s9
	s_load_dword s20, s[4:5], 0x408
	s_mul_i32 s2, s2, s22
	v_add_lshl_u32 v0, s2, v0, 1
	s_add_u32 s2, s4, 8
	s_addc_u32 s3, s5, 0
	s_waitcnt lgkmcnt(0)
	v_cmp_gt_u32_e32 vcc, s20, v0
	s_and_saveexec_b64 s[4:5], vcc
	s_cbranch_execz .LBB171_8
; %bb.1:
	s_add_u32 s14, s2, s8
	s_addc_u32 s15, s3, s9
	s_sub_u32 s2, 0, s8
	s_load_dwordx2 s[10:11], s[0:1], 0xd68
	s_load_dwordx4 s[4:7], s[0:1], 0xd58
	s_subb_u32 s3, 0, s9
	s_add_u32 s16, s14, s2
	s_addc_u32 s17, s15, s3
	s_waitcnt lgkmcnt(0)
	s_load_dword s7, s[16:17], 0x200
	s_load_dwordx2 s[2:3], s[0:1], 0x0
	s_load_dwordx2 s[12:13], s[0:1], 0xd4c
	;; [unrolled: 1-line block ×3, first 2 shown]
	s_load_dword s21, s[16:17], 0x300
	v_add_u32_e32 v1, 2, v0
	s_mov_b64 s[14:15], 0
	s_waitcnt lgkmcnt(0)
	s_mul_i32 s7, s7, s11
	v_cmp_ge_u32_e32 vcc, s20, v1
	s_and_saveexec_b64 s[16:17], vcc
	s_cbranch_execz .LBB171_5
; %bb.2:
	s_load_dword s0, s[18:19], 0x0
	s_waitcnt lgkmcnt(0)
	s_mul_i32 s0, s0, s22
	s_lshl_b32 s11, s0, 1
	s_cmp_eq_u32 s10, 2
	s_cselect_b32 s18, s21, s13
	s_cmp_eq_u32 s10, 1
	v_cvt_f32_u32_e32 v1, s18
	s_cselect_b32 s19, s21, s12
	v_cvt_f32_u32_e32 v2, s19
	s_sub_i32 s22, 0, s18
	v_rcp_iflag_f32_e32 v3, v1
	s_sub_i32 s0, 0, s19
	v_rcp_iflag_f32_e32 v2, v2
	v_mov_b32_e32 v1, 0
	v_mul_f32_e32 v3, 0x4f7ffffe, v3
	v_cvt_u32_f32_e32 v3, v3
	v_mul_f32_e32 v2, 0x4f7ffffe, v2
	v_cvt_u32_f32_e32 v4, v2
	v_mul_lo_u32 v2, s22, v3
	v_mul_hi_u32 v2, v3, v2
	v_mul_lo_u32 v5, s0, v4
	v_add_u32_e32 v2, v3, v2
	v_mul_hi_u32 v3, v4, v5
	v_add_u32_e32 v3, v4, v3
	v_add_u32_e32 v4, 1, v0
.LBB171_3:                              ; =>This Inner Loop Header: Depth=1
	v_lshl_add_u64 v[6:7], v[0:1], 3, s[8:9]
	global_load_dwordx4 v[6:9], v[6:7], off
	v_mul_hi_u32 v5, v2, v0
	v_mul_hi_u32 v12, v2, v4
	v_not_b32_e32 v18, v5
	v_mad_u64_u32 v[14:15], s[0:1], s22, v5, v[0:1]
	v_add_u32_e32 v10, 1, v0
	v_mov_b32_e32 v11, v1
	v_not_b32_e32 v20, v12
	v_add_u32_e32 v15, 1, v5
	v_cmp_le_u32_e32 vcc, s18, v14
	v_mad_u64_u32 v[18:19], s[0:1], s18, v18, v[0:1]
	v_mul_hi_u32 v22, v10, v2
	v_mad_u64_u32 v[16:17], s[0:1], s22, v12, v[10:11]
	v_cndmask_b32_e32 v5, v5, v15, vcc
	v_mad_u64_u32 v[20:21], s[24:25], s18, v20, v[10:11]
	v_cndmask_b32_e32 v10, v14, v18, vcc
	v_add_u32_e32 v12, 1, v22
	v_cmp_le_u32_e64 s[0:1], s18, v16
	v_add_u32_e32 v14, 1, v5
	v_cmp_le_u32_e32 vcc, s18, v10
	v_cndmask_b32_e64 v12, v22, v12, s[0:1]
	v_cndmask_b32_e64 v15, v16, v20, s[0:1]
	v_cndmask_b32_e32 v5, v5, v14, vcc
	v_add_u32_e32 v10, 1, v12
	v_cmp_le_u32_e32 vcc, s18, v15
	v_mad_u64_u32 v[14:15], s[0:1], s22, v5, v[0:1]
	v_mul_hi_u32 v15, v5, v3
	v_cndmask_b32_e32 v12, v12, v10, vcc
	v_mul_lo_u32 v10, v15, s19
	v_mad_u64_u32 v[16:17], s[0:1], s22, v12, v[0:1]
	v_mul_hi_u32 v17, v12, v3
	v_sub_u32_e32 v10, v5, v10
	v_add_u32_e32 v18, 1, v15
	v_add_u32_e32 v0, s11, v0
	v_mul_lo_u32 v19, v17, s19
	v_cmp_le_u32_e32 vcc, s19, v10
	v_add_u32_e32 v21, 2, v0
	v_sub_u32_e32 v19, v12, v19
	v_cndmask_b32_e32 v15, v15, v18, vcc
	v_subrev_u32_e32 v18, s19, v10
	v_add_u32_e32 v20, 1, v17
	v_cmp_lt_u32_e64 s[0:1], s20, v21
	v_cndmask_b32_e32 v10, v10, v18, vcc
	v_cmp_le_u32_e32 vcc, s19, v19
	v_add_u32_e32 v18, 1, v15
	s_or_b64 s[14:15], s[0:1], s[14:15]
	v_cndmask_b32_e32 v17, v17, v20, vcc
	v_subrev_u32_e32 v20, s19, v19
	v_cmp_le_u32_e64 s[0:1], s19, v10
	v_mul_lo_u32 v16, s6, v16
	v_mov_b32_e32 v13, v1
	v_cndmask_b32_e64 v10, v15, v18, s[0:1]
	v_cndmask_b32_e32 v15, v19, v20, vcc
	v_add_u32_e32 v18, 1, v17
	v_cmp_le_u32_e32 vcc, s19, v15
	v_mul_lo_u32 v19, v10, s19
	v_mul_lo_u32 v10, v10, s4
	v_cndmask_b32_e32 v17, v17, v18, vcc
	v_sub_u32_e32 v5, v5, v19
	v_mad_u64_u32 v[14:15], s[0:1], v14, s6, v[10:11]
	v_mul_lo_u32 v10, v17, s19
	v_mul_lo_u32 v15, v17, s4
	;; [unrolled: 1-line block ×3, first 2 shown]
	v_sub_u32_e32 v10, v12, v10
	v_add3_u32 v12, v16, s6, v15
	v_mul_lo_u32 v15, v10, s5
	v_add3_u32 v10, v14, v5, s7
	v_add_u32_e32 v4, s11, v4
	v_lshl_add_u64 v[10:11], v[10:11], 3, s[2:3]
	v_add3_u32 v12, v12, v15, s7
	v_lshl_add_u64 v[12:13], v[12:13], 3, s[2:3]
	s_waitcnt vmcnt(0)
	global_store_dwordx2 v[10:11], v[6:7], off
	global_store_dwordx2 v[12:13], v[8:9], off
	s_andn2_b64 exec, exec, s[14:15]
	s_cbranch_execnz .LBB171_3
; %bb.4:
	s_or_b64 exec, exec, s[14:15]
.LBB171_5:
	s_or_b64 exec, exec, s[16:17]
	v_cmp_gt_u32_e32 vcc, s20, v0
	s_and_b64 exec, exec, vcc
	s_cbranch_execz .LBB171_8
; %bb.6:
	s_cmp_eq_u32 s10, 2
	s_cselect_b32 s11, s21, s13
	v_cvt_f32_u32_e32 v1, s11
	s_cmp_eq_u32 s10, 1
	s_cselect_b32 s10, s21, s12
	v_cvt_f32_u32_e32 v2, s10
	v_rcp_iflag_f32_e32 v1, v1
	s_sub_i32 s0, 0, s11
	v_mov_b32_e32 v3, 0
	v_rcp_iflag_f32_e32 v2, v2
	v_mul_f32_e32 v1, 0x4f7ffffe, v1
	v_cvt_u32_f32_e32 v1, v1
	v_mov_b32_e32 v5, v3
	v_mul_f32_e32 v2, 0x4f7ffffe, v2
	v_cvt_u32_f32_e32 v2, v2
	v_mul_lo_u32 v4, s0, v1
	v_mul_hi_u32 v4, v1, v4
	s_sub_i32 s0, 0, s10
	v_add_u32_e32 v4, v1, v4
	v_mul_lo_u32 v1, s0, v2
	v_mul_hi_u32 v1, v2, v1
	v_add_u32_e32 v10, v2, v1
	v_mov_b32_e32 v1, v3
	v_mad_u64_u32 v[6:7], s[0:1], v0, v4, 0
	v_lshl_add_u64 v[8:9], v[0:1], 3, s[8:9]
	s_mov_b64 s[8:9], 0
.LBB171_7:                              ; =>This Inner Loop Header: Depth=1
	global_load_dwordx2 v[12:13], v[8:9], off
	v_mul_lo_u32 v1, s11, v7
	v_not_b32_e32 v2, v7
	v_sub_u32_e32 v1, v0, v1
	v_add_u32_e32 v11, 1, v7
	v_mad_u64_u32 v[14:15], s[0:1], s11, v2, v[0:1]
	v_cmp_le_u32_e32 vcc, s11, v1
	v_lshl_add_u64 v[8:9], v[8:9], 0, 8
	s_nop 0
	v_cndmask_b32_e32 v2, v7, v11, vcc
	v_cndmask_b32_e32 v1, v1, v14, vcc
	v_add_u32_e32 v11, 1, v2
	v_cmp_le_u32_e32 vcc, s11, v1
	v_lshl_add_u64 v[6:7], v[6:7], 0, v[4:5]
	s_nop 0
	v_cndmask_b32_e32 v1, v2, v11, vcc
	v_mul_hi_u32 v2, v1, v10
	v_mul_lo_u32 v14, v2, s10
	v_sub_u32_e32 v14, v1, v14
	v_mul_lo_u32 v11, v1, s11
	v_add_u32_e32 v15, 1, v2
	v_cmp_le_u32_e64 s[0:1], s10, v14
	v_sub_u32_e32 v11, v0, v11
	v_add_u32_e32 v0, 1, v0
	v_cndmask_b32_e64 v2, v2, v15, s[0:1]
	v_subrev_u32_e32 v15, s10, v14
	v_cmp_le_u32_e32 vcc, s20, v0
	v_cndmask_b32_e64 v14, v14, v15, s[0:1]
	s_or_b64 s[8:9], vcc, s[8:9]
	v_add_u32_e32 v15, 1, v2
	v_cmp_le_u32_e32 vcc, s10, v14
	s_nop 1
	v_cndmask_b32_e32 v2, v2, v15, vcc
	v_mul_lo_u32 v14, v2, s10
	v_mul_lo_u32 v2, v2, s4
	v_sub_u32_e32 v1, v1, v14
	v_mad_u64_u32 v[14:15], s[0:1], v11, s6, v[2:3]
	v_mul_lo_u32 v1, v1, s5
	v_add3_u32 v2, v14, v1, s7
	v_lshl_add_u64 v[14:15], v[2:3], 3, s[2:3]
	s_waitcnt vmcnt(0)
	global_store_dwordx2 v[14:15], v[12:13], off
	s_andn2_b64 exec, exec, s[8:9]
	s_cbranch_execnz .LBB171_7
.LBB171_8:
	s_endpgm
	.section	.rodata,"a",@progbits
	.p2align	6, 0x0
	.amdhsa_kernel _ZN2at6native12_GLOBAL__N_135CatArrayBatchedCopy_alignedK_contigINS1_10OpaqueTypeILj8EEEjLi3ELi64ELi64ELi16EEEvPT_NS1_25CatArrInputTensorMetadataIS5_T0_XT2_EXT3_EEENS1_16TensorSizeStrideIS8_Lj4EEEiS8_
		.amdhsa_group_segment_fixed_size 0
		.amdhsa_private_segment_fixed_size 0
		.amdhsa_kernarg_size 3696
		.amdhsa_user_sgpr_count 2
		.amdhsa_user_sgpr_dispatch_ptr 0
		.amdhsa_user_sgpr_queue_ptr 0
		.amdhsa_user_sgpr_kernarg_segment_ptr 1
		.amdhsa_user_sgpr_dispatch_id 0
		.amdhsa_user_sgpr_kernarg_preload_length 0
		.amdhsa_user_sgpr_kernarg_preload_offset 0
		.amdhsa_user_sgpr_private_segment_size 0
		.amdhsa_uses_dynamic_stack 0
		.amdhsa_enable_private_segment 0
		.amdhsa_system_sgpr_workgroup_id_x 1
		.amdhsa_system_sgpr_workgroup_id_y 1
		.amdhsa_system_sgpr_workgroup_id_z 0
		.amdhsa_system_sgpr_workgroup_info 0
		.amdhsa_system_vgpr_workitem_id 0
		.amdhsa_next_free_vgpr 23
		.amdhsa_next_free_sgpr 26
		.amdhsa_accum_offset 24
		.amdhsa_reserve_vcc 1
		.amdhsa_float_round_mode_32 0
		.amdhsa_float_round_mode_16_64 0
		.amdhsa_float_denorm_mode_32 3
		.amdhsa_float_denorm_mode_16_64 3
		.amdhsa_dx10_clamp 1
		.amdhsa_ieee_mode 1
		.amdhsa_fp16_overflow 0
		.amdhsa_tg_split 0
		.amdhsa_exception_fp_ieee_invalid_op 0
		.amdhsa_exception_fp_denorm_src 0
		.amdhsa_exception_fp_ieee_div_zero 0
		.amdhsa_exception_fp_ieee_overflow 0
		.amdhsa_exception_fp_ieee_underflow 0
		.amdhsa_exception_fp_ieee_inexact 0
		.amdhsa_exception_int_div_zero 0
	.end_amdhsa_kernel
	.section	.text._ZN2at6native12_GLOBAL__N_135CatArrayBatchedCopy_alignedK_contigINS1_10OpaqueTypeILj8EEEjLi3ELi64ELi64ELi16EEEvPT_NS1_25CatArrInputTensorMetadataIS5_T0_XT2_EXT3_EEENS1_16TensorSizeStrideIS8_Lj4EEEiS8_,"axG",@progbits,_ZN2at6native12_GLOBAL__N_135CatArrayBatchedCopy_alignedK_contigINS1_10OpaqueTypeILj8EEEjLi3ELi64ELi64ELi16EEEvPT_NS1_25CatArrInputTensorMetadataIS5_T0_XT2_EXT3_EEENS1_16TensorSizeStrideIS8_Lj4EEEiS8_,comdat
.Lfunc_end171:
	.size	_ZN2at6native12_GLOBAL__N_135CatArrayBatchedCopy_alignedK_contigINS1_10OpaqueTypeILj8EEEjLi3ELi64ELi64ELi16EEEvPT_NS1_25CatArrInputTensorMetadataIS5_T0_XT2_EXT3_EEENS1_16TensorSizeStrideIS8_Lj4EEEiS8_, .Lfunc_end171-_ZN2at6native12_GLOBAL__N_135CatArrayBatchedCopy_alignedK_contigINS1_10OpaqueTypeILj8EEEjLi3ELi64ELi64ELi16EEEvPT_NS1_25CatArrInputTensorMetadataIS5_T0_XT2_EXT3_EEENS1_16TensorSizeStrideIS8_Lj4EEEiS8_
                                        ; -- End function
	.set _ZN2at6native12_GLOBAL__N_135CatArrayBatchedCopy_alignedK_contigINS1_10OpaqueTypeILj8EEEjLi3ELi64ELi64ELi16EEEvPT_NS1_25CatArrInputTensorMetadataIS5_T0_XT2_EXT3_EEENS1_16TensorSizeStrideIS8_Lj4EEEiS8_.num_vgpr, 23
	.set _ZN2at6native12_GLOBAL__N_135CatArrayBatchedCopy_alignedK_contigINS1_10OpaqueTypeILj8EEEjLi3ELi64ELi64ELi16EEEvPT_NS1_25CatArrInputTensorMetadataIS5_T0_XT2_EXT3_EEENS1_16TensorSizeStrideIS8_Lj4EEEiS8_.num_agpr, 0
	.set _ZN2at6native12_GLOBAL__N_135CatArrayBatchedCopy_alignedK_contigINS1_10OpaqueTypeILj8EEEjLi3ELi64ELi64ELi16EEEvPT_NS1_25CatArrInputTensorMetadataIS5_T0_XT2_EXT3_EEENS1_16TensorSizeStrideIS8_Lj4EEEiS8_.numbered_sgpr, 26
	.set _ZN2at6native12_GLOBAL__N_135CatArrayBatchedCopy_alignedK_contigINS1_10OpaqueTypeILj8EEEjLi3ELi64ELi64ELi16EEEvPT_NS1_25CatArrInputTensorMetadataIS5_T0_XT2_EXT3_EEENS1_16TensorSizeStrideIS8_Lj4EEEiS8_.num_named_barrier, 0
	.set _ZN2at6native12_GLOBAL__N_135CatArrayBatchedCopy_alignedK_contigINS1_10OpaqueTypeILj8EEEjLi3ELi64ELi64ELi16EEEvPT_NS1_25CatArrInputTensorMetadataIS5_T0_XT2_EXT3_EEENS1_16TensorSizeStrideIS8_Lj4EEEiS8_.private_seg_size, 0
	.set _ZN2at6native12_GLOBAL__N_135CatArrayBatchedCopy_alignedK_contigINS1_10OpaqueTypeILj8EEEjLi3ELi64ELi64ELi16EEEvPT_NS1_25CatArrInputTensorMetadataIS5_T0_XT2_EXT3_EEENS1_16TensorSizeStrideIS8_Lj4EEEiS8_.uses_vcc, 1
	.set _ZN2at6native12_GLOBAL__N_135CatArrayBatchedCopy_alignedK_contigINS1_10OpaqueTypeILj8EEEjLi3ELi64ELi64ELi16EEEvPT_NS1_25CatArrInputTensorMetadataIS5_T0_XT2_EXT3_EEENS1_16TensorSizeStrideIS8_Lj4EEEiS8_.uses_flat_scratch, 0
	.set _ZN2at6native12_GLOBAL__N_135CatArrayBatchedCopy_alignedK_contigINS1_10OpaqueTypeILj8EEEjLi3ELi64ELi64ELi16EEEvPT_NS1_25CatArrInputTensorMetadataIS5_T0_XT2_EXT3_EEENS1_16TensorSizeStrideIS8_Lj4EEEiS8_.has_dyn_sized_stack, 0
	.set _ZN2at6native12_GLOBAL__N_135CatArrayBatchedCopy_alignedK_contigINS1_10OpaqueTypeILj8EEEjLi3ELi64ELi64ELi16EEEvPT_NS1_25CatArrInputTensorMetadataIS5_T0_XT2_EXT3_EEENS1_16TensorSizeStrideIS8_Lj4EEEiS8_.has_recursion, 0
	.set _ZN2at6native12_GLOBAL__N_135CatArrayBatchedCopy_alignedK_contigINS1_10OpaqueTypeILj8EEEjLi3ELi64ELi64ELi16EEEvPT_NS1_25CatArrInputTensorMetadataIS5_T0_XT2_EXT3_EEENS1_16TensorSizeStrideIS8_Lj4EEEiS8_.has_indirect_call, 0
	.section	.AMDGPU.csdata,"",@progbits
; Kernel info:
; codeLenInByte = 1200
; TotalNumSgprs: 32
; NumVgprs: 23
; NumAgprs: 0
; TotalNumVgprs: 23
; ScratchSize: 0
; MemoryBound: 0
; FloatMode: 240
; IeeeMode: 1
; LDSByteSize: 0 bytes/workgroup (compile time only)
; SGPRBlocks: 3
; VGPRBlocks: 2
; NumSGPRsForWavesPerEU: 32
; NumVGPRsForWavesPerEU: 23
; AccumOffset: 24
; Occupancy: 8
; WaveLimiterHint : 1
; COMPUTE_PGM_RSRC2:SCRATCH_EN: 0
; COMPUTE_PGM_RSRC2:USER_SGPR: 2
; COMPUTE_PGM_RSRC2:TRAP_HANDLER: 0
; COMPUTE_PGM_RSRC2:TGID_X_EN: 1
; COMPUTE_PGM_RSRC2:TGID_Y_EN: 1
; COMPUTE_PGM_RSRC2:TGID_Z_EN: 0
; COMPUTE_PGM_RSRC2:TIDIG_COMP_CNT: 0
; COMPUTE_PGM_RSRC3_GFX90A:ACCUM_OFFSET: 5
; COMPUTE_PGM_RSRC3_GFX90A:TG_SPLIT: 0
	.section	.text._ZN2at6native12_GLOBAL__N_135CatArrayBatchedCopy_alignedK_contigINS1_10OpaqueTypeILj8EEEjLi3ELi64ELi64ELi8EEEvPT_NS1_25CatArrInputTensorMetadataIS5_T0_XT2_EXT3_EEENS1_16TensorSizeStrideIS8_Lj4EEEiS8_,"axG",@progbits,_ZN2at6native12_GLOBAL__N_135CatArrayBatchedCopy_alignedK_contigINS1_10OpaqueTypeILj8EEEjLi3ELi64ELi64ELi8EEEvPT_NS1_25CatArrInputTensorMetadataIS5_T0_XT2_EXT3_EEENS1_16TensorSizeStrideIS8_Lj4EEEiS8_,comdat
	.globl	_ZN2at6native12_GLOBAL__N_135CatArrayBatchedCopy_alignedK_contigINS1_10OpaqueTypeILj8EEEjLi3ELi64ELi64ELi8EEEvPT_NS1_25CatArrInputTensorMetadataIS5_T0_XT2_EXT3_EEENS1_16TensorSizeStrideIS8_Lj4EEEiS8_ ; -- Begin function _ZN2at6native12_GLOBAL__N_135CatArrayBatchedCopy_alignedK_contigINS1_10OpaqueTypeILj8EEEjLi3ELi64ELi64ELi8EEEvPT_NS1_25CatArrInputTensorMetadataIS5_T0_XT2_EXT3_EEENS1_16TensorSizeStrideIS8_Lj4EEEiS8_
	.p2align	8
	.type	_ZN2at6native12_GLOBAL__N_135CatArrayBatchedCopy_alignedK_contigINS1_10OpaqueTypeILj8EEEjLi3ELi64ELi64ELi8EEEvPT_NS1_25CatArrInputTensorMetadataIS5_T0_XT2_EXT3_EEENS1_16TensorSizeStrideIS8_Lj4EEEiS8_,@function
_ZN2at6native12_GLOBAL__N_135CatArrayBatchedCopy_alignedK_contigINS1_10OpaqueTypeILj8EEEjLi3ELi64ELi64ELi8EEEvPT_NS1_25CatArrInputTensorMetadataIS5_T0_XT2_EXT3_EEENS1_16TensorSizeStrideIS8_Lj4EEEiS8_: ; @_ZN2at6native12_GLOBAL__N_135CatArrayBatchedCopy_alignedK_contigINS1_10OpaqueTypeILj8EEEjLi3ELi64ELi64ELi8EEEvPT_NS1_25CatArrInputTensorMetadataIS5_T0_XT2_EXT3_EEENS1_16TensorSizeStrideIS8_Lj4EEEiS8_
; %bb.0:
	s_mov_b32 s4, s3
	s_load_dword s3, s[0:1], 0xd7c
	s_add_u32 s12, s0, 0xd70
	s_mov_b32 s5, 0
	s_addc_u32 s13, s1, 0
	s_lshl_b64 s[14:15], s[4:5], 2
	s_waitcnt lgkmcnt(0)
	s_and_b32 s18, s3, 0xffff
	s_add_u32 s4, s0, s14
	s_addc_u32 s5, s1, s15
	s_load_dword s16, s[4:5], 0x408
	s_mul_i32 s2, s2, s18
	v_add_u32_e32 v0, s2, v0
	s_add_u32 s17, s4, 8
	s_addc_u32 s19, s5, 0
	s_waitcnt lgkmcnt(0)
	v_cmp_gt_u32_e32 vcc, s16, v0
	s_and_saveexec_b64 s[2:3], vcc
	s_cbranch_execz .LBB172_6
; %bb.1:
	s_add_u32 s20, s17, s14
	s_addc_u32 s21, s19, s15
	s_load_dwordx2 s[8:9], s[0:1], 0xd68
	s_load_dwordx4 s[4:7], s[0:1], 0xd58
	s_load_dwordx2 s[2:3], s[0:1], 0x0
	s_load_dwordx2 s[10:11], s[0:1], 0xd4c
	s_sub_u32 s0, 0, s14
	s_subb_u32 s1, 0, s15
	s_add_u32 s14, s20, s0
	s_addc_u32 s15, s21, s1
	s_load_dwordx2 s[0:1], s[20:21], 0x0
	s_waitcnt lgkmcnt(0)
	s_load_dword s7, s[14:15], 0x300
	s_load_dword s22, s[14:15], 0x200
	s_cmp_eq_u32 s8, 2
	s_load_dword s12, s[12:13], 0x0
	s_mov_b32 s14, s5
	s_waitcnt lgkmcnt(0)
	s_cselect_b32 s17, s7, s11
	s_cmp_eq_u32 s8, 1
	s_cselect_b32 s19, s7, s10
	v_cvt_f32_u32_e32 v1, s17
	v_cvt_f32_u32_e32 v2, s19
	s_sub_i32 s20, 0, s17
	s_sub_i32 s21, 0, s19
	v_rcp_iflag_f32_e32 v1, v1
	v_rcp_iflag_f32_e32 v2, v2
	s_mov_b32 s15, s6
	s_mul_i32 s18, s12, s18
	v_mul_f32_e32 v1, 0x4f7ffffe, v1
	v_mul_f32_e32 v2, 0x4f7ffffe, v2
	v_cvt_u32_f32_e32 v1, v1
	v_cvt_u32_f32_e32 v2, v2
	s_mov_b64 s[12:13], 0
	s_mul_i32 s9, s22, s9
	v_mul_lo_u32 v3, s20, v1
	v_mul_lo_u32 v4, s21, v2
	v_mul_hi_u32 v3, v1, v3
	v_mul_hi_u32 v4, v2, v4
	v_add_u32_e32 v1, v1, v3
	v_mov_b32_e32 v3, 0
	v_add_u32_e32 v5, v2, v4
	v_add_u32_e32 v4, 1, v0
.LBB172_2:                              ; =>This Inner Loop Header: Depth=1
	v_add_u32_e32 v2, -1, v4
	v_lshl_add_u64 v[6:7], v[2:3], 3, s[0:1]
	global_load_dwordx2 v[6:7], v[6:7], off
	v_mul_hi_u32 v8, v1, v0
	v_add_u32_e32 v4, s18, v4
	v_mul_lo_u32 v9, s17, v8
	v_not_b32_e32 v8, v8
	v_mul_hi_u32 v10, v2, v1
	v_cmp_lt_u32_e32 vcc, s16, v4
	v_sub_u32_e32 v11, v0, v9
	v_mad_u64_u32 v[8:9], s[22:23], s17, v8, v[0:1]
	v_add_u32_e32 v9, 1, v10
	s_or_b64 s[12:13], vcc, s[12:13]
	v_cmp_le_u32_e32 vcc, s17, v11
	v_add_u32_e32 v0, s18, v0
	s_nop 0
	v_cndmask_b32_e32 v9, v10, v9, vcc
	v_cndmask_b32_e32 v8, v11, v8, vcc
	v_add_u32_e32 v10, 1, v9
	v_cmp_le_u32_e32 vcc, s17, v8
	s_nop 1
	v_cndmask_b32_e32 v10, v9, v10, vcc
	v_mad_u64_u32 v[8:9], s[22:23], s20, v10, v[2:3]
	v_mul_hi_u32 v2, v10, v5
	v_mul_lo_u32 v9, v2, s19
	v_sub_u32_e32 v9, v10, v9
	v_add_u32_e32 v11, 1, v2
	v_cmp_le_u32_e32 vcc, s19, v9
	s_nop 1
	v_cndmask_b32_e32 v2, v2, v11, vcc
	v_subrev_u32_e32 v11, s19, v9
	v_cndmask_b32_e32 v9, v9, v11, vcc
	v_add_u32_e32 v11, 1, v2
	v_cmp_le_u32_e32 vcc, s19, v9
	s_nop 1
	v_cndmask_b32_e32 v2, v2, v11, vcc
	v_mul_lo_u32 v9, v2, s19
	v_mul_lo_u32 v2, v2, s4
	v_sub_u32_e32 v10, v10, v9
	v_mad_u64_u32 v[8:9], s[22:23], v8, s6, v[2:3]
	v_mul_lo_u32 v2, v10, s5
	v_add3_u32 v2, v8, v2, s9
	v_lshl_add_u64 v[8:9], v[2:3], 3, s[2:3]
	s_waitcnt vmcnt(0)
	global_store_dwordx2 v[8:9], v[6:7], off
	s_andn2_b64 exec, exec, s[12:13]
	s_cbranch_execnz .LBB172_2
; %bb.3:
	s_or_b64 exec, exec, s[12:13]
	v_add_u32_e32 v0, -1, v4
	v_cmp_gt_u32_e32 vcc, s16, v0
	s_and_b64 exec, exec, vcc
	s_cbranch_execz .LBB172_6
; %bb.4:
	s_cmp_eq_u32 s8, 2
	s_cselect_b32 s5, s7, s11
	v_cvt_f32_u32_e32 v1, s5
	s_cmp_eq_u32 s8, 1
	s_cselect_b32 s8, s7, s10
	v_cvt_f32_u32_e32 v2, s8
	v_rcp_iflag_f32_e32 v1, v1
	s_sub_i32 s6, 0, s5
	v_mov_b32_e32 v3, 0
	v_rcp_iflag_f32_e32 v2, v2
	v_mul_f32_e32 v1, 0x4f7ffffe, v1
	v_cvt_u32_f32_e32 v1, v1
	v_mov_b32_e32 v5, v3
	v_mul_f32_e32 v2, 0x4f7ffffe, v2
	v_cvt_u32_f32_e32 v2, v2
	v_mul_lo_u32 v4, s6, v1
	v_mul_hi_u32 v4, v1, v4
	s_sub_i32 s6, 0, s8
	v_add_u32_e32 v4, v1, v4
	v_mul_lo_u32 v1, s6, v2
	v_mul_hi_u32 v1, v2, v1
	v_add_u32_e32 v10, v2, v1
	v_mov_b32_e32 v1, v3
	v_mad_u64_u32 v[6:7], s[6:7], v4, v0, 0
	v_lshl_add_u64 v[8:9], v[0:1], 3, s[0:1]
	s_mov_b64 s[6:7], 0
.LBB172_5:                              ; =>This Inner Loop Header: Depth=1
	global_load_dwordx2 v[12:13], v[8:9], off
	v_not_b32_e32 v1, v7
	v_mul_lo_u32 v2, s5, v7
	v_mad_u64_u32 v[14:15], s[0:1], s5, v1, v[0:1]
	v_sub_u32_e32 v1, v0, v2
	v_add_u32_e32 v11, 1, v7
	v_cmp_le_u32_e32 vcc, s5, v1
	v_lshl_add_u64 v[8:9], v[8:9], 0, 8
	s_nop 0
	v_cndmask_b32_e32 v2, v7, v11, vcc
	v_cndmask_b32_e32 v1, v1, v14, vcc
	v_add_u32_e32 v11, 1, v2
	v_cmp_le_u32_e32 vcc, s5, v1
	v_lshl_add_u64 v[6:7], v[6:7], 0, v[4:5]
	s_nop 0
	v_cndmask_b32_e32 v1, v2, v11, vcc
	v_mul_hi_u32 v2, v1, v10
	v_mul_lo_u32 v14, v2, s8
	v_sub_u32_e32 v14, v1, v14
	v_mul_lo_u32 v11, v1, s5
	v_add_u32_e32 v15, 1, v2
	v_cmp_le_u32_e64 s[0:1], s8, v14
	v_sub_u32_e32 v11, v0, v11
	v_add_u32_e32 v0, 1, v0
	v_cndmask_b32_e64 v2, v2, v15, s[0:1]
	v_subrev_u32_e32 v15, s8, v14
	v_cmp_le_u32_e32 vcc, s16, v0
	v_cndmask_b32_e64 v14, v14, v15, s[0:1]
	s_or_b64 s[6:7], vcc, s[6:7]
	v_add_u32_e32 v15, 1, v2
	v_cmp_le_u32_e32 vcc, s8, v14
	v_mul_lo_u32 v11, v11, s15
	s_nop 0
	v_cndmask_b32_e32 v2, v2, v15, vcc
	v_mul_lo_u32 v14, v2, s8
	v_mul_lo_u32 v2, v2, s4
	v_sub_u32_e32 v1, v1, v14
	v_add_u32_e32 v2, s9, v2
	v_mul_lo_u32 v1, v1, s14
	v_add3_u32 v2, v2, v11, v1
	v_lshl_add_u64 v[14:15], v[2:3], 3, s[2:3]
	s_waitcnt vmcnt(0)
	global_store_dwordx2 v[14:15], v[12:13], off
	s_andn2_b64 exec, exec, s[6:7]
	s_cbranch_execnz .LBB172_5
.LBB172_6:
	s_endpgm
	.section	.rodata,"a",@progbits
	.p2align	6, 0x0
	.amdhsa_kernel _ZN2at6native12_GLOBAL__N_135CatArrayBatchedCopy_alignedK_contigINS1_10OpaqueTypeILj8EEEjLi3ELi64ELi64ELi8EEEvPT_NS1_25CatArrInputTensorMetadataIS5_T0_XT2_EXT3_EEENS1_16TensorSizeStrideIS8_Lj4EEEiS8_
		.amdhsa_group_segment_fixed_size 0
		.amdhsa_private_segment_fixed_size 0
		.amdhsa_kernarg_size 3696
		.amdhsa_user_sgpr_count 2
		.amdhsa_user_sgpr_dispatch_ptr 0
		.amdhsa_user_sgpr_queue_ptr 0
		.amdhsa_user_sgpr_kernarg_segment_ptr 1
		.amdhsa_user_sgpr_dispatch_id 0
		.amdhsa_user_sgpr_kernarg_preload_length 0
		.amdhsa_user_sgpr_kernarg_preload_offset 0
		.amdhsa_user_sgpr_private_segment_size 0
		.amdhsa_uses_dynamic_stack 0
		.amdhsa_enable_private_segment 0
		.amdhsa_system_sgpr_workgroup_id_x 1
		.amdhsa_system_sgpr_workgroup_id_y 1
		.amdhsa_system_sgpr_workgroup_id_z 0
		.amdhsa_system_sgpr_workgroup_info 0
		.amdhsa_system_vgpr_workitem_id 0
		.amdhsa_next_free_vgpr 16
		.amdhsa_next_free_sgpr 24
		.amdhsa_accum_offset 16
		.amdhsa_reserve_vcc 1
		.amdhsa_float_round_mode_32 0
		.amdhsa_float_round_mode_16_64 0
		.amdhsa_float_denorm_mode_32 3
		.amdhsa_float_denorm_mode_16_64 3
		.amdhsa_dx10_clamp 1
		.amdhsa_ieee_mode 1
		.amdhsa_fp16_overflow 0
		.amdhsa_tg_split 0
		.amdhsa_exception_fp_ieee_invalid_op 0
		.amdhsa_exception_fp_denorm_src 0
		.amdhsa_exception_fp_ieee_div_zero 0
		.amdhsa_exception_fp_ieee_overflow 0
		.amdhsa_exception_fp_ieee_underflow 0
		.amdhsa_exception_fp_ieee_inexact 0
		.amdhsa_exception_int_div_zero 0
	.end_amdhsa_kernel
	.section	.text._ZN2at6native12_GLOBAL__N_135CatArrayBatchedCopy_alignedK_contigINS1_10OpaqueTypeILj8EEEjLi3ELi64ELi64ELi8EEEvPT_NS1_25CatArrInputTensorMetadataIS5_T0_XT2_EXT3_EEENS1_16TensorSizeStrideIS8_Lj4EEEiS8_,"axG",@progbits,_ZN2at6native12_GLOBAL__N_135CatArrayBatchedCopy_alignedK_contigINS1_10OpaqueTypeILj8EEEjLi3ELi64ELi64ELi8EEEvPT_NS1_25CatArrInputTensorMetadataIS5_T0_XT2_EXT3_EEENS1_16TensorSizeStrideIS8_Lj4EEEiS8_,comdat
.Lfunc_end172:
	.size	_ZN2at6native12_GLOBAL__N_135CatArrayBatchedCopy_alignedK_contigINS1_10OpaqueTypeILj8EEEjLi3ELi64ELi64ELi8EEEvPT_NS1_25CatArrInputTensorMetadataIS5_T0_XT2_EXT3_EEENS1_16TensorSizeStrideIS8_Lj4EEEiS8_, .Lfunc_end172-_ZN2at6native12_GLOBAL__N_135CatArrayBatchedCopy_alignedK_contigINS1_10OpaqueTypeILj8EEEjLi3ELi64ELi64ELi8EEEvPT_NS1_25CatArrInputTensorMetadataIS5_T0_XT2_EXT3_EEENS1_16TensorSizeStrideIS8_Lj4EEEiS8_
                                        ; -- End function
	.set _ZN2at6native12_GLOBAL__N_135CatArrayBatchedCopy_alignedK_contigINS1_10OpaqueTypeILj8EEEjLi3ELi64ELi64ELi8EEEvPT_NS1_25CatArrInputTensorMetadataIS5_T0_XT2_EXT3_EEENS1_16TensorSizeStrideIS8_Lj4EEEiS8_.num_vgpr, 16
	.set _ZN2at6native12_GLOBAL__N_135CatArrayBatchedCopy_alignedK_contigINS1_10OpaqueTypeILj8EEEjLi3ELi64ELi64ELi8EEEvPT_NS1_25CatArrInputTensorMetadataIS5_T0_XT2_EXT3_EEENS1_16TensorSizeStrideIS8_Lj4EEEiS8_.num_agpr, 0
	.set _ZN2at6native12_GLOBAL__N_135CatArrayBatchedCopy_alignedK_contigINS1_10OpaqueTypeILj8EEEjLi3ELi64ELi64ELi8EEEvPT_NS1_25CatArrInputTensorMetadataIS5_T0_XT2_EXT3_EEENS1_16TensorSizeStrideIS8_Lj4EEEiS8_.numbered_sgpr, 24
	.set _ZN2at6native12_GLOBAL__N_135CatArrayBatchedCopy_alignedK_contigINS1_10OpaqueTypeILj8EEEjLi3ELi64ELi64ELi8EEEvPT_NS1_25CatArrInputTensorMetadataIS5_T0_XT2_EXT3_EEENS1_16TensorSizeStrideIS8_Lj4EEEiS8_.num_named_barrier, 0
	.set _ZN2at6native12_GLOBAL__N_135CatArrayBatchedCopy_alignedK_contigINS1_10OpaqueTypeILj8EEEjLi3ELi64ELi64ELi8EEEvPT_NS1_25CatArrInputTensorMetadataIS5_T0_XT2_EXT3_EEENS1_16TensorSizeStrideIS8_Lj4EEEiS8_.private_seg_size, 0
	.set _ZN2at6native12_GLOBAL__N_135CatArrayBatchedCopy_alignedK_contigINS1_10OpaqueTypeILj8EEEjLi3ELi64ELi64ELi8EEEvPT_NS1_25CatArrInputTensorMetadataIS5_T0_XT2_EXT3_EEENS1_16TensorSizeStrideIS8_Lj4EEEiS8_.uses_vcc, 1
	.set _ZN2at6native12_GLOBAL__N_135CatArrayBatchedCopy_alignedK_contigINS1_10OpaqueTypeILj8EEEjLi3ELi64ELi64ELi8EEEvPT_NS1_25CatArrInputTensorMetadataIS5_T0_XT2_EXT3_EEENS1_16TensorSizeStrideIS8_Lj4EEEiS8_.uses_flat_scratch, 0
	.set _ZN2at6native12_GLOBAL__N_135CatArrayBatchedCopy_alignedK_contigINS1_10OpaqueTypeILj8EEEjLi3ELi64ELi64ELi8EEEvPT_NS1_25CatArrInputTensorMetadataIS5_T0_XT2_EXT3_EEENS1_16TensorSizeStrideIS8_Lj4EEEiS8_.has_dyn_sized_stack, 0
	.set _ZN2at6native12_GLOBAL__N_135CatArrayBatchedCopy_alignedK_contigINS1_10OpaqueTypeILj8EEEjLi3ELi64ELi64ELi8EEEvPT_NS1_25CatArrInputTensorMetadataIS5_T0_XT2_EXT3_EEENS1_16TensorSizeStrideIS8_Lj4EEEiS8_.has_recursion, 0
	.set _ZN2at6native12_GLOBAL__N_135CatArrayBatchedCopy_alignedK_contigINS1_10OpaqueTypeILj8EEEjLi3ELi64ELi64ELi8EEEvPT_NS1_25CatArrInputTensorMetadataIS5_T0_XT2_EXT3_EEENS1_16TensorSizeStrideIS8_Lj4EEEiS8_.has_indirect_call, 0
	.section	.AMDGPU.csdata,"",@progbits
; Kernel info:
; codeLenInByte = 984
; TotalNumSgprs: 30
; NumVgprs: 16
; NumAgprs: 0
; TotalNumVgprs: 16
; ScratchSize: 0
; MemoryBound: 0
; FloatMode: 240
; IeeeMode: 1
; LDSByteSize: 0 bytes/workgroup (compile time only)
; SGPRBlocks: 3
; VGPRBlocks: 1
; NumSGPRsForWavesPerEU: 30
; NumVGPRsForWavesPerEU: 16
; AccumOffset: 16
; Occupancy: 8
; WaveLimiterHint : 1
; COMPUTE_PGM_RSRC2:SCRATCH_EN: 0
; COMPUTE_PGM_RSRC2:USER_SGPR: 2
; COMPUTE_PGM_RSRC2:TRAP_HANDLER: 0
; COMPUTE_PGM_RSRC2:TGID_X_EN: 1
; COMPUTE_PGM_RSRC2:TGID_Y_EN: 1
; COMPUTE_PGM_RSRC2:TGID_Z_EN: 0
; COMPUTE_PGM_RSRC2:TIDIG_COMP_CNT: 0
; COMPUTE_PGM_RSRC3_GFX90A:ACCUM_OFFSET: 3
; COMPUTE_PGM_RSRC3_GFX90A:TG_SPLIT: 0
	.section	.text._ZN2at6native12_GLOBAL__N_126CatArrayBatchedCopy_contigINS1_10OpaqueTypeILj8EEEjLi3ELi64ELi64EEEvPT_NS1_25CatArrInputTensorMetadataIS5_T0_XT2_EXT3_EEENS1_16TensorSizeStrideIS8_Lj4EEEiS8_,"axG",@progbits,_ZN2at6native12_GLOBAL__N_126CatArrayBatchedCopy_contigINS1_10OpaqueTypeILj8EEEjLi3ELi64ELi64EEEvPT_NS1_25CatArrInputTensorMetadataIS5_T0_XT2_EXT3_EEENS1_16TensorSizeStrideIS8_Lj4EEEiS8_,comdat
	.globl	_ZN2at6native12_GLOBAL__N_126CatArrayBatchedCopy_contigINS1_10OpaqueTypeILj8EEEjLi3ELi64ELi64EEEvPT_NS1_25CatArrInputTensorMetadataIS5_T0_XT2_EXT3_EEENS1_16TensorSizeStrideIS8_Lj4EEEiS8_ ; -- Begin function _ZN2at6native12_GLOBAL__N_126CatArrayBatchedCopy_contigINS1_10OpaqueTypeILj8EEEjLi3ELi64ELi64EEEvPT_NS1_25CatArrInputTensorMetadataIS5_T0_XT2_EXT3_EEENS1_16TensorSizeStrideIS8_Lj4EEEiS8_
	.p2align	8
	.type	_ZN2at6native12_GLOBAL__N_126CatArrayBatchedCopy_contigINS1_10OpaqueTypeILj8EEEjLi3ELi64ELi64EEEvPT_NS1_25CatArrInputTensorMetadataIS5_T0_XT2_EXT3_EEENS1_16TensorSizeStrideIS8_Lj4EEEiS8_,@function
_ZN2at6native12_GLOBAL__N_126CatArrayBatchedCopy_contigINS1_10OpaqueTypeILj8EEEjLi3ELi64ELi64EEEvPT_NS1_25CatArrInputTensorMetadataIS5_T0_XT2_EXT3_EEENS1_16TensorSizeStrideIS8_Lj4EEEiS8_: ; @_ZN2at6native12_GLOBAL__N_126CatArrayBatchedCopy_contigINS1_10OpaqueTypeILj8EEEjLi3ELi64ELi64EEEvPT_NS1_25CatArrInputTensorMetadataIS5_T0_XT2_EXT3_EEENS1_16TensorSizeStrideIS8_Lj4EEEiS8_
; %bb.0:
	s_mov_b32 s4, s3
	s_load_dword s3, s[0:1], 0xd7c
	s_add_u32 s10, s0, 0xd70
	s_mov_b32 s5, 0
	s_addc_u32 s11, s1, 0
	s_lshl_b64 s[8:9], s[4:5], 2
	s_waitcnt lgkmcnt(0)
	s_and_b32 s15, s3, 0xffff
	s_add_u32 s4, s0, s8
	s_addc_u32 s5, s1, s9
	s_load_dword s12, s[4:5], 0x408
	s_mul_i32 s2, s2, s15
	v_add_u32_e32 v0, s2, v0
	s_add_u32 s13, s4, 8
	s_addc_u32 s14, s5, 0
	s_waitcnt lgkmcnt(0)
	v_cmp_gt_u32_e32 vcc, s12, v0
	s_and_saveexec_b64 s[2:3], vcc
	s_cbranch_execz .LBB173_3
; %bb.1:
	s_load_dwordx2 s[16:17], s[0:1], 0xd68
	s_load_dwordx4 s[4:7], s[0:1], 0xd58
	s_load_dwordx2 s[2:3], s[0:1], 0x0
	s_load_dwordx2 s[18:19], s[0:1], 0xd4c
	s_add_u32 s0, s13, s8
	s_addc_u32 s1, s14, s9
	s_waitcnt lgkmcnt(0)
	s_sub_u32 s7, 0, s8
	s_subb_u32 s8, 0, s9
	s_add_u32 s20, s0, s7
	s_addc_u32 s21, s1, s8
	s_load_dwordx2 s[8:9], s[0:1], 0x0
	s_load_dword s22, s[20:21], 0x300
	s_load_dword s23, s[20:21], 0x200
	s_cmp_eq_u32 s16, 2
	s_load_dword s0, s[10:11], 0x0
	s_mov_b32 s13, s6
	s_waitcnt lgkmcnt(0)
	s_cselect_b32 s14, s22, s19
	v_cvt_f32_u32_e32 v1, s14
	s_cmp_eq_u32 s16, 1
	s_cselect_b32 s11, s22, s18
	v_cvt_f32_u32_e32 v2, s11
	v_rcp_iflag_f32_e32 v1, v1
	s_mul_i32 s15, s0, s15
	s_sub_i32 s0, 0, s14
	v_rcp_iflag_f32_e32 v2, v2
	v_mul_f32_e32 v1, 0x4f7ffffe, v1
	v_cvt_u32_f32_e32 v1, v1
	s_mov_b64 s[6:7], 0
	v_mul_f32_e32 v2, 0x4f7ffffe, v2
	v_cvt_u32_f32_e32 v4, v2
	v_mul_lo_u32 v3, s0, v1
	v_mul_hi_u32 v3, v1, v3
	s_sub_i32 s0, 0, s11
	v_add_u32_e32 v2, v1, v3
	v_mul_lo_u32 v3, s0, v4
	v_mul_hi_u32 v3, v4, v3
	s_mul_i32 s10, s23, s17
	v_mov_b32_e32 v1, 0
	v_add_u32_e32 v3, v4, v3
.LBB173_2:                              ; =>This Inner Loop Header: Depth=1
	v_lshl_add_u64 v[4:5], v[0:1], 3, s[8:9]
	global_load_dwordx2 v[4:5], v[4:5], off
	v_mul_hi_u32 v6, v2, v0
	v_mul_lo_u32 v8, s14, v6
	v_not_b32_e32 v9, v6
	v_sub_u32_e32 v11, v0, v8
	v_add_u32_e32 v10, 1, v6
	v_mad_u64_u32 v[8:9], s[0:1], s14, v9, v[0:1]
	v_cmp_le_u32_e32 vcc, s14, v11
	v_mov_b32_e32 v7, v1
	s_nop 0
	v_cndmask_b32_e32 v6, v6, v10, vcc
	v_cndmask_b32_e32 v8, v11, v8, vcc
	v_add_u32_e32 v9, 1, v6
	v_cmp_le_u32_e32 vcc, s14, v8
	s_nop 1
	v_cndmask_b32_e32 v6, v6, v9, vcc
	v_mul_hi_u32 v8, v6, v3
	v_mul_lo_u32 v10, v8, s11
	v_sub_u32_e32 v10, v6, v10
	v_mul_lo_u32 v9, v6, s14
	v_add_u32_e32 v11, 1, v8
	v_cmp_le_u32_e64 s[0:1], s11, v10
	v_sub_u32_e32 v9, v0, v9
	v_add_u32_e32 v0, s15, v0
	v_cndmask_b32_e64 v8, v8, v11, s[0:1]
	v_subrev_u32_e32 v11, s11, v10
	v_cmp_le_u32_e32 vcc, s12, v0
	v_cndmask_b32_e64 v10, v10, v11, s[0:1]
	s_or_b64 s[6:7], vcc, s[6:7]
	v_add_u32_e32 v11, 1, v8
	v_cmp_le_u32_e32 vcc, s11, v10
	v_mul_lo_u32 v9, v9, s13
	s_nop 0
	v_cndmask_b32_e32 v8, v8, v11, vcc
	v_mul_lo_u32 v10, v8, s11
	v_mul_lo_u32 v8, v8, s4
	v_sub_u32_e32 v6, v6, v10
	v_add_u32_e32 v8, s10, v8
	v_mul_lo_u32 v6, v6, s5
	v_add3_u32 v6, v8, v9, v6
	v_lshl_add_u64 v[6:7], v[6:7], 3, s[2:3]
	s_waitcnt vmcnt(0)
	global_store_dwordx2 v[6:7], v[4:5], off
	s_andn2_b64 exec, exec, s[6:7]
	s_cbranch_execnz .LBB173_2
.LBB173_3:
	s_endpgm
	.section	.rodata,"a",@progbits
	.p2align	6, 0x0
	.amdhsa_kernel _ZN2at6native12_GLOBAL__N_126CatArrayBatchedCopy_contigINS1_10OpaqueTypeILj8EEEjLi3ELi64ELi64EEEvPT_NS1_25CatArrInputTensorMetadataIS5_T0_XT2_EXT3_EEENS1_16TensorSizeStrideIS8_Lj4EEEiS8_
		.amdhsa_group_segment_fixed_size 0
		.amdhsa_private_segment_fixed_size 0
		.amdhsa_kernarg_size 3696
		.amdhsa_user_sgpr_count 2
		.amdhsa_user_sgpr_dispatch_ptr 0
		.amdhsa_user_sgpr_queue_ptr 0
		.amdhsa_user_sgpr_kernarg_segment_ptr 1
		.amdhsa_user_sgpr_dispatch_id 0
		.amdhsa_user_sgpr_kernarg_preload_length 0
		.amdhsa_user_sgpr_kernarg_preload_offset 0
		.amdhsa_user_sgpr_private_segment_size 0
		.amdhsa_uses_dynamic_stack 0
		.amdhsa_enable_private_segment 0
		.amdhsa_system_sgpr_workgroup_id_x 1
		.amdhsa_system_sgpr_workgroup_id_y 1
		.amdhsa_system_sgpr_workgroup_id_z 0
		.amdhsa_system_sgpr_workgroup_info 0
		.amdhsa_system_vgpr_workitem_id 0
		.amdhsa_next_free_vgpr 12
		.amdhsa_next_free_sgpr 24
		.amdhsa_accum_offset 12
		.amdhsa_reserve_vcc 1
		.amdhsa_float_round_mode_32 0
		.amdhsa_float_round_mode_16_64 0
		.amdhsa_float_denorm_mode_32 3
		.amdhsa_float_denorm_mode_16_64 3
		.amdhsa_dx10_clamp 1
		.amdhsa_ieee_mode 1
		.amdhsa_fp16_overflow 0
		.amdhsa_tg_split 0
		.amdhsa_exception_fp_ieee_invalid_op 0
		.amdhsa_exception_fp_denorm_src 0
		.amdhsa_exception_fp_ieee_div_zero 0
		.amdhsa_exception_fp_ieee_overflow 0
		.amdhsa_exception_fp_ieee_underflow 0
		.amdhsa_exception_fp_ieee_inexact 0
		.amdhsa_exception_int_div_zero 0
	.end_amdhsa_kernel
	.section	.text._ZN2at6native12_GLOBAL__N_126CatArrayBatchedCopy_contigINS1_10OpaqueTypeILj8EEEjLi3ELi64ELi64EEEvPT_NS1_25CatArrInputTensorMetadataIS5_T0_XT2_EXT3_EEENS1_16TensorSizeStrideIS8_Lj4EEEiS8_,"axG",@progbits,_ZN2at6native12_GLOBAL__N_126CatArrayBatchedCopy_contigINS1_10OpaqueTypeILj8EEEjLi3ELi64ELi64EEEvPT_NS1_25CatArrInputTensorMetadataIS5_T0_XT2_EXT3_EEENS1_16TensorSizeStrideIS8_Lj4EEEiS8_,comdat
.Lfunc_end173:
	.size	_ZN2at6native12_GLOBAL__N_126CatArrayBatchedCopy_contigINS1_10OpaqueTypeILj8EEEjLi3ELi64ELi64EEEvPT_NS1_25CatArrInputTensorMetadataIS5_T0_XT2_EXT3_EEENS1_16TensorSizeStrideIS8_Lj4EEEiS8_, .Lfunc_end173-_ZN2at6native12_GLOBAL__N_126CatArrayBatchedCopy_contigINS1_10OpaqueTypeILj8EEEjLi3ELi64ELi64EEEvPT_NS1_25CatArrInputTensorMetadataIS5_T0_XT2_EXT3_EEENS1_16TensorSizeStrideIS8_Lj4EEEiS8_
                                        ; -- End function
	.set _ZN2at6native12_GLOBAL__N_126CatArrayBatchedCopy_contigINS1_10OpaqueTypeILj8EEEjLi3ELi64ELi64EEEvPT_NS1_25CatArrInputTensorMetadataIS5_T0_XT2_EXT3_EEENS1_16TensorSizeStrideIS8_Lj4EEEiS8_.num_vgpr, 12
	.set _ZN2at6native12_GLOBAL__N_126CatArrayBatchedCopy_contigINS1_10OpaqueTypeILj8EEEjLi3ELi64ELi64EEEvPT_NS1_25CatArrInputTensorMetadataIS5_T0_XT2_EXT3_EEENS1_16TensorSizeStrideIS8_Lj4EEEiS8_.num_agpr, 0
	.set _ZN2at6native12_GLOBAL__N_126CatArrayBatchedCopy_contigINS1_10OpaqueTypeILj8EEEjLi3ELi64ELi64EEEvPT_NS1_25CatArrInputTensorMetadataIS5_T0_XT2_EXT3_EEENS1_16TensorSizeStrideIS8_Lj4EEEiS8_.numbered_sgpr, 24
	.set _ZN2at6native12_GLOBAL__N_126CatArrayBatchedCopy_contigINS1_10OpaqueTypeILj8EEEjLi3ELi64ELi64EEEvPT_NS1_25CatArrInputTensorMetadataIS5_T0_XT2_EXT3_EEENS1_16TensorSizeStrideIS8_Lj4EEEiS8_.num_named_barrier, 0
	.set _ZN2at6native12_GLOBAL__N_126CatArrayBatchedCopy_contigINS1_10OpaqueTypeILj8EEEjLi3ELi64ELi64EEEvPT_NS1_25CatArrInputTensorMetadataIS5_T0_XT2_EXT3_EEENS1_16TensorSizeStrideIS8_Lj4EEEiS8_.private_seg_size, 0
	.set _ZN2at6native12_GLOBAL__N_126CatArrayBatchedCopy_contigINS1_10OpaqueTypeILj8EEEjLi3ELi64ELi64EEEvPT_NS1_25CatArrInputTensorMetadataIS5_T0_XT2_EXT3_EEENS1_16TensorSizeStrideIS8_Lj4EEEiS8_.uses_vcc, 1
	.set _ZN2at6native12_GLOBAL__N_126CatArrayBatchedCopy_contigINS1_10OpaqueTypeILj8EEEjLi3ELi64ELi64EEEvPT_NS1_25CatArrInputTensorMetadataIS5_T0_XT2_EXT3_EEENS1_16TensorSizeStrideIS8_Lj4EEEiS8_.uses_flat_scratch, 0
	.set _ZN2at6native12_GLOBAL__N_126CatArrayBatchedCopy_contigINS1_10OpaqueTypeILj8EEEjLi3ELi64ELi64EEEvPT_NS1_25CatArrInputTensorMetadataIS5_T0_XT2_EXT3_EEENS1_16TensorSizeStrideIS8_Lj4EEEiS8_.has_dyn_sized_stack, 0
	.set _ZN2at6native12_GLOBAL__N_126CatArrayBatchedCopy_contigINS1_10OpaqueTypeILj8EEEjLi3ELi64ELi64EEEvPT_NS1_25CatArrInputTensorMetadataIS5_T0_XT2_EXT3_EEENS1_16TensorSizeStrideIS8_Lj4EEEiS8_.has_recursion, 0
	.set _ZN2at6native12_GLOBAL__N_126CatArrayBatchedCopy_contigINS1_10OpaqueTypeILj8EEEjLi3ELi64ELi64EEEvPT_NS1_25CatArrInputTensorMetadataIS5_T0_XT2_EXT3_EEENS1_16TensorSizeStrideIS8_Lj4EEEiS8_.has_indirect_call, 0
	.section	.AMDGPU.csdata,"",@progbits
; Kernel info:
; codeLenInByte = 572
; TotalNumSgprs: 30
; NumVgprs: 12
; NumAgprs: 0
; TotalNumVgprs: 12
; ScratchSize: 0
; MemoryBound: 0
; FloatMode: 240
; IeeeMode: 1
; LDSByteSize: 0 bytes/workgroup (compile time only)
; SGPRBlocks: 3
; VGPRBlocks: 1
; NumSGPRsForWavesPerEU: 30
; NumVGPRsForWavesPerEU: 12
; AccumOffset: 12
; Occupancy: 8
; WaveLimiterHint : 1
; COMPUTE_PGM_RSRC2:SCRATCH_EN: 0
; COMPUTE_PGM_RSRC2:USER_SGPR: 2
; COMPUTE_PGM_RSRC2:TRAP_HANDLER: 0
; COMPUTE_PGM_RSRC2:TGID_X_EN: 1
; COMPUTE_PGM_RSRC2:TGID_Y_EN: 1
; COMPUTE_PGM_RSRC2:TGID_Z_EN: 0
; COMPUTE_PGM_RSRC2:TIDIG_COMP_CNT: 0
; COMPUTE_PGM_RSRC3_GFX90A:ACCUM_OFFSET: 2
; COMPUTE_PGM_RSRC3_GFX90A:TG_SPLIT: 0
	.section	.text._ZN2at6native12_GLOBAL__N_119CatArrayBatchedCopyINS1_10OpaqueTypeILj8EEEjLi3ELi64ELi64EEEvPT_NS1_25CatArrInputTensorMetadataIS5_T0_XT2_EXT3_EEENS1_16TensorSizeStrideIS8_Lj4EEEiS8_,"axG",@progbits,_ZN2at6native12_GLOBAL__N_119CatArrayBatchedCopyINS1_10OpaqueTypeILj8EEEjLi3ELi64ELi64EEEvPT_NS1_25CatArrInputTensorMetadataIS5_T0_XT2_EXT3_EEENS1_16TensorSizeStrideIS8_Lj4EEEiS8_,comdat
	.globl	_ZN2at6native12_GLOBAL__N_119CatArrayBatchedCopyINS1_10OpaqueTypeILj8EEEjLi3ELi64ELi64EEEvPT_NS1_25CatArrInputTensorMetadataIS5_T0_XT2_EXT3_EEENS1_16TensorSizeStrideIS8_Lj4EEEiS8_ ; -- Begin function _ZN2at6native12_GLOBAL__N_119CatArrayBatchedCopyINS1_10OpaqueTypeILj8EEEjLi3ELi64ELi64EEEvPT_NS1_25CatArrInputTensorMetadataIS5_T0_XT2_EXT3_EEENS1_16TensorSizeStrideIS8_Lj4EEEiS8_
	.p2align	8
	.type	_ZN2at6native12_GLOBAL__N_119CatArrayBatchedCopyINS1_10OpaqueTypeILj8EEEjLi3ELi64ELi64EEEvPT_NS1_25CatArrInputTensorMetadataIS5_T0_XT2_EXT3_EEENS1_16TensorSizeStrideIS8_Lj4EEEiS8_,@function
_ZN2at6native12_GLOBAL__N_119CatArrayBatchedCopyINS1_10OpaqueTypeILj8EEEjLi3ELi64ELi64EEEvPT_NS1_25CatArrInputTensorMetadataIS5_T0_XT2_EXT3_EEENS1_16TensorSizeStrideIS8_Lj4EEEiS8_: ; @_ZN2at6native12_GLOBAL__N_119CatArrayBatchedCopyINS1_10OpaqueTypeILj8EEEjLi3ELi64ELi64EEEvPT_NS1_25CatArrInputTensorMetadataIS5_T0_XT2_EXT3_EEENS1_16TensorSizeStrideIS8_Lj4EEEiS8_
; %bb.0:
	s_load_dword s4, s[0:1], 0xd7c
	s_mov_b32 s8, s3
	s_or_b32 s3, s0, 8
	s_add_u32 s10, s0, 0xd70
	s_mov_b32 s9, 0
	s_addc_u32 s11, s1, 0
	s_waitcnt lgkmcnt(0)
	s_and_b32 s17, s4, 0xffff
	s_lshl_b64 s[14:15], s[8:9], 2
	s_add_u32 s4, s3, s14
	s_addc_u32 s5, s1, s15
	s_load_dword s16, s[4:5], 0x400
	s_mul_i32 s2, s2, s17
	v_add_u32_e32 v0, s2, v0
	s_waitcnt lgkmcnt(0)
	v_cmp_gt_u32_e32 vcc, s16, v0
	s_and_saveexec_b64 s[12:13], vcc
	s_cbranch_execz .LBB174_5
; %bb.1:
	s_mul_i32 s7, s8, 28
	s_mul_hi_u32 s2, s8, 28
	s_add_u32 s18, s4, s7
	s_addc_u32 s19, s5, s2
	s_add_u32 s20, s3, s8
	s_addc_u32 s21, s1, 0
	v_mov_b32_e32 v1, 0
	global_load_ubyte v2, v1, s[20:21] offset:1280
	s_load_dwordx2 s[22:23], s[0:1], 0xd68
	s_load_dwordx4 s[4:7], s[0:1], 0xd58
	s_load_dwordx2 s[2:3], s[0:1], 0x0
	s_load_dwordx2 s[24:25], s[0:1], 0xd4c
	s_waitcnt lgkmcnt(0)
	s_load_dword s7, s[10:11], 0x0
                                        ; kill: killed $sgpr0 killed $sgpr1
                                        ; kill: killed $sgpr10 killed $sgpr11
	s_mul_hi_u32 s26, s8, 7
	s_mul_i32 s27, s8, 7
	s_load_dwordx2 s[0:1], s[18:19], 0x544
	s_load_dwordx4 s[8:11], s[18:19], 0x550
	s_mov_b64 s[12:13], 0
	s_waitcnt lgkmcnt(0)
	s_mul_i32 s7, s7, s17
	s_waitcnt vmcnt(0)
	v_and_b32_e32 v2, 1, v2
	v_cmp_eq_u32_e32 vcc, 1, v2
	s_xor_b64 s[18:19], vcc, -1
	s_add_u32 s20, s20, s27
	s_addc_u32 s21, s21, s26
	s_sub_u32 s11, 0, s14
	s_subb_u32 s14, 0, s15
	s_add_u32 s26, s20, s11
	s_addc_u32 s27, s21, s14
	s_load_dwordx2 s[14:15], s[20:21], 0x0
	s_load_dword s11, s[26:27], 0x200
	s_load_dword s28, s[26:27], 0x300
	s_cmp_eq_u32 s22, 2
	v_cndmask_b32_e64 v2, 0, 1, s[18:19]
	s_waitcnt lgkmcnt(0)
	s_mul_i32 s11, s11, s23
	s_cselect_b32 s17, s28, s25
	s_cselect_b32 s18, s28, s1
	s_cmp_eq_u32 s22, 1
	s_cselect_b32 s19, s28, s24
	s_cselect_b32 s20, s28, s0
	v_cvt_f32_u32_e32 v3, s17
	v_cvt_f32_u32_e32 v4, s18
	;; [unrolled: 1-line block ×4, first 2 shown]
	v_rcp_iflag_f32_e32 v3, v3
	v_rcp_iflag_f32_e32 v4, v4
	;; [unrolled: 1-line block ×4, first 2 shown]
	v_mul_f32_e32 v3, 0x4f7ffffe, v3
	v_mul_f32_e32 v4, 0x4f7ffffe, v4
	v_cvt_u32_f32_e32 v3, v3
	v_mul_f32_e32 v5, 0x4f7ffffe, v5
	v_cvt_u32_f32_e32 v7, v4
	;; [unrolled: 2-line block ×3, first 2 shown]
	v_cvt_u32_f32_e32 v8, v4
	s_sub_i32 s21, 0, s17
	s_sub_i32 s22, 0, s18
	;; [unrolled: 1-line block ×4, first 2 shown]
	v_mul_lo_u32 v4, s21, v3
	v_mul_lo_u32 v5, s22, v7
	v_mul_hi_u32 v4, v3, v4
	v_mul_lo_u32 v9, s0, v6
	v_mul_hi_u32 v5, v7, v5
	v_mul_lo_u32 v10, s1, v8
	v_add_u32_e32 v4, v3, v4
	v_mul_hi_u32 v3, v6, v9
	v_add_u32_e32 v5, v7, v5
	v_mul_hi_u32 v7, v8, v10
	v_add_u32_e32 v6, v6, v3
	v_add_u32_e32 v7, v8, v7
	v_cmp_ne_u32_e64 s[0:1], 1, v2
	s_branch .LBB174_3
.LBB174_2:                              ;   in Loop: Header=BB174_3 Depth=1
	v_lshl_add_u64 v[2:3], v[2:3], 3, s[14:15]
	global_load_dwordx2 v[2:3], v[2:3], off
	v_mul_hi_u32 v10, v4, v0
	v_mad_u64_u32 v[8:9], s[24:25], s21, v10, v[0:1]
	v_not_b32_e32 v11, v10
	v_add_u32_e32 v9, 1, v10
	v_cmp_le_u32_e32 vcc, s17, v8
	s_nop 1
	v_cndmask_b32_e32 v9, v10, v9, vcc
	v_mad_u64_u32 v[10:11], s[24:25], s17, v11, v[0:1]
	v_cndmask_b32_e32 v8, v8, v10, vcc
	v_add_u32_e32 v10, 1, v9
	v_cmp_le_u32_e32 vcc, s17, v8
	s_nop 1
	v_cndmask_b32_e32 v10, v9, v10, vcc
	v_mad_u64_u32 v[8:9], s[24:25], s21, v10, v[0:1]
	v_mul_hi_u32 v9, v10, v6
	v_mul_lo_u32 v11, v9, s19
	v_sub_u32_e32 v11, v10, v11
	v_add_u32_e32 v12, 1, v9
	v_cmp_le_u32_e32 vcc, s19, v11
	v_add_u32_e32 v0, s7, v0
	s_nop 0
	v_cndmask_b32_e32 v9, v9, v12, vcc
	v_subrev_u32_e32 v12, s19, v11
	v_cndmask_b32_e32 v11, v11, v12, vcc
	v_add_u32_e32 v12, 1, v9
	v_cmp_le_u32_e32 vcc, s19, v11
	s_nop 1
	v_cndmask_b32_e32 v9, v9, v12, vcc
	v_mul_lo_u32 v11, v9, s19
	v_sub_u32_e32 v10, v10, v11
	v_mul_lo_u32 v11, v10, s5
	v_mul_lo_u32 v10, v9, s4
	v_mad_u64_u32 v[8:9], s[24:25], v8, s6, v[10:11]
	v_add3_u32 v8, v8, v11, s11
	v_mov_b32_e32 v9, v1
	v_cmp_le_u32_e32 vcc, s16, v0
	v_lshl_add_u64 v[8:9], v[8:9], 3, s[2:3]
	s_or_b64 s[12:13], vcc, s[12:13]
	s_waitcnt vmcnt(0)
	global_store_dwordx2 v[8:9], v[2:3], off
	s_andn2_b64 exec, exec, s[12:13]
	s_cbranch_execz .LBB174_5
.LBB174_3:                              ; =>This Inner Loop Header: Depth=1
	s_and_b64 vcc, exec, s[0:1]
	v_mov_b64_e32 v[2:3], v[0:1]
	s_cbranch_vccnz .LBB174_2
; %bb.4:                                ;   in Loop: Header=BB174_3 Depth=1
	v_mul_hi_u32 v8, v5, v0
	v_mad_u64_u32 v[2:3], s[24:25], s22, v8, v[0:1]
	v_not_b32_e32 v9, v8
	v_add_u32_e32 v3, 1, v8
	v_cmp_le_u32_e32 vcc, s18, v2
	s_nop 1
	v_cndmask_b32_e32 v3, v8, v3, vcc
	v_mad_u64_u32 v[8:9], s[24:25], s18, v9, v[0:1]
	v_cndmask_b32_e32 v2, v2, v8, vcc
	v_add_u32_e32 v8, 1, v3
	v_cmp_le_u32_e32 vcc, s18, v2
	s_nop 1
	v_cndmask_b32_e32 v8, v3, v8, vcc
	v_mad_u64_u32 v[2:3], s[24:25], s22, v8, v[0:1]
	v_mul_hi_u32 v3, v8, v7
	v_mul_lo_u32 v9, v3, s20
	v_sub_u32_e32 v9, v8, v9
	v_add_u32_e32 v10, 1, v3
	v_cmp_le_u32_e32 vcc, s20, v9
	v_mul_lo_u32 v2, v2, s10
	s_nop 0
	v_cndmask_b32_e32 v3, v3, v10, vcc
	v_subrev_u32_e32 v10, s20, v9
	v_cndmask_b32_e32 v9, v9, v10, vcc
	v_add_u32_e32 v10, 1, v3
	v_cmp_le_u32_e32 vcc, s20, v9
	s_nop 1
	v_cndmask_b32_e32 v3, v3, v10, vcc
	v_mul_lo_u32 v9, v3, s20
	v_sub_u32_e32 v8, v8, v9
	v_mul_lo_u32 v8, v8, s9
	v_mul_lo_u32 v3, v3, s8
	v_add3_u32 v2, v2, v3, v8
	v_mov_b32_e32 v3, v1
	s_branch .LBB174_2
.LBB174_5:
	s_endpgm
	.section	.rodata,"a",@progbits
	.p2align	6, 0x0
	.amdhsa_kernel _ZN2at6native12_GLOBAL__N_119CatArrayBatchedCopyINS1_10OpaqueTypeILj8EEEjLi3ELi64ELi64EEEvPT_NS1_25CatArrInputTensorMetadataIS5_T0_XT2_EXT3_EEENS1_16TensorSizeStrideIS8_Lj4EEEiS8_
		.amdhsa_group_segment_fixed_size 0
		.amdhsa_private_segment_fixed_size 0
		.amdhsa_kernarg_size 3696
		.amdhsa_user_sgpr_count 2
		.amdhsa_user_sgpr_dispatch_ptr 0
		.amdhsa_user_sgpr_queue_ptr 0
		.amdhsa_user_sgpr_kernarg_segment_ptr 1
		.amdhsa_user_sgpr_dispatch_id 0
		.amdhsa_user_sgpr_kernarg_preload_length 0
		.amdhsa_user_sgpr_kernarg_preload_offset 0
		.amdhsa_user_sgpr_private_segment_size 0
		.amdhsa_uses_dynamic_stack 0
		.amdhsa_enable_private_segment 0
		.amdhsa_system_sgpr_workgroup_id_x 1
		.amdhsa_system_sgpr_workgroup_id_y 1
		.amdhsa_system_sgpr_workgroup_id_z 0
		.amdhsa_system_sgpr_workgroup_info 0
		.amdhsa_system_vgpr_workitem_id 0
		.amdhsa_next_free_vgpr 13
		.amdhsa_next_free_sgpr 29
		.amdhsa_accum_offset 16
		.amdhsa_reserve_vcc 1
		.amdhsa_float_round_mode_32 0
		.amdhsa_float_round_mode_16_64 0
		.amdhsa_float_denorm_mode_32 3
		.amdhsa_float_denorm_mode_16_64 3
		.amdhsa_dx10_clamp 1
		.amdhsa_ieee_mode 1
		.amdhsa_fp16_overflow 0
		.amdhsa_tg_split 0
		.amdhsa_exception_fp_ieee_invalid_op 0
		.amdhsa_exception_fp_denorm_src 0
		.amdhsa_exception_fp_ieee_div_zero 0
		.amdhsa_exception_fp_ieee_overflow 0
		.amdhsa_exception_fp_ieee_underflow 0
		.amdhsa_exception_fp_ieee_inexact 0
		.amdhsa_exception_int_div_zero 0
	.end_amdhsa_kernel
	.section	.text._ZN2at6native12_GLOBAL__N_119CatArrayBatchedCopyINS1_10OpaqueTypeILj8EEEjLi3ELi64ELi64EEEvPT_NS1_25CatArrInputTensorMetadataIS5_T0_XT2_EXT3_EEENS1_16TensorSizeStrideIS8_Lj4EEEiS8_,"axG",@progbits,_ZN2at6native12_GLOBAL__N_119CatArrayBatchedCopyINS1_10OpaqueTypeILj8EEEjLi3ELi64ELi64EEEvPT_NS1_25CatArrInputTensorMetadataIS5_T0_XT2_EXT3_EEENS1_16TensorSizeStrideIS8_Lj4EEEiS8_,comdat
.Lfunc_end174:
	.size	_ZN2at6native12_GLOBAL__N_119CatArrayBatchedCopyINS1_10OpaqueTypeILj8EEEjLi3ELi64ELi64EEEvPT_NS1_25CatArrInputTensorMetadataIS5_T0_XT2_EXT3_EEENS1_16TensorSizeStrideIS8_Lj4EEEiS8_, .Lfunc_end174-_ZN2at6native12_GLOBAL__N_119CatArrayBatchedCopyINS1_10OpaqueTypeILj8EEEjLi3ELi64ELi64EEEvPT_NS1_25CatArrInputTensorMetadataIS5_T0_XT2_EXT3_EEENS1_16TensorSizeStrideIS8_Lj4EEEiS8_
                                        ; -- End function
	.set _ZN2at6native12_GLOBAL__N_119CatArrayBatchedCopyINS1_10OpaqueTypeILj8EEEjLi3ELi64ELi64EEEvPT_NS1_25CatArrInputTensorMetadataIS5_T0_XT2_EXT3_EEENS1_16TensorSizeStrideIS8_Lj4EEEiS8_.num_vgpr, 13
	.set _ZN2at6native12_GLOBAL__N_119CatArrayBatchedCopyINS1_10OpaqueTypeILj8EEEjLi3ELi64ELi64EEEvPT_NS1_25CatArrInputTensorMetadataIS5_T0_XT2_EXT3_EEENS1_16TensorSizeStrideIS8_Lj4EEEiS8_.num_agpr, 0
	.set _ZN2at6native12_GLOBAL__N_119CatArrayBatchedCopyINS1_10OpaqueTypeILj8EEEjLi3ELi64ELi64EEEvPT_NS1_25CatArrInputTensorMetadataIS5_T0_XT2_EXT3_EEENS1_16TensorSizeStrideIS8_Lj4EEEiS8_.numbered_sgpr, 29
	.set _ZN2at6native12_GLOBAL__N_119CatArrayBatchedCopyINS1_10OpaqueTypeILj8EEEjLi3ELi64ELi64EEEvPT_NS1_25CatArrInputTensorMetadataIS5_T0_XT2_EXT3_EEENS1_16TensorSizeStrideIS8_Lj4EEEiS8_.num_named_barrier, 0
	.set _ZN2at6native12_GLOBAL__N_119CatArrayBatchedCopyINS1_10OpaqueTypeILj8EEEjLi3ELi64ELi64EEEvPT_NS1_25CatArrInputTensorMetadataIS5_T0_XT2_EXT3_EEENS1_16TensorSizeStrideIS8_Lj4EEEiS8_.private_seg_size, 0
	.set _ZN2at6native12_GLOBAL__N_119CatArrayBatchedCopyINS1_10OpaqueTypeILj8EEEjLi3ELi64ELi64EEEvPT_NS1_25CatArrInputTensorMetadataIS5_T0_XT2_EXT3_EEENS1_16TensorSizeStrideIS8_Lj4EEEiS8_.uses_vcc, 1
	.set _ZN2at6native12_GLOBAL__N_119CatArrayBatchedCopyINS1_10OpaqueTypeILj8EEEjLi3ELi64ELi64EEEvPT_NS1_25CatArrInputTensorMetadataIS5_T0_XT2_EXT3_EEENS1_16TensorSizeStrideIS8_Lj4EEEiS8_.uses_flat_scratch, 0
	.set _ZN2at6native12_GLOBAL__N_119CatArrayBatchedCopyINS1_10OpaqueTypeILj8EEEjLi3ELi64ELi64EEEvPT_NS1_25CatArrInputTensorMetadataIS5_T0_XT2_EXT3_EEENS1_16TensorSizeStrideIS8_Lj4EEEiS8_.has_dyn_sized_stack, 0
	.set _ZN2at6native12_GLOBAL__N_119CatArrayBatchedCopyINS1_10OpaqueTypeILj8EEEjLi3ELi64ELi64EEEvPT_NS1_25CatArrInputTensorMetadataIS5_T0_XT2_EXT3_EEENS1_16TensorSizeStrideIS8_Lj4EEEiS8_.has_recursion, 0
	.set _ZN2at6native12_GLOBAL__N_119CatArrayBatchedCopyINS1_10OpaqueTypeILj8EEEjLi3ELi64ELi64EEEvPT_NS1_25CatArrInputTensorMetadataIS5_T0_XT2_EXT3_EEENS1_16TensorSizeStrideIS8_Lj4EEEiS8_.has_indirect_call, 0
	.section	.AMDGPU.csdata,"",@progbits
; Kernel info:
; codeLenInByte = 932
; TotalNumSgprs: 35
; NumVgprs: 13
; NumAgprs: 0
; TotalNumVgprs: 13
; ScratchSize: 0
; MemoryBound: 0
; FloatMode: 240
; IeeeMode: 1
; LDSByteSize: 0 bytes/workgroup (compile time only)
; SGPRBlocks: 4
; VGPRBlocks: 1
; NumSGPRsForWavesPerEU: 35
; NumVGPRsForWavesPerEU: 13
; AccumOffset: 16
; Occupancy: 8
; WaveLimiterHint : 1
; COMPUTE_PGM_RSRC2:SCRATCH_EN: 0
; COMPUTE_PGM_RSRC2:USER_SGPR: 2
; COMPUTE_PGM_RSRC2:TRAP_HANDLER: 0
; COMPUTE_PGM_RSRC2:TGID_X_EN: 1
; COMPUTE_PGM_RSRC2:TGID_Y_EN: 1
; COMPUTE_PGM_RSRC2:TGID_Z_EN: 0
; COMPUTE_PGM_RSRC2:TIDIG_COMP_CNT: 0
; COMPUTE_PGM_RSRC3_GFX90A:ACCUM_OFFSET: 3
; COMPUTE_PGM_RSRC3_GFX90A:TG_SPLIT: 0
	.section	.text._ZN2at6native12_GLOBAL__N_130CatArrayBatchedCopy_vectorizedINS1_10OpaqueTypeILj8EEEjLi4ELi64ELi64ELi16ELi2EEEvPcNS1_25CatArrInputTensorMetadataIT_T0_XT2_EXT3_EEENS1_16TensorSizeStrideIS8_Lj4EEEiS8_,"axG",@progbits,_ZN2at6native12_GLOBAL__N_130CatArrayBatchedCopy_vectorizedINS1_10OpaqueTypeILj8EEEjLi4ELi64ELi64ELi16ELi2EEEvPcNS1_25CatArrInputTensorMetadataIT_T0_XT2_EXT3_EEENS1_16TensorSizeStrideIS8_Lj4EEEiS8_,comdat
	.globl	_ZN2at6native12_GLOBAL__N_130CatArrayBatchedCopy_vectorizedINS1_10OpaqueTypeILj8EEEjLi4ELi64ELi64ELi16ELi2EEEvPcNS1_25CatArrInputTensorMetadataIT_T0_XT2_EXT3_EEENS1_16TensorSizeStrideIS8_Lj4EEEiS8_ ; -- Begin function _ZN2at6native12_GLOBAL__N_130CatArrayBatchedCopy_vectorizedINS1_10OpaqueTypeILj8EEEjLi4ELi64ELi64ELi16ELi2EEEvPcNS1_25CatArrInputTensorMetadataIT_T0_XT2_EXT3_EEENS1_16TensorSizeStrideIS8_Lj4EEEiS8_
	.p2align	8
	.type	_ZN2at6native12_GLOBAL__N_130CatArrayBatchedCopy_vectorizedINS1_10OpaqueTypeILj8EEEjLi4ELi64ELi64ELi16ELi2EEEvPcNS1_25CatArrInputTensorMetadataIT_T0_XT2_EXT3_EEENS1_16TensorSizeStrideIS8_Lj4EEEiS8_,@function
_ZN2at6native12_GLOBAL__N_130CatArrayBatchedCopy_vectorizedINS1_10OpaqueTypeILj8EEEjLi4ELi64ELi64ELi16ELi2EEEvPcNS1_25CatArrInputTensorMetadataIT_T0_XT2_EXT3_EEENS1_16TensorSizeStrideIS8_Lj4EEEiS8_: ; @_ZN2at6native12_GLOBAL__N_130CatArrayBatchedCopy_vectorizedINS1_10OpaqueTypeILj8EEEjLi4ELi64ELi64ELi16ELi2EEEvPcNS1_25CatArrInputTensorMetadataIT_T0_XT2_EXT3_EEENS1_16TensorSizeStrideIS8_Lj4EEEiS8_
; %bb.0:
	s_mov_b32 s12, s3
	s_load_dword s3, s[0:1], 0xd7c
	s_add_u32 s14, s0, 0xd70
	s_mov_b32 s13, 0
	s_addc_u32 s15, s1, 0
	s_lshl_b64 s[16:17], s[12:13], 2
	s_waitcnt lgkmcnt(0)
	s_and_b32 s19, s3, 0xffff
	s_add_u32 s4, s0, s16
	s_addc_u32 s5, s1, s17
	s_load_dword s6, s[4:5], 0x408
	s_mul_i32 s2, s2, s19
	v_add_u32_e32 v0, s2, v0
	s_add_u32 s2, s4, 8
	s_addc_u32 s3, s5, 0
	s_waitcnt lgkmcnt(0)
	s_lshr_b32 s18, s6, 1
	v_cmp_gt_u32_e32 vcc, s18, v0
	s_and_saveexec_b64 s[4:5], vcc
	s_cbranch_execz .LBB175_3
; %bb.1:
	s_add_u32 s2, s2, s16
	s_addc_u32 s3, s3, s17
	s_load_dwordx4 s[4:7], s[0:1], 0xd58
	s_load_dwordx2 s[20:21], s[0:1], 0xd68
	s_load_dwordx2 s[22:23], s[0:1], 0x0
	s_load_dwordx4 s[8:11], s[0:1], 0xd4c
	s_sub_u32 s0, 0, s16
	s_subb_u32 s1, 0, s17
	s_add_u32 s16, s2, s0
	s_addc_u32 s17, s3, s1
	s_waitcnt lgkmcnt(0)
	s_load_dword s11, s[16:17], 0x200
	s_load_dwordx2 s[0:1], s[2:3], 0x0
	s_load_dword s24, s[16:17], 0x300
	s_load_dword s25, s[14:15], 0x0
	s_mov_b64 s[2:3], 0
	s_waitcnt lgkmcnt(0)
	s_mul_i32 s11, s11, s21
	s_lshr_b32 s12, s11, 1
	s_mul_i32 s24, s24, s21
	s_lshr_b32 s16, s24, 1
	s_lshl_b64 s[14:15], s[12:13], 4
	s_cmp_eq_u32 s20, 3
	s_cselect_b32 s10, s16, s10
	v_cvt_f32_u32_e32 v1, s10
	s_cmp_eq_u32 s20, 2
	s_cselect_b32 s12, s16, s9
	s_cmp_eq_u32 s20, 1
	v_rcp_iflag_f32_e32 v1, v1
	v_cvt_f32_u32_e32 v2, s12
	s_cselect_b32 s13, s16, s8
	s_add_u32 s8, s22, s14
	v_mul_f32_e32 v1, 0x4f7ffffe, v1
	v_cvt_u32_f32_e32 v1, v1
	s_addc_u32 s9, s23, s15
	s_sub_i32 s14, 0, s10
	v_rcp_iflag_f32_e32 v4, v2
	v_mul_lo_u32 v3, s14, v1
	v_mul_hi_u32 v2, v1, v3
	v_cvt_f32_u32_e32 v3, s13
	v_add_u32_e32 v2, v1, v2
	v_mul_f32_e32 v1, 0x4f7ffffe, v4
	v_cvt_u32_f32_e32 v4, v1
	v_rcp_iflag_f32_e32 v3, v3
	s_sub_i32 s15, 0, s12
	s_mul_i32 s11, s25, s19
	v_mul_lo_u32 v5, s15, v4
	v_mul_f32_e32 v3, 0x4f7ffffe, v3
	v_cvt_u32_f32_e32 v6, v3
	v_mul_hi_u32 v3, v4, v5
	s_sub_i32 s15, 0, s13
	v_add_u32_e32 v3, v4, v3
	v_mul_lo_u32 v4, s15, v6
	v_mul_hi_u32 v4, v6, v4
	v_mov_b32_e32 v1, 0
	v_add_u32_e32 v4, v6, v4
.LBB175_2:                              ; =>This Inner Loop Header: Depth=1
	v_lshl_add_u64 v[6:7], v[0:1], 4, s[0:1]
	global_load_dwordx4 v[6:9], v[6:7], off
	v_mul_hi_u32 v5, v2, v0
	v_mul_lo_u32 v10, s10, v5
	v_not_b32_e32 v12, v5
	v_sub_u32_e32 v10, v0, v10
	v_add_u32_e32 v14, 1, v5
	v_mad_u64_u32 v[12:13], s[16:17], s10, v12, v[0:1]
	v_cmp_le_u32_e32 vcc, s10, v10
	v_mov_b32_e32 v11, v1
	s_nop 0
	v_cndmask_b32_e32 v5, v5, v14, vcc
	v_cndmask_b32_e32 v10, v10, v12, vcc
	v_add_u32_e32 v12, 1, v5
	v_cmp_le_u32_e32 vcc, s10, v10
	s_nop 1
	v_cndmask_b32_e32 v5, v5, v12, vcc
	v_mul_hi_u32 v14, v5, v3
	v_mad_u64_u32 v[12:13], s[16:17], s14, v5, v[0:1]
	v_add_u32_e32 v0, s11, v0
	v_mul_lo_u32 v13, v14, s12
	v_mul_lo_u32 v10, v12, s7
	v_cmp_le_u32_e32 vcc, s18, v0
	v_sub_u32_e32 v12, v5, v13
	v_add_u32_e32 v15, 1, v14
	s_or_b64 s[2:3], vcc, s[2:3]
	v_cmp_le_u32_e32 vcc, s12, v12
	s_nop 1
	v_cndmask_b32_e32 v13, v14, v15, vcc
	v_subrev_u32_e32 v14, s12, v12
	v_cndmask_b32_e32 v12, v12, v14, vcc
	v_add_u32_e32 v14, 1, v13
	v_cmp_le_u32_e32 vcc, s12, v12
	s_nop 1
	v_cndmask_b32_e32 v14, v13, v14, vcc
	v_mul_lo_u32 v12, v14, s12
	v_mul_hi_u32 v13, v14, v4
	v_sub_u32_e32 v5, v5, v12
	v_mul_lo_u32 v12, v13, s13
	v_sub_u32_e32 v12, v14, v12
	v_add_u32_e32 v15, 1, v13
	v_cmp_le_u32_e32 vcc, s13, v12
	v_mul_lo_u32 v5, v5, s6
	s_nop 0
	v_cndmask_b32_e32 v13, v13, v15, vcc
	v_subrev_u32_e32 v15, s13, v12
	v_cndmask_b32_e32 v12, v12, v15, vcc
	v_add_u32_e32 v15, 1, v13
	v_cmp_le_u32_e32 vcc, s13, v12
	s_nop 1
	v_cndmask_b32_e32 v12, v13, v15, vcc
	v_mul_lo_u32 v15, v12, s13
	v_mad_u64_u32 v[12:13], s[16:17], v12, s4, v[10:11]
	v_sub_u32_e32 v10, v14, v15
	v_mul_lo_u32 v10, v10, s5
	v_add3_u32 v10, v12, v5, v10
	v_lshl_add_u64 v[10:11], v[10:11], 4, s[8:9]
	s_waitcnt vmcnt(0)
	global_store_dwordx4 v[10:11], v[6:9], off
	s_andn2_b64 exec, exec, s[2:3]
	s_cbranch_execnz .LBB175_2
.LBB175_3:
	s_endpgm
	.section	.rodata,"a",@progbits
	.p2align	6, 0x0
	.amdhsa_kernel _ZN2at6native12_GLOBAL__N_130CatArrayBatchedCopy_vectorizedINS1_10OpaqueTypeILj8EEEjLi4ELi64ELi64ELi16ELi2EEEvPcNS1_25CatArrInputTensorMetadataIT_T0_XT2_EXT3_EEENS1_16TensorSizeStrideIS8_Lj4EEEiS8_
		.amdhsa_group_segment_fixed_size 0
		.amdhsa_private_segment_fixed_size 0
		.amdhsa_kernarg_size 3696
		.amdhsa_user_sgpr_count 2
		.amdhsa_user_sgpr_dispatch_ptr 0
		.amdhsa_user_sgpr_queue_ptr 0
		.amdhsa_user_sgpr_kernarg_segment_ptr 1
		.amdhsa_user_sgpr_dispatch_id 0
		.amdhsa_user_sgpr_kernarg_preload_length 0
		.amdhsa_user_sgpr_kernarg_preload_offset 0
		.amdhsa_user_sgpr_private_segment_size 0
		.amdhsa_uses_dynamic_stack 0
		.amdhsa_enable_private_segment 0
		.amdhsa_system_sgpr_workgroup_id_x 1
		.amdhsa_system_sgpr_workgroup_id_y 1
		.amdhsa_system_sgpr_workgroup_id_z 0
		.amdhsa_system_sgpr_workgroup_info 0
		.amdhsa_system_vgpr_workitem_id 0
		.amdhsa_next_free_vgpr 16
		.amdhsa_next_free_sgpr 26
		.amdhsa_accum_offset 16
		.amdhsa_reserve_vcc 1
		.amdhsa_float_round_mode_32 0
		.amdhsa_float_round_mode_16_64 0
		.amdhsa_float_denorm_mode_32 3
		.amdhsa_float_denorm_mode_16_64 3
		.amdhsa_dx10_clamp 1
		.amdhsa_ieee_mode 1
		.amdhsa_fp16_overflow 0
		.amdhsa_tg_split 0
		.amdhsa_exception_fp_ieee_invalid_op 0
		.amdhsa_exception_fp_denorm_src 0
		.amdhsa_exception_fp_ieee_div_zero 0
		.amdhsa_exception_fp_ieee_overflow 0
		.amdhsa_exception_fp_ieee_underflow 0
		.amdhsa_exception_fp_ieee_inexact 0
		.amdhsa_exception_int_div_zero 0
	.end_amdhsa_kernel
	.section	.text._ZN2at6native12_GLOBAL__N_130CatArrayBatchedCopy_vectorizedINS1_10OpaqueTypeILj8EEEjLi4ELi64ELi64ELi16ELi2EEEvPcNS1_25CatArrInputTensorMetadataIT_T0_XT2_EXT3_EEENS1_16TensorSizeStrideIS8_Lj4EEEiS8_,"axG",@progbits,_ZN2at6native12_GLOBAL__N_130CatArrayBatchedCopy_vectorizedINS1_10OpaqueTypeILj8EEEjLi4ELi64ELi64ELi16ELi2EEEvPcNS1_25CatArrInputTensorMetadataIT_T0_XT2_EXT3_EEENS1_16TensorSizeStrideIS8_Lj4EEEiS8_,comdat
.Lfunc_end175:
	.size	_ZN2at6native12_GLOBAL__N_130CatArrayBatchedCopy_vectorizedINS1_10OpaqueTypeILj8EEEjLi4ELi64ELi64ELi16ELi2EEEvPcNS1_25CatArrInputTensorMetadataIT_T0_XT2_EXT3_EEENS1_16TensorSizeStrideIS8_Lj4EEEiS8_, .Lfunc_end175-_ZN2at6native12_GLOBAL__N_130CatArrayBatchedCopy_vectorizedINS1_10OpaqueTypeILj8EEEjLi4ELi64ELi64ELi16ELi2EEEvPcNS1_25CatArrInputTensorMetadataIT_T0_XT2_EXT3_EEENS1_16TensorSizeStrideIS8_Lj4EEEiS8_
                                        ; -- End function
	.set _ZN2at6native12_GLOBAL__N_130CatArrayBatchedCopy_vectorizedINS1_10OpaqueTypeILj8EEEjLi4ELi64ELi64ELi16ELi2EEEvPcNS1_25CatArrInputTensorMetadataIT_T0_XT2_EXT3_EEENS1_16TensorSizeStrideIS8_Lj4EEEiS8_.num_vgpr, 16
	.set _ZN2at6native12_GLOBAL__N_130CatArrayBatchedCopy_vectorizedINS1_10OpaqueTypeILj8EEEjLi4ELi64ELi64ELi16ELi2EEEvPcNS1_25CatArrInputTensorMetadataIT_T0_XT2_EXT3_EEENS1_16TensorSizeStrideIS8_Lj4EEEiS8_.num_agpr, 0
	.set _ZN2at6native12_GLOBAL__N_130CatArrayBatchedCopy_vectorizedINS1_10OpaqueTypeILj8EEEjLi4ELi64ELi64ELi16ELi2EEEvPcNS1_25CatArrInputTensorMetadataIT_T0_XT2_EXT3_EEENS1_16TensorSizeStrideIS8_Lj4EEEiS8_.numbered_sgpr, 26
	.set _ZN2at6native12_GLOBAL__N_130CatArrayBatchedCopy_vectorizedINS1_10OpaqueTypeILj8EEEjLi4ELi64ELi64ELi16ELi2EEEvPcNS1_25CatArrInputTensorMetadataIT_T0_XT2_EXT3_EEENS1_16TensorSizeStrideIS8_Lj4EEEiS8_.num_named_barrier, 0
	.set _ZN2at6native12_GLOBAL__N_130CatArrayBatchedCopy_vectorizedINS1_10OpaqueTypeILj8EEEjLi4ELi64ELi64ELi16ELi2EEEvPcNS1_25CatArrInputTensorMetadataIT_T0_XT2_EXT3_EEENS1_16TensorSizeStrideIS8_Lj4EEEiS8_.private_seg_size, 0
	.set _ZN2at6native12_GLOBAL__N_130CatArrayBatchedCopy_vectorizedINS1_10OpaqueTypeILj8EEEjLi4ELi64ELi64ELi16ELi2EEEvPcNS1_25CatArrInputTensorMetadataIT_T0_XT2_EXT3_EEENS1_16TensorSizeStrideIS8_Lj4EEEiS8_.uses_vcc, 1
	.set _ZN2at6native12_GLOBAL__N_130CatArrayBatchedCopy_vectorizedINS1_10OpaqueTypeILj8EEEjLi4ELi64ELi64ELi16ELi2EEEvPcNS1_25CatArrInputTensorMetadataIT_T0_XT2_EXT3_EEENS1_16TensorSizeStrideIS8_Lj4EEEiS8_.uses_flat_scratch, 0
	.set _ZN2at6native12_GLOBAL__N_130CatArrayBatchedCopy_vectorizedINS1_10OpaqueTypeILj8EEEjLi4ELi64ELi64ELi16ELi2EEEvPcNS1_25CatArrInputTensorMetadataIT_T0_XT2_EXT3_EEENS1_16TensorSizeStrideIS8_Lj4EEEiS8_.has_dyn_sized_stack, 0
	.set _ZN2at6native12_GLOBAL__N_130CatArrayBatchedCopy_vectorizedINS1_10OpaqueTypeILj8EEEjLi4ELi64ELi64ELi16ELi2EEEvPcNS1_25CatArrInputTensorMetadataIT_T0_XT2_EXT3_EEENS1_16TensorSizeStrideIS8_Lj4EEEiS8_.has_recursion, 0
	.set _ZN2at6native12_GLOBAL__N_130CatArrayBatchedCopy_vectorizedINS1_10OpaqueTypeILj8EEEjLi4ELi64ELi64ELi16ELi2EEEvPcNS1_25CatArrInputTensorMetadataIT_T0_XT2_EXT3_EEENS1_16TensorSizeStrideIS8_Lj4EEEiS8_.has_indirect_call, 0
	.section	.AMDGPU.csdata,"",@progbits
; Kernel info:
; codeLenInByte = 712
; TotalNumSgprs: 32
; NumVgprs: 16
; NumAgprs: 0
; TotalNumVgprs: 16
; ScratchSize: 0
; MemoryBound: 0
; FloatMode: 240
; IeeeMode: 1
; LDSByteSize: 0 bytes/workgroup (compile time only)
; SGPRBlocks: 3
; VGPRBlocks: 1
; NumSGPRsForWavesPerEU: 32
; NumVGPRsForWavesPerEU: 16
; AccumOffset: 16
; Occupancy: 8
; WaveLimiterHint : 1
; COMPUTE_PGM_RSRC2:SCRATCH_EN: 0
; COMPUTE_PGM_RSRC2:USER_SGPR: 2
; COMPUTE_PGM_RSRC2:TRAP_HANDLER: 0
; COMPUTE_PGM_RSRC2:TGID_X_EN: 1
; COMPUTE_PGM_RSRC2:TGID_Y_EN: 1
; COMPUTE_PGM_RSRC2:TGID_Z_EN: 0
; COMPUTE_PGM_RSRC2:TIDIG_COMP_CNT: 0
; COMPUTE_PGM_RSRC3_GFX90A:ACCUM_OFFSET: 3
; COMPUTE_PGM_RSRC3_GFX90A:TG_SPLIT: 0
	.section	.text._ZN2at6native12_GLOBAL__N_135CatArrayBatchedCopy_alignedK_contigINS1_10OpaqueTypeILj8EEEjLi4ELi64ELi64ELi16EEEvPT_NS1_25CatArrInputTensorMetadataIS5_T0_XT2_EXT3_EEENS1_16TensorSizeStrideIS8_Lj4EEEiS8_,"axG",@progbits,_ZN2at6native12_GLOBAL__N_135CatArrayBatchedCopy_alignedK_contigINS1_10OpaqueTypeILj8EEEjLi4ELi64ELi64ELi16EEEvPT_NS1_25CatArrInputTensorMetadataIS5_T0_XT2_EXT3_EEENS1_16TensorSizeStrideIS8_Lj4EEEiS8_,comdat
	.globl	_ZN2at6native12_GLOBAL__N_135CatArrayBatchedCopy_alignedK_contigINS1_10OpaqueTypeILj8EEEjLi4ELi64ELi64ELi16EEEvPT_NS1_25CatArrInputTensorMetadataIS5_T0_XT2_EXT3_EEENS1_16TensorSizeStrideIS8_Lj4EEEiS8_ ; -- Begin function _ZN2at6native12_GLOBAL__N_135CatArrayBatchedCopy_alignedK_contigINS1_10OpaqueTypeILj8EEEjLi4ELi64ELi64ELi16EEEvPT_NS1_25CatArrInputTensorMetadataIS5_T0_XT2_EXT3_EEENS1_16TensorSizeStrideIS8_Lj4EEEiS8_
	.p2align	8
	.type	_ZN2at6native12_GLOBAL__N_135CatArrayBatchedCopy_alignedK_contigINS1_10OpaqueTypeILj8EEEjLi4ELi64ELi64ELi16EEEvPT_NS1_25CatArrInputTensorMetadataIS5_T0_XT2_EXT3_EEENS1_16TensorSizeStrideIS8_Lj4EEEiS8_,@function
_ZN2at6native12_GLOBAL__N_135CatArrayBatchedCopy_alignedK_contigINS1_10OpaqueTypeILj8EEEjLi4ELi64ELi64ELi16EEEvPT_NS1_25CatArrInputTensorMetadataIS5_T0_XT2_EXT3_EEENS1_16TensorSizeStrideIS8_Lj4EEEiS8_: ; @_ZN2at6native12_GLOBAL__N_135CatArrayBatchedCopy_alignedK_contigINS1_10OpaqueTypeILj8EEEjLi4ELi64ELi64ELi16EEEvPT_NS1_25CatArrInputTensorMetadataIS5_T0_XT2_EXT3_EEENS1_16TensorSizeStrideIS8_Lj4EEEiS8_
; %bb.0:
	s_mov_b32 s4, s3
	s_load_dword s3, s[0:1], 0xd7c
	s_add_u32 s18, s0, 0xd70
	s_mov_b32 s5, 0
	s_addc_u32 s19, s1, 0
	s_lshl_b64 s[4:5], s[4:5], 2
	s_waitcnt lgkmcnt(0)
	s_and_b32 s23, s3, 0xffff
	s_add_u32 s6, s0, s4
	s_addc_u32 s7, s1, s5
	s_load_dword s20, s[6:7], 0x408
	s_mul_i32 s2, s2, s23
	v_add_lshl_u32 v0, s2, v0, 1
	s_add_u32 s6, s6, 8
	s_addc_u32 s7, s7, 0
	s_waitcnt lgkmcnt(0)
	v_cmp_gt_u32_e32 vcc, s20, v0
	s_and_saveexec_b64 s[2:3], vcc
	s_cbranch_execz .LBB176_8
; %bb.1:
	s_add_u32 s14, s6, s4
	s_addc_u32 s15, s7, s5
	s_sub_u32 s4, 0, s4
	s_load_dwordx2 s[2:3], s[0:1], 0x0
	s_subb_u32 s5, 0, s5
	s_add_u32 s16, s14, s4
	s_addc_u32 s17, s15, s5
	s_load_dword s21, s[0:1], 0xd6c
	s_load_dword s24, s[16:17], 0x200
	s_load_dwordx8 s[4:11], s[0:1], 0xd4c
	s_load_dwordx2 s[12:13], s[14:15], 0x0
	s_load_dword s22, s[16:17], 0x300
	v_add_u32_e32 v1, 2, v0
	s_mov_b64 s[14:15], 0
	s_waitcnt lgkmcnt(0)
	s_mul_i32 s21, s24, s21
	v_cmp_ge_u32_e32 vcc, s20, v1
	s_and_saveexec_b64 s[16:17], vcc
	s_cbranch_execz .LBB176_5
; %bb.2:
	s_load_dword s0, s[18:19], 0x0
	v_mov_b32_e32 v1, 0
	s_waitcnt lgkmcnt(0)
	s_mul_i32 s0, s0, s23
	s_lshl_b32 s18, s0, 1
	s_cmp_eq_u32 s11, 3
	s_cselect_b32 s19, s22, s6
	s_cmp_eq_u32 s11, 2
	v_cvt_f32_u32_e32 v2, s19
	s_cselect_b32 s23, s22, s5
	s_cmp_eq_u32 s11, 1
	v_cvt_f32_u32_e32 v3, s23
	s_cselect_b32 s24, s22, s4
	v_rcp_iflag_f32_e32 v2, v2
	v_cvt_f32_u32_e32 v4, s24
	v_rcp_iflag_f32_e32 v3, v3
	s_sub_i32 s25, 0, s19
	v_mul_f32_e32 v2, 0x4f7ffffe, v2
	v_rcp_iflag_f32_e32 v4, v4
	v_cvt_u32_f32_e32 v2, v2
	v_mul_f32_e32 v3, 0x4f7ffffe, v3
	v_cvt_u32_f32_e32 v3, v3
	v_mul_f32_e32 v4, 0x4f7ffffe, v4
	v_mul_lo_u32 v5, s25, v2
	v_cvt_u32_f32_e32 v4, v4
	s_sub_i32 s0, 0, s23
	v_mul_hi_u32 v5, v2, v5
	v_add_u32_e32 v2, v2, v5
	v_mul_lo_u32 v5, s0, v3
	v_mul_hi_u32 v5, v3, v5
	s_sub_i32 s0, 0, s24
	v_add_u32_e32 v3, v3, v5
	v_mul_lo_u32 v5, s0, v4
	v_mul_hi_u32 v5, v4, v5
	v_add_u32_e32 v4, v4, v5
	v_add_u32_e32 v5, 1, v0
.LBB176_3:                              ; =>This Inner Loop Header: Depth=1
	v_mul_hi_u32 v8, v2, v5
	v_add_u32_e32 v10, 1, v0
	v_lshl_add_u64 v[6:7], v[0:1], 3, s[12:13]
	v_mov_b32_e32 v11, v1
	v_not_b32_e32 v20, v8
	v_mad_u64_u32 v[16:17], s[0:1], s25, v8, v[10:11]
	global_load_dwordx4 v[6:9], v[6:7], off
	v_mul_hi_u32 v12, v2, v0
	v_not_b32_e32 v18, v12
	v_mad_u64_u32 v[14:15], s[0:1], s25, v12, v[0:1]
	v_add_u32_e32 v15, 1, v12
	v_mul_hi_u32 v22, v10, v2
	v_cmp_le_u32_e32 vcc, s19, v14
	v_mad_u64_u32 v[18:19], s[0:1], s19, v18, v[0:1]
	s_nop 0
	v_cndmask_b32_e32 v12, v12, v15, vcc
	v_add_u32_e32 v15, 1, v22
	v_cmp_le_u32_e64 s[0:1], s19, v16
	v_mad_u64_u32 v[20:21], s[26:27], s19, v20, v[10:11]
	v_cndmask_b32_e32 v10, v14, v18, vcc
	v_add_u32_e32 v14, 1, v12
	v_cndmask_b32_e64 v17, v22, v15, s[0:1]
	v_cndmask_b32_e64 v15, v16, v20, s[0:1]
	v_cmp_le_u32_e32 vcc, s19, v10
	v_mov_b32_e32 v13, v1
	v_add_u32_e32 v5, s18, v5
	v_cndmask_b32_e32 v10, v12, v14, vcc
	v_add_u32_e32 v12, 1, v17
	v_cmp_le_u32_e32 vcc, s19, v15
	v_mul_hi_u32 v16, v10, v3
	v_mad_u64_u32 v[14:15], s[0:1], s25, v10, v[0:1]
	v_cndmask_b32_e32 v12, v17, v12, vcc
	v_mul_lo_u32 v17, v16, s23
	v_mul_lo_u32 v19, v14, s10
	v_mad_u64_u32 v[14:15], s[0:1], s25, v12, v[0:1]
	v_mul_hi_u32 v20, v12, v3
	v_sub_u32_e32 v15, v10, v17
	v_add_u32_e32 v18, 1, v16
	v_add_u32_e32 v0, s18, v0
	v_mul_lo_u32 v17, v20, s23
	v_cmp_le_u32_e32 vcc, s23, v15
	v_add_u32_e32 v22, 2, v0
	v_sub_u32_e32 v17, v12, v17
	v_cndmask_b32_e32 v16, v16, v18, vcc
	v_subrev_u32_e32 v18, s23, v15
	v_add_u32_e32 v21, 1, v20
	v_cmp_lt_u32_e64 s[0:1], s20, v22
	v_cndmask_b32_e32 v15, v15, v18, vcc
	v_cmp_le_u32_e32 vcc, s23, v17
	v_add_u32_e32 v18, 1, v16
	s_or_b64 s[14:15], s[0:1], s[14:15]
	v_cndmask_b32_e32 v20, v20, v21, vcc
	v_subrev_u32_e32 v21, s23, v17
	v_cmp_le_u32_e64 s[0:1], s23, v15
	v_mul_lo_u32 v14, s10, v14
	v_add_u32_e32 v14, s10, v14
	v_cndmask_b32_e64 v15, v16, v18, s[0:1]
	v_cndmask_b32_e32 v16, v17, v21, vcc
	v_add_u32_e32 v17, 1, v20
	v_mul_hi_u32 v21, v15, v4
	v_cmp_le_u32_e32 vcc, s23, v16
	v_mul_lo_u32 v18, v15, s23
	v_sub_u32_e32 v10, v10, v18
	v_cndmask_b32_e32 v16, v20, v17, vcc
	v_mul_lo_u32 v17, v21, s24
	v_mul_lo_u32 v20, v16, s23
	v_mul_hi_u32 v22, v16, v4
	v_sub_u32_e32 v17, v15, v17
	v_add_u32_e32 v18, 1, v21
	v_sub_u32_e32 v12, v12, v20
	v_mul_lo_u32 v20, v22, s24
	v_cmp_le_u32_e32 vcc, s24, v17
	v_sub_u32_e32 v20, v16, v20
	v_add_u32_e32 v23, 1, v22
	v_cndmask_b32_e32 v18, v21, v18, vcc
	v_subrev_u32_e32 v21, s24, v17
	v_cndmask_b32_e32 v17, v17, v21, vcc
	v_cmp_le_u32_e32 vcc, s24, v20
	v_add_u32_e32 v21, 1, v18
	v_cmp_le_u32_e64 s[0:1], s24, v17
	v_cndmask_b32_e32 v22, v22, v23, vcc
	v_subrev_u32_e32 v23, s24, v20
	v_cndmask_b32_e64 v17, v18, v21, s[0:1]
	v_cndmask_b32_e32 v18, v20, v23, vcc
	v_add_u32_e32 v20, 1, v22
	v_cmp_le_u32_e32 vcc, s24, v18
	v_mul_lo_u32 v10, v10, s9
	v_mul_lo_u32 v21, v17, s24
	;; [unrolled: 1-line block ×3, first 2 shown]
	v_cndmask_b32_e32 v18, v22, v20, vcc
	v_sub_u32_e32 v15, v15, v21
	v_add3_u32 v10, v17, v19, v10
	v_mul_lo_u32 v17, v18, s24
	v_mul_lo_u32 v12, v12, s9
	;; [unrolled: 1-line block ×4, first 2 shown]
	v_sub_u32_e32 v16, v16, v17
	v_add3_u32 v12, v18, v14, v12
	v_mul_lo_u32 v14, v16, s8
	v_add3_u32 v10, v10, v15, s21
	v_lshl_add_u64 v[10:11], v[10:11], 3, s[2:3]
	v_add3_u32 v12, v12, v14, s21
	v_lshl_add_u64 v[12:13], v[12:13], 3, s[2:3]
	s_waitcnt vmcnt(0)
	global_store_dwordx2 v[10:11], v[6:7], off
	global_store_dwordx2 v[12:13], v[8:9], off
	s_andn2_b64 exec, exec, s[14:15]
	s_cbranch_execnz .LBB176_3
; %bb.4:
	s_or_b64 exec, exec, s[14:15]
.LBB176_5:
	s_or_b64 exec, exec, s[16:17]
	v_cmp_gt_u32_e32 vcc, s20, v0
	s_and_b64 exec, exec, vcc
	s_cbranch_execz .LBB176_8
; %bb.6:
	s_cmp_eq_u32 s11, 3
	s_cselect_b32 s6, s22, s6
	v_cvt_f32_u32_e32 v1, s6
	s_cmp_eq_u32 s11, 2
	s_cselect_b32 s5, s22, s5
	v_cvt_f32_u32_e32 v2, s5
	v_rcp_iflag_f32_e32 v1, v1
	s_cmp_eq_u32 s11, 1
	s_cselect_b32 s4, s22, s4
	v_cvt_f32_u32_e32 v5, s4
	v_mul_f32_e32 v1, 0x4f7ffffe, v1
	v_cvt_u32_f32_e32 v1, v1
	v_rcp_iflag_f32_e32 v2, v2
	s_sub_i32 s11, 0, s6
	s_sub_i32 s0, 0, s5
	v_mul_lo_u32 v4, s11, v1
	v_mul_hi_u32 v4, v1, v4
	v_add_u32_e32 v4, v1, v4
	v_mul_f32_e32 v1, 0x4f7ffffe, v2
	v_rcp_iflag_f32_e32 v2, v5
	v_cvt_u32_f32_e32 v1, v1
	v_mov_b32_e32 v3, 0
	v_mov_b32_e32 v5, v3
	v_mul_f32_e32 v2, 0x4f7ffffe, v2
	v_cvt_u32_f32_e32 v2, v2
	v_mul_lo_u32 v6, s0, v1
	v_mul_hi_u32 v6, v1, v6
	s_sub_i32 s0, 0, s4
	v_add_u32_e32 v10, v1, v6
	v_mul_lo_u32 v1, s0, v2
	v_mul_hi_u32 v1, v2, v1
	v_add_u32_e32 v11, v2, v1
	v_mov_b32_e32 v1, v3
	v_mad_u64_u32 v[6:7], s[0:1], v0, v4, 0
	v_lshl_add_u64 v[8:9], v[0:1], 3, s[12:13]
	s_mov_b64 s[0:1], 0
.LBB176_7:                              ; =>This Inner Loop Header: Depth=1
	global_load_dwordx2 v[12:13], v[8:9], off
	v_mul_lo_u32 v1, s6, v7
	v_not_b32_e32 v2, v7
	v_sub_u32_e32 v1, v0, v1
	v_add_u32_e32 v16, 1, v7
	v_mad_u64_u32 v[14:15], s[12:13], s6, v2, v[0:1]
	v_cmp_le_u32_e32 vcc, s6, v1
	v_lshl_add_u64 v[8:9], v[8:9], 0, 8
	s_nop 0
	v_cndmask_b32_e32 v2, v7, v16, vcc
	v_cndmask_b32_e32 v1, v1, v14, vcc
	v_add_u32_e32 v14, 1, v2
	v_cmp_le_u32_e32 vcc, s6, v1
	v_lshl_add_u64 v[6:7], v[6:7], 0, v[4:5]
	s_nop 0
	v_cndmask_b32_e32 v1, v2, v14, vcc
	v_mul_hi_u32 v2, v1, v10
	v_mad_u64_u32 v[14:15], s[12:13], s11, v1, v[0:1]
	v_add_u32_e32 v0, 1, v0
	v_mul_lo_u32 v15, v2, s5
	v_cmp_le_u32_e32 vcc, s20, v0
	v_sub_u32_e32 v15, v1, v15
	v_add_u32_e32 v16, 1, v2
	s_or_b64 s[0:1], vcc, s[0:1]
	v_cmp_le_u32_e32 vcc, s5, v15
	v_mul_lo_u32 v14, v14, s10
	s_nop 0
	v_cndmask_b32_e32 v2, v2, v16, vcc
	v_subrev_u32_e32 v16, s5, v15
	v_cndmask_b32_e32 v15, v15, v16, vcc
	v_add_u32_e32 v16, 1, v2
	v_cmp_le_u32_e32 vcc, s5, v15
	s_nop 1
	v_cndmask_b32_e32 v2, v2, v16, vcc
	v_mul_hi_u32 v15, v2, v11
	v_mul_lo_u32 v16, v2, s5
	v_mul_lo_u32 v17, v15, s4
	v_sub_u32_e32 v1, v1, v16
	v_sub_u32_e32 v16, v2, v17
	v_add_u32_e32 v18, 1, v15
	v_cmp_le_u32_e32 vcc, s4, v16
	v_subrev_u32_e32 v17, s4, v16
	v_mul_lo_u32 v1, v1, s9
	v_cndmask_b32_e32 v15, v15, v18, vcc
	v_cndmask_b32_e32 v16, v16, v17, vcc
	v_add_u32_e32 v17, 1, v15
	v_cmp_le_u32_e32 vcc, s4, v16
	s_nop 1
	v_cndmask_b32_e32 v15, v15, v17, vcc
	v_mul_lo_u32 v16, v15, s4
	v_mul_lo_u32 v15, v15, s7
	v_sub_u32_e32 v2, v2, v16
	v_add3_u32 v1, v15, v14, v1
	v_mul_lo_u32 v2, v2, s8
	v_add3_u32 v2, v1, v2, s21
	v_lshl_add_u64 v[14:15], v[2:3], 3, s[2:3]
	s_waitcnt vmcnt(0)
	global_store_dwordx2 v[14:15], v[12:13], off
	s_andn2_b64 exec, exec, s[0:1]
	s_cbranch_execnz .LBB176_7
.LBB176_8:
	s_endpgm
	.section	.rodata,"a",@progbits
	.p2align	6, 0x0
	.amdhsa_kernel _ZN2at6native12_GLOBAL__N_135CatArrayBatchedCopy_alignedK_contigINS1_10OpaqueTypeILj8EEEjLi4ELi64ELi64ELi16EEEvPT_NS1_25CatArrInputTensorMetadataIS5_T0_XT2_EXT3_EEENS1_16TensorSizeStrideIS8_Lj4EEEiS8_
		.amdhsa_group_segment_fixed_size 0
		.amdhsa_private_segment_fixed_size 0
		.amdhsa_kernarg_size 3696
		.amdhsa_user_sgpr_count 2
		.amdhsa_user_sgpr_dispatch_ptr 0
		.amdhsa_user_sgpr_queue_ptr 0
		.amdhsa_user_sgpr_kernarg_segment_ptr 1
		.amdhsa_user_sgpr_dispatch_id 0
		.amdhsa_user_sgpr_kernarg_preload_length 0
		.amdhsa_user_sgpr_kernarg_preload_offset 0
		.amdhsa_user_sgpr_private_segment_size 0
		.amdhsa_uses_dynamic_stack 0
		.amdhsa_enable_private_segment 0
		.amdhsa_system_sgpr_workgroup_id_x 1
		.amdhsa_system_sgpr_workgroup_id_y 1
		.amdhsa_system_sgpr_workgroup_id_z 0
		.amdhsa_system_sgpr_workgroup_info 0
		.amdhsa_system_vgpr_workitem_id 0
		.amdhsa_next_free_vgpr 24
		.amdhsa_next_free_sgpr 28
		.amdhsa_accum_offset 24
		.amdhsa_reserve_vcc 1
		.amdhsa_float_round_mode_32 0
		.amdhsa_float_round_mode_16_64 0
		.amdhsa_float_denorm_mode_32 3
		.amdhsa_float_denorm_mode_16_64 3
		.amdhsa_dx10_clamp 1
		.amdhsa_ieee_mode 1
		.amdhsa_fp16_overflow 0
		.amdhsa_tg_split 0
		.amdhsa_exception_fp_ieee_invalid_op 0
		.amdhsa_exception_fp_denorm_src 0
		.amdhsa_exception_fp_ieee_div_zero 0
		.amdhsa_exception_fp_ieee_overflow 0
		.amdhsa_exception_fp_ieee_underflow 0
		.amdhsa_exception_fp_ieee_inexact 0
		.amdhsa_exception_int_div_zero 0
	.end_amdhsa_kernel
	.section	.text._ZN2at6native12_GLOBAL__N_135CatArrayBatchedCopy_alignedK_contigINS1_10OpaqueTypeILj8EEEjLi4ELi64ELi64ELi16EEEvPT_NS1_25CatArrInputTensorMetadataIS5_T0_XT2_EXT3_EEENS1_16TensorSizeStrideIS8_Lj4EEEiS8_,"axG",@progbits,_ZN2at6native12_GLOBAL__N_135CatArrayBatchedCopy_alignedK_contigINS1_10OpaqueTypeILj8EEEjLi4ELi64ELi64ELi16EEEvPT_NS1_25CatArrInputTensorMetadataIS5_T0_XT2_EXT3_EEENS1_16TensorSizeStrideIS8_Lj4EEEiS8_,comdat
.Lfunc_end176:
	.size	_ZN2at6native12_GLOBAL__N_135CatArrayBatchedCopy_alignedK_contigINS1_10OpaqueTypeILj8EEEjLi4ELi64ELi64ELi16EEEvPT_NS1_25CatArrInputTensorMetadataIS5_T0_XT2_EXT3_EEENS1_16TensorSizeStrideIS8_Lj4EEEiS8_, .Lfunc_end176-_ZN2at6native12_GLOBAL__N_135CatArrayBatchedCopy_alignedK_contigINS1_10OpaqueTypeILj8EEEjLi4ELi64ELi64ELi16EEEvPT_NS1_25CatArrInputTensorMetadataIS5_T0_XT2_EXT3_EEENS1_16TensorSizeStrideIS8_Lj4EEEiS8_
                                        ; -- End function
	.set _ZN2at6native12_GLOBAL__N_135CatArrayBatchedCopy_alignedK_contigINS1_10OpaqueTypeILj8EEEjLi4ELi64ELi64ELi16EEEvPT_NS1_25CatArrInputTensorMetadataIS5_T0_XT2_EXT3_EEENS1_16TensorSizeStrideIS8_Lj4EEEiS8_.num_vgpr, 24
	.set _ZN2at6native12_GLOBAL__N_135CatArrayBatchedCopy_alignedK_contigINS1_10OpaqueTypeILj8EEEjLi4ELi64ELi64ELi16EEEvPT_NS1_25CatArrInputTensorMetadataIS5_T0_XT2_EXT3_EEENS1_16TensorSizeStrideIS8_Lj4EEEiS8_.num_agpr, 0
	.set _ZN2at6native12_GLOBAL__N_135CatArrayBatchedCopy_alignedK_contigINS1_10OpaqueTypeILj8EEEjLi4ELi64ELi64ELi16EEEvPT_NS1_25CatArrInputTensorMetadataIS5_T0_XT2_EXT3_EEENS1_16TensorSizeStrideIS8_Lj4EEEiS8_.numbered_sgpr, 28
	.set _ZN2at6native12_GLOBAL__N_135CatArrayBatchedCopy_alignedK_contigINS1_10OpaqueTypeILj8EEEjLi4ELi64ELi64ELi16EEEvPT_NS1_25CatArrInputTensorMetadataIS5_T0_XT2_EXT3_EEENS1_16TensorSizeStrideIS8_Lj4EEEiS8_.num_named_barrier, 0
	.set _ZN2at6native12_GLOBAL__N_135CatArrayBatchedCopy_alignedK_contigINS1_10OpaqueTypeILj8EEEjLi4ELi64ELi64ELi16EEEvPT_NS1_25CatArrInputTensorMetadataIS5_T0_XT2_EXT3_EEENS1_16TensorSizeStrideIS8_Lj4EEEiS8_.private_seg_size, 0
	.set _ZN2at6native12_GLOBAL__N_135CatArrayBatchedCopy_alignedK_contigINS1_10OpaqueTypeILj8EEEjLi4ELi64ELi64ELi16EEEvPT_NS1_25CatArrInputTensorMetadataIS5_T0_XT2_EXT3_EEENS1_16TensorSizeStrideIS8_Lj4EEEiS8_.uses_vcc, 1
	.set _ZN2at6native12_GLOBAL__N_135CatArrayBatchedCopy_alignedK_contigINS1_10OpaqueTypeILj8EEEjLi4ELi64ELi64ELi16EEEvPT_NS1_25CatArrInputTensorMetadataIS5_T0_XT2_EXT3_EEENS1_16TensorSizeStrideIS8_Lj4EEEiS8_.uses_flat_scratch, 0
	.set _ZN2at6native12_GLOBAL__N_135CatArrayBatchedCopy_alignedK_contigINS1_10OpaqueTypeILj8EEEjLi4ELi64ELi64ELi16EEEvPT_NS1_25CatArrInputTensorMetadataIS5_T0_XT2_EXT3_EEENS1_16TensorSizeStrideIS8_Lj4EEEiS8_.has_dyn_sized_stack, 0
	.set _ZN2at6native12_GLOBAL__N_135CatArrayBatchedCopy_alignedK_contigINS1_10OpaqueTypeILj8EEEjLi4ELi64ELi64ELi16EEEvPT_NS1_25CatArrInputTensorMetadataIS5_T0_XT2_EXT3_EEENS1_16TensorSizeStrideIS8_Lj4EEEiS8_.has_recursion, 0
	.set _ZN2at6native12_GLOBAL__N_135CatArrayBatchedCopy_alignedK_contigINS1_10OpaqueTypeILj8EEEjLi4ELi64ELi64ELi16EEEvPT_NS1_25CatArrInputTensorMetadataIS5_T0_XT2_EXT3_EEENS1_16TensorSizeStrideIS8_Lj4EEEiS8_.has_indirect_call, 0
	.section	.AMDGPU.csdata,"",@progbits
; Kernel info:
; codeLenInByte = 1532
; TotalNumSgprs: 34
; NumVgprs: 24
; NumAgprs: 0
; TotalNumVgprs: 24
; ScratchSize: 0
; MemoryBound: 0
; FloatMode: 240
; IeeeMode: 1
; LDSByteSize: 0 bytes/workgroup (compile time only)
; SGPRBlocks: 4
; VGPRBlocks: 2
; NumSGPRsForWavesPerEU: 34
; NumVGPRsForWavesPerEU: 24
; AccumOffset: 24
; Occupancy: 8
; WaveLimiterHint : 1
; COMPUTE_PGM_RSRC2:SCRATCH_EN: 0
; COMPUTE_PGM_RSRC2:USER_SGPR: 2
; COMPUTE_PGM_RSRC2:TRAP_HANDLER: 0
; COMPUTE_PGM_RSRC2:TGID_X_EN: 1
; COMPUTE_PGM_RSRC2:TGID_Y_EN: 1
; COMPUTE_PGM_RSRC2:TGID_Z_EN: 0
; COMPUTE_PGM_RSRC2:TIDIG_COMP_CNT: 0
; COMPUTE_PGM_RSRC3_GFX90A:ACCUM_OFFSET: 5
; COMPUTE_PGM_RSRC3_GFX90A:TG_SPLIT: 0
	.section	.text._ZN2at6native12_GLOBAL__N_135CatArrayBatchedCopy_alignedK_contigINS1_10OpaqueTypeILj8EEEjLi4ELi64ELi64ELi8EEEvPT_NS1_25CatArrInputTensorMetadataIS5_T0_XT2_EXT3_EEENS1_16TensorSizeStrideIS8_Lj4EEEiS8_,"axG",@progbits,_ZN2at6native12_GLOBAL__N_135CatArrayBatchedCopy_alignedK_contigINS1_10OpaqueTypeILj8EEEjLi4ELi64ELi64ELi8EEEvPT_NS1_25CatArrInputTensorMetadataIS5_T0_XT2_EXT3_EEENS1_16TensorSizeStrideIS8_Lj4EEEiS8_,comdat
	.globl	_ZN2at6native12_GLOBAL__N_135CatArrayBatchedCopy_alignedK_contigINS1_10OpaqueTypeILj8EEEjLi4ELi64ELi64ELi8EEEvPT_NS1_25CatArrInputTensorMetadataIS5_T0_XT2_EXT3_EEENS1_16TensorSizeStrideIS8_Lj4EEEiS8_ ; -- Begin function _ZN2at6native12_GLOBAL__N_135CatArrayBatchedCopy_alignedK_contigINS1_10OpaqueTypeILj8EEEjLi4ELi64ELi64ELi8EEEvPT_NS1_25CatArrInputTensorMetadataIS5_T0_XT2_EXT3_EEENS1_16TensorSizeStrideIS8_Lj4EEEiS8_
	.p2align	8
	.type	_ZN2at6native12_GLOBAL__N_135CatArrayBatchedCopy_alignedK_contigINS1_10OpaqueTypeILj8EEEjLi4ELi64ELi64ELi8EEEvPT_NS1_25CatArrInputTensorMetadataIS5_T0_XT2_EXT3_EEENS1_16TensorSizeStrideIS8_Lj4EEEiS8_,@function
_ZN2at6native12_GLOBAL__N_135CatArrayBatchedCopy_alignedK_contigINS1_10OpaqueTypeILj8EEEjLi4ELi64ELi64ELi8EEEvPT_NS1_25CatArrInputTensorMetadataIS5_T0_XT2_EXT3_EEENS1_16TensorSizeStrideIS8_Lj4EEEiS8_: ; @_ZN2at6native12_GLOBAL__N_135CatArrayBatchedCopy_alignedK_contigINS1_10OpaqueTypeILj8EEEjLi4ELi64ELi64ELi8EEEvPT_NS1_25CatArrInputTensorMetadataIS5_T0_XT2_EXT3_EEENS1_16TensorSizeStrideIS8_Lj4EEEiS8_
; %bb.0:
	s_mov_b32 s4, s3
	s_load_dword s3, s[0:1], 0xd7c
	s_add_u32 s14, s0, 0xd70
	s_mov_b32 s5, 0
	s_addc_u32 s15, s1, 0
	s_lshl_b64 s[12:13], s[4:5], 2
	s_waitcnt lgkmcnt(0)
	s_and_b32 s18, s3, 0xffff
	s_add_u32 s4, s0, s12
	s_addc_u32 s5, s1, s13
	s_load_dword s16, s[4:5], 0x408
	s_mul_i32 s2, s2, s18
	v_add_u32_e32 v2, s2, v0
	s_add_u32 s2, s4, 8
	s_addc_u32 s3, s5, 0
	s_waitcnt lgkmcnt(0)
	v_cmp_gt_u32_e32 vcc, s16, v2
	s_and_saveexec_b64 s[4:5], vcc
	s_cbranch_execz .LBB177_6
; %bb.1:
	s_add_u32 s20, s2, s12
	s_load_dwordx8 s[4:11], s[0:1], 0xd4c
	s_addc_u32 s21, s3, s13
	s_sub_u32 s2, 0, s12
	s_subb_u32 s3, 0, s13
	s_add_u32 s22, s20, s2
	s_addc_u32 s23, s21, s3
	s_load_dword s19, s[0:1], 0xd6c
	s_load_dwordx2 s[12:13], s[20:21], 0x0
	s_load_dword s17, s[22:23], 0x300
	s_load_dword s24, s[22:23], 0x200
	;; [unrolled: 1-line block ×3, first 2 shown]
	s_load_dwordx2 s[2:3], s[0:1], 0x0
	s_waitcnt lgkmcnt(0)
	s_cmp_eq_u32 s11, 3
	s_cselect_b32 s6, s17, s6
	v_cvt_f32_u32_e32 v0, s6
	s_cmp_eq_u32 s11, 2
	s_mul_i32 s14, s24, s19
	s_cselect_b32 s19, s17, s5
	v_rcp_iflag_f32_e32 v0, v0
	s_cmp_eq_u32 s11, 1
	s_cselect_b32 s20, s17, s4
	s_sub_i32 s15, 0, s6
	v_mul_f32_e32 v0, 0x4f7ffffe, v0
	v_cvt_u32_f32_e32 v0, v0
	v_cvt_f32_u32_e32 v1, s19
	s_sub_i32 s21, 0, s19
	v_mov_b32_e32 v5, 0
	v_mul_lo_u32 v3, s15, v0
	v_mul_hi_u32 v3, v0, v3
	v_add_u32_e32 v0, v0, v3
	v_cvt_f32_u32_e32 v3, s20
	v_rcp_iflag_f32_e32 v1, v1
	s_mul_i32 s18, s25, s18
	s_mov_b64 s[0:1], 0
	v_rcp_iflag_f32_e32 v3, v3
	v_mul_f32_e32 v1, 0x4f7ffffe, v1
	v_cvt_u32_f32_e32 v4, v1
	v_mov_b32_e32 v1, v5
	v_mul_f32_e32 v3, 0x4f7ffffe, v3
	v_cvt_u32_f32_e32 v7, v3
	v_mul_lo_u32 v6, s21, v4
	v_mul_hi_u32 v3, v4, v6
	s_sub_i32 s21, 0, s20
	v_add_u32_e32 v3, v4, v3
	v_mul_lo_u32 v4, s21, v7
	v_mul_hi_u32 v4, v7, v4
	v_add_u32_e32 v7, v7, v4
	v_add_u32_e32 v6, 1, v2
.LBB177_2:                              ; =>This Inner Loop Header: Depth=1
	v_add_u32_e32 v4, -1, v6
	v_lshl_add_u64 v[8:9], v[4:5], 3, s[12:13]
	global_load_dwordx2 v[8:9], v[8:9], off
	v_mul_hi_u32 v10, v0, v2
	v_add_u32_e32 v6, s18, v6
	v_mul_lo_u32 v11, s6, v10
	v_not_b32_e32 v10, v10
	v_mul_hi_u32 v12, v4, v0
	v_cmp_lt_u32_e32 vcc, s16, v6
	v_sub_u32_e32 v13, v2, v11
	v_mad_u64_u32 v[10:11], s[22:23], s6, v10, v[2:3]
	v_add_u32_e32 v11, 1, v12
	s_or_b64 s[0:1], vcc, s[0:1]
	v_cmp_le_u32_e32 vcc, s6, v13
	v_add_u32_e32 v2, s18, v2
	s_nop 0
	v_cndmask_b32_e32 v11, v12, v11, vcc
	v_cndmask_b32_e32 v10, v13, v10, vcc
	v_add_u32_e32 v12, 1, v11
	v_cmp_le_u32_e32 vcc, s6, v10
	s_nop 1
	v_cndmask_b32_e32 v12, v11, v12, vcc
	v_mul_hi_u32 v13, v12, v3
	v_mad_u64_u32 v[10:11], s[22:23], s15, v12, v[4:5]
	v_mul_lo_u32 v4, v13, s19
	v_sub_u32_e32 v4, v12, v4
	v_add_u32_e32 v11, 1, v13
	v_cmp_le_u32_e32 vcc, s19, v4
	v_mul_lo_u32 v10, v10, s10
	s_nop 0
	v_cndmask_b32_e32 v11, v13, v11, vcc
	v_subrev_u32_e32 v13, s19, v4
	v_cndmask_b32_e32 v4, v4, v13, vcc
	v_add_u32_e32 v13, 1, v11
	v_cmp_le_u32_e32 vcc, s19, v4
	s_nop 1
	v_cndmask_b32_e32 v4, v11, v13, vcc
	v_mul_lo_u32 v11, v4, s19
	v_mul_hi_u32 v13, v4, v7
	v_sub_u32_e32 v11, v12, v11
	v_mul_lo_u32 v12, v13, s20
	v_sub_u32_e32 v12, v4, v12
	v_add_u32_e32 v14, 1, v13
	v_cmp_le_u32_e32 vcc, s20, v12
	v_mul_lo_u32 v11, v11, s9
	s_nop 0
	v_cndmask_b32_e32 v13, v13, v14, vcc
	v_subrev_u32_e32 v14, s20, v12
	v_cndmask_b32_e32 v12, v12, v14, vcc
	v_add_u32_e32 v14, 1, v13
	v_cmp_le_u32_e32 vcc, s20, v12
	s_nop 1
	v_cndmask_b32_e32 v12, v13, v14, vcc
	v_mul_lo_u32 v13, v12, s20
	v_mul_lo_u32 v12, v12, s7
	v_sub_u32_e32 v4, v4, v13
	v_add3_u32 v10, v12, v10, v11
	v_mul_lo_u32 v4, v4, s8
	v_add3_u32 v4, v10, v4, s14
	v_lshl_add_u64 v[10:11], v[4:5], 3, s[2:3]
	s_waitcnt vmcnt(0)
	global_store_dwordx2 v[10:11], v[8:9], off
	s_andn2_b64 exec, exec, s[0:1]
	s_cbranch_execnz .LBB177_2
; %bb.3:
	s_or_b64 exec, exec, s[0:1]
	v_add_u32_e32 v2, -1, v6
	v_cmp_gt_u32_e32 vcc, s16, v2
	s_and_b64 exec, exec, vcc
	s_cbranch_execz .LBB177_6
; %bb.4:
	s_cmp_eq_u32 s11, 2
	s_cselect_b32 s5, s17, s5
	v_cvt_f32_u32_e32 v3, s5
	s_cmp_eq_u32 s11, 1
	s_cselect_b32 s4, s17, s4
	v_cvt_f32_u32_e32 v4, s4
	v_rcp_iflag_f32_e32 v3, v3
	s_sub_i32 s0, 0, s5
	s_sub_i32 s1, 0, s4
	v_rcp_iflag_f32_e32 v4, v4
	v_mul_f32_e32 v3, 0x4f7ffffe, v3
	v_cvt_u32_f32_e32 v3, v3
	v_mov_b32_e32 v5, 0
	v_mul_f32_e32 v4, 0x4f7ffffe, v4
	v_cvt_u32_f32_e32 v4, v4
	v_mul_lo_u32 v6, s0, v3
	v_mul_hi_u32 v6, v3, v6
	v_add_u32_e32 v10, v3, v6
	v_mul_lo_u32 v3, s1, v4
	v_mul_hi_u32 v3, v4, v3
	v_add_u32_e32 v11, v4, v3
	v_mov_b32_e32 v3, v5
	v_mad_u64_u32 v[6:7], s[0:1], v0, v2, 0
	v_lshl_add_u64 v[8:9], v[2:3], 3, s[12:13]
	s_mov_b64 s[0:1], 0
.LBB177_5:                              ; =>This Inner Loop Header: Depth=1
	global_load_dwordx2 v[12:13], v[8:9], off
	v_not_b32_e32 v3, v7
	v_mul_lo_u32 v4, s6, v7
	v_mad_u64_u32 v[14:15], s[12:13], s6, v3, v[2:3]
	v_sub_u32_e32 v3, v2, v4
	v_add_u32_e32 v16, 1, v7
	v_cmp_le_u32_e32 vcc, s6, v3
	v_lshl_add_u64 v[8:9], v[8:9], 0, 8
	s_nop 0
	v_cndmask_b32_e32 v4, v7, v16, vcc
	v_cndmask_b32_e32 v3, v3, v14, vcc
	v_add_u32_e32 v14, 1, v4
	v_cmp_le_u32_e32 vcc, s6, v3
	v_lshl_add_u64 v[6:7], v[6:7], 0, v[0:1]
	s_nop 0
	v_cndmask_b32_e32 v3, v4, v14, vcc
	v_mul_hi_u32 v4, v3, v10
	v_mad_u64_u32 v[14:15], s[12:13], s15, v3, v[2:3]
	v_add_u32_e32 v2, 1, v2
	v_mul_lo_u32 v15, v4, s5
	v_cmp_le_u32_e32 vcc, s16, v2
	v_sub_u32_e32 v15, v3, v15
	v_add_u32_e32 v16, 1, v4
	s_or_b64 s[0:1], vcc, s[0:1]
	v_cmp_le_u32_e32 vcc, s5, v15
	v_mul_lo_u32 v14, v14, s10
	s_nop 0
	v_cndmask_b32_e32 v4, v4, v16, vcc
	v_subrev_u32_e32 v16, s5, v15
	v_cndmask_b32_e32 v15, v15, v16, vcc
	v_add_u32_e32 v16, 1, v4
	v_cmp_le_u32_e32 vcc, s5, v15
	s_nop 1
	v_cndmask_b32_e32 v4, v4, v16, vcc
	v_mul_hi_u32 v15, v4, v11
	v_mul_lo_u32 v16, v4, s5
	v_mul_lo_u32 v17, v15, s4
	v_sub_u32_e32 v3, v3, v16
	v_sub_u32_e32 v16, v4, v17
	v_add_u32_e32 v18, 1, v15
	v_cmp_le_u32_e32 vcc, s4, v16
	v_subrev_u32_e32 v17, s4, v16
	v_mul_lo_u32 v3, v3, s9
	v_cndmask_b32_e32 v15, v15, v18, vcc
	v_cndmask_b32_e32 v16, v16, v17, vcc
	v_add_u32_e32 v17, 1, v15
	v_cmp_le_u32_e32 vcc, s4, v16
	s_nop 1
	v_cndmask_b32_e32 v15, v15, v17, vcc
	v_mul_lo_u32 v16, v15, s4
	v_mul_lo_u32 v15, v15, s7
	v_sub_u32_e32 v4, v4, v16
	v_add3_u32 v14, v14, s14, v15
	v_mul_lo_u32 v4, v4, s8
	v_add3_u32 v4, v14, v3, v4
	v_lshl_add_u64 v[14:15], v[4:5], 3, s[2:3]
	s_waitcnt vmcnt(0)
	global_store_dwordx2 v[14:15], v[12:13], off
	s_andn2_b64 exec, exec, s[0:1]
	s_cbranch_execnz .LBB177_5
.LBB177_6:
	s_endpgm
	.section	.rodata,"a",@progbits
	.p2align	6, 0x0
	.amdhsa_kernel _ZN2at6native12_GLOBAL__N_135CatArrayBatchedCopy_alignedK_contigINS1_10OpaqueTypeILj8EEEjLi4ELi64ELi64ELi8EEEvPT_NS1_25CatArrInputTensorMetadataIS5_T0_XT2_EXT3_EEENS1_16TensorSizeStrideIS8_Lj4EEEiS8_
		.amdhsa_group_segment_fixed_size 0
		.amdhsa_private_segment_fixed_size 0
		.amdhsa_kernarg_size 3696
		.amdhsa_user_sgpr_count 2
		.amdhsa_user_sgpr_dispatch_ptr 0
		.amdhsa_user_sgpr_queue_ptr 0
		.amdhsa_user_sgpr_kernarg_segment_ptr 1
		.amdhsa_user_sgpr_dispatch_id 0
		.amdhsa_user_sgpr_kernarg_preload_length 0
		.amdhsa_user_sgpr_kernarg_preload_offset 0
		.amdhsa_user_sgpr_private_segment_size 0
		.amdhsa_uses_dynamic_stack 0
		.amdhsa_enable_private_segment 0
		.amdhsa_system_sgpr_workgroup_id_x 1
		.amdhsa_system_sgpr_workgroup_id_y 1
		.amdhsa_system_sgpr_workgroup_id_z 0
		.amdhsa_system_sgpr_workgroup_info 0
		.amdhsa_system_vgpr_workitem_id 0
		.amdhsa_next_free_vgpr 19
		.amdhsa_next_free_sgpr 26
		.amdhsa_accum_offset 20
		.amdhsa_reserve_vcc 1
		.amdhsa_float_round_mode_32 0
		.amdhsa_float_round_mode_16_64 0
		.amdhsa_float_denorm_mode_32 3
		.amdhsa_float_denorm_mode_16_64 3
		.amdhsa_dx10_clamp 1
		.amdhsa_ieee_mode 1
		.amdhsa_fp16_overflow 0
		.amdhsa_tg_split 0
		.amdhsa_exception_fp_ieee_invalid_op 0
		.amdhsa_exception_fp_denorm_src 0
		.amdhsa_exception_fp_ieee_div_zero 0
		.amdhsa_exception_fp_ieee_overflow 0
		.amdhsa_exception_fp_ieee_underflow 0
		.amdhsa_exception_fp_ieee_inexact 0
		.amdhsa_exception_int_div_zero 0
	.end_amdhsa_kernel
	.section	.text._ZN2at6native12_GLOBAL__N_135CatArrayBatchedCopy_alignedK_contigINS1_10OpaqueTypeILj8EEEjLi4ELi64ELi64ELi8EEEvPT_NS1_25CatArrInputTensorMetadataIS5_T0_XT2_EXT3_EEENS1_16TensorSizeStrideIS8_Lj4EEEiS8_,"axG",@progbits,_ZN2at6native12_GLOBAL__N_135CatArrayBatchedCopy_alignedK_contigINS1_10OpaqueTypeILj8EEEjLi4ELi64ELi64ELi8EEEvPT_NS1_25CatArrInputTensorMetadataIS5_T0_XT2_EXT3_EEENS1_16TensorSizeStrideIS8_Lj4EEEiS8_,comdat
.Lfunc_end177:
	.size	_ZN2at6native12_GLOBAL__N_135CatArrayBatchedCopy_alignedK_contigINS1_10OpaqueTypeILj8EEEjLi4ELi64ELi64ELi8EEEvPT_NS1_25CatArrInputTensorMetadataIS5_T0_XT2_EXT3_EEENS1_16TensorSizeStrideIS8_Lj4EEEiS8_, .Lfunc_end177-_ZN2at6native12_GLOBAL__N_135CatArrayBatchedCopy_alignedK_contigINS1_10OpaqueTypeILj8EEEjLi4ELi64ELi64ELi8EEEvPT_NS1_25CatArrInputTensorMetadataIS5_T0_XT2_EXT3_EEENS1_16TensorSizeStrideIS8_Lj4EEEiS8_
                                        ; -- End function
	.set _ZN2at6native12_GLOBAL__N_135CatArrayBatchedCopy_alignedK_contigINS1_10OpaqueTypeILj8EEEjLi4ELi64ELi64ELi8EEEvPT_NS1_25CatArrInputTensorMetadataIS5_T0_XT2_EXT3_EEENS1_16TensorSizeStrideIS8_Lj4EEEiS8_.num_vgpr, 19
	.set _ZN2at6native12_GLOBAL__N_135CatArrayBatchedCopy_alignedK_contigINS1_10OpaqueTypeILj8EEEjLi4ELi64ELi64ELi8EEEvPT_NS1_25CatArrInputTensorMetadataIS5_T0_XT2_EXT3_EEENS1_16TensorSizeStrideIS8_Lj4EEEiS8_.num_agpr, 0
	.set _ZN2at6native12_GLOBAL__N_135CatArrayBatchedCopy_alignedK_contigINS1_10OpaqueTypeILj8EEEjLi4ELi64ELi64ELi8EEEvPT_NS1_25CatArrInputTensorMetadataIS5_T0_XT2_EXT3_EEENS1_16TensorSizeStrideIS8_Lj4EEEiS8_.numbered_sgpr, 26
	.set _ZN2at6native12_GLOBAL__N_135CatArrayBatchedCopy_alignedK_contigINS1_10OpaqueTypeILj8EEEjLi4ELi64ELi64ELi8EEEvPT_NS1_25CatArrInputTensorMetadataIS5_T0_XT2_EXT3_EEENS1_16TensorSizeStrideIS8_Lj4EEEiS8_.num_named_barrier, 0
	.set _ZN2at6native12_GLOBAL__N_135CatArrayBatchedCopy_alignedK_contigINS1_10OpaqueTypeILj8EEEjLi4ELi64ELi64ELi8EEEvPT_NS1_25CatArrInputTensorMetadataIS5_T0_XT2_EXT3_EEENS1_16TensorSizeStrideIS8_Lj4EEEiS8_.private_seg_size, 0
	.set _ZN2at6native12_GLOBAL__N_135CatArrayBatchedCopy_alignedK_contigINS1_10OpaqueTypeILj8EEEjLi4ELi64ELi64ELi8EEEvPT_NS1_25CatArrInputTensorMetadataIS5_T0_XT2_EXT3_EEENS1_16TensorSizeStrideIS8_Lj4EEEiS8_.uses_vcc, 1
	.set _ZN2at6native12_GLOBAL__N_135CatArrayBatchedCopy_alignedK_contigINS1_10OpaqueTypeILj8EEEjLi4ELi64ELi64ELi8EEEvPT_NS1_25CatArrInputTensorMetadataIS5_T0_XT2_EXT3_EEENS1_16TensorSizeStrideIS8_Lj4EEEiS8_.uses_flat_scratch, 0
	.set _ZN2at6native12_GLOBAL__N_135CatArrayBatchedCopy_alignedK_contigINS1_10OpaqueTypeILj8EEEjLi4ELi64ELi64ELi8EEEvPT_NS1_25CatArrInputTensorMetadataIS5_T0_XT2_EXT3_EEENS1_16TensorSizeStrideIS8_Lj4EEEiS8_.has_dyn_sized_stack, 0
	.set _ZN2at6native12_GLOBAL__N_135CatArrayBatchedCopy_alignedK_contigINS1_10OpaqueTypeILj8EEEjLi4ELi64ELi64ELi8EEEvPT_NS1_25CatArrInputTensorMetadataIS5_T0_XT2_EXT3_EEENS1_16TensorSizeStrideIS8_Lj4EEEiS8_.has_recursion, 0
	.set _ZN2at6native12_GLOBAL__N_135CatArrayBatchedCopy_alignedK_contigINS1_10OpaqueTypeILj8EEEjLi4ELi64ELi64ELi8EEEvPT_NS1_25CatArrInputTensorMetadataIS5_T0_XT2_EXT3_EEENS1_16TensorSizeStrideIS8_Lj4EEEiS8_.has_indirect_call, 0
	.section	.AMDGPU.csdata,"",@progbits
; Kernel info:
; codeLenInByte = 1172
; TotalNumSgprs: 32
; NumVgprs: 19
; NumAgprs: 0
; TotalNumVgprs: 19
; ScratchSize: 0
; MemoryBound: 0
; FloatMode: 240
; IeeeMode: 1
; LDSByteSize: 0 bytes/workgroup (compile time only)
; SGPRBlocks: 3
; VGPRBlocks: 2
; NumSGPRsForWavesPerEU: 32
; NumVGPRsForWavesPerEU: 19
; AccumOffset: 20
; Occupancy: 8
; WaveLimiterHint : 1
; COMPUTE_PGM_RSRC2:SCRATCH_EN: 0
; COMPUTE_PGM_RSRC2:USER_SGPR: 2
; COMPUTE_PGM_RSRC2:TRAP_HANDLER: 0
; COMPUTE_PGM_RSRC2:TGID_X_EN: 1
; COMPUTE_PGM_RSRC2:TGID_Y_EN: 1
; COMPUTE_PGM_RSRC2:TGID_Z_EN: 0
; COMPUTE_PGM_RSRC2:TIDIG_COMP_CNT: 0
; COMPUTE_PGM_RSRC3_GFX90A:ACCUM_OFFSET: 4
; COMPUTE_PGM_RSRC3_GFX90A:TG_SPLIT: 0
	.section	.text._ZN2at6native12_GLOBAL__N_126CatArrayBatchedCopy_contigINS1_10OpaqueTypeILj8EEEjLi4ELi64ELi64EEEvPT_NS1_25CatArrInputTensorMetadataIS5_T0_XT2_EXT3_EEENS1_16TensorSizeStrideIS8_Lj4EEEiS8_,"axG",@progbits,_ZN2at6native12_GLOBAL__N_126CatArrayBatchedCopy_contigINS1_10OpaqueTypeILj8EEEjLi4ELi64ELi64EEEvPT_NS1_25CatArrInputTensorMetadataIS5_T0_XT2_EXT3_EEENS1_16TensorSizeStrideIS8_Lj4EEEiS8_,comdat
	.globl	_ZN2at6native12_GLOBAL__N_126CatArrayBatchedCopy_contigINS1_10OpaqueTypeILj8EEEjLi4ELi64ELi64EEEvPT_NS1_25CatArrInputTensorMetadataIS5_T0_XT2_EXT3_EEENS1_16TensorSizeStrideIS8_Lj4EEEiS8_ ; -- Begin function _ZN2at6native12_GLOBAL__N_126CatArrayBatchedCopy_contigINS1_10OpaqueTypeILj8EEEjLi4ELi64ELi64EEEvPT_NS1_25CatArrInputTensorMetadataIS5_T0_XT2_EXT3_EEENS1_16TensorSizeStrideIS8_Lj4EEEiS8_
	.p2align	8
	.type	_ZN2at6native12_GLOBAL__N_126CatArrayBatchedCopy_contigINS1_10OpaqueTypeILj8EEEjLi4ELi64ELi64EEEvPT_NS1_25CatArrInputTensorMetadataIS5_T0_XT2_EXT3_EEENS1_16TensorSizeStrideIS8_Lj4EEEiS8_,@function
_ZN2at6native12_GLOBAL__N_126CatArrayBatchedCopy_contigINS1_10OpaqueTypeILj8EEEjLi4ELi64ELi64EEEvPT_NS1_25CatArrInputTensorMetadataIS5_T0_XT2_EXT3_EEENS1_16TensorSizeStrideIS8_Lj4EEEiS8_: ; @_ZN2at6native12_GLOBAL__N_126CatArrayBatchedCopy_contigINS1_10OpaqueTypeILj8EEEjLi4ELi64ELi64EEEvPT_NS1_25CatArrInputTensorMetadataIS5_T0_XT2_EXT3_EEENS1_16TensorSizeStrideIS8_Lj4EEEiS8_
; %bb.0:
	s_mov_b32 s4, s3
	s_load_dword s3, s[0:1], 0xd7c
	s_add_u32 s16, s0, 0xd70
	s_mov_b32 s5, 0
	s_addc_u32 s17, s1, 0
	s_lshl_b64 s[14:15], s[4:5], 2
	s_waitcnt lgkmcnt(0)
	s_and_b32 s19, s3, 0xffff
	s_add_u32 s4, s0, s14
	s_addc_u32 s5, s1, s15
	s_load_dword s18, s[4:5], 0x408
	s_mul_i32 s2, s2, s19
	v_add_u32_e32 v0, s2, v0
	s_add_u32 s20, s4, 8
	s_addc_u32 s21, s5, 0
	s_waitcnt lgkmcnt(0)
	v_cmp_gt_u32_e32 vcc, s18, v0
	s_and_saveexec_b64 s[2:3], vcc
	s_cbranch_execz .LBB178_3
; %bb.1:
	s_add_u32 s20, s20, s14
	s_load_dwordx2 s[2:3], s[0:1], 0xd5c
	s_load_dwordx4 s[4:7], s[0:1], 0xd58
	s_load_dwordx2 s[12:13], s[0:1], 0x0
	s_load_dwordx4 s[8:11], s[0:1], 0xd4c
	s_addc_u32 s21, s21, s15
	s_waitcnt lgkmcnt(0)
	s_sub_u32 s5, 0, s14
	s_subb_u32 s6, 0, s15
	s_add_u32 s22, s20, s5
	s_addc_u32 s23, s21, s6
	s_load_dwordx2 s[24:25], s[0:1], 0xd68
	s_load_dwordx2 s[14:15], s[20:21], 0x0
	s_load_dword s11, s[22:23], 0x300
	s_load_dword s26, s[22:23], 0x200
	s_mov_b32 s5, s7
	s_waitcnt lgkmcnt(0)
	s_cmp_eq_u32 s24, 3
	s_load_dword s16, s[16:17], 0x0
	s_cselect_b32 s6, s11, s10
	v_cvt_f32_u32_e32 v1, s6
	s_cmp_eq_u32 s24, 2
	s_cselect_b32 s9, s11, s9
	v_cvt_f32_u32_e32 v2, s9
	v_rcp_iflag_f32_e32 v1, v1
	s_cmp_eq_u32 s24, 1
	s_cselect_b32 s8, s11, s8
	s_sub_i32 s11, 0, s6
	v_mul_f32_e32 v1, 0x4f7ffffe, v1
	v_cvt_u32_f32_e32 v1, v1
	v_rcp_iflag_f32_e32 v4, v2
	s_waitcnt lgkmcnt(0)
	s_mul_i32 s10, s16, s19
	s_sub_i32 s16, 0, s9
	v_mul_lo_u32 v3, s11, v1
	v_mul_hi_u32 v2, v1, v3
	v_cvt_f32_u32_e32 v3, s8
	v_add_u32_e32 v2, v1, v2
	v_mul_f32_e32 v1, 0x4f7ffffe, v4
	v_cvt_u32_f32_e32 v4, v1
	v_rcp_iflag_f32_e32 v3, v3
	s_mov_b64 s[0:1], 0
	s_mul_i32 s7, s26, s25
	v_mul_lo_u32 v5, s16, v4
	v_mul_f32_e32 v3, 0x4f7ffffe, v3
	v_cvt_u32_f32_e32 v6, v3
	v_mul_hi_u32 v3, v4, v5
	s_sub_i32 s16, 0, s8
	v_add_u32_e32 v3, v4, v3
	v_mul_lo_u32 v4, s16, v6
	v_mul_hi_u32 v4, v6, v4
	v_mov_b32_e32 v1, 0
	v_add_u32_e32 v4, v6, v4
.LBB178_2:                              ; =>This Inner Loop Header: Depth=1
	v_lshl_add_u64 v[6:7], v[0:1], 3, s[14:15]
	global_load_dwordx2 v[6:7], v[6:7], off
	v_mul_hi_u32 v5, v2, v0
	v_mul_lo_u32 v8, s6, v5
	v_not_b32_e32 v10, v5
	v_sub_u32_e32 v8, v0, v8
	v_add_u32_e32 v12, 1, v5
	v_mad_u64_u32 v[10:11], s[16:17], s6, v10, v[0:1]
	v_cmp_le_u32_e32 vcc, s6, v8
	v_mov_b32_e32 v9, v1
	s_nop 0
	v_cndmask_b32_e32 v5, v5, v12, vcc
	v_cndmask_b32_e32 v8, v8, v10, vcc
	v_add_u32_e32 v10, 1, v5
	v_cmp_le_u32_e32 vcc, s6, v8
	s_nop 1
	v_cndmask_b32_e32 v5, v5, v10, vcc
	v_mul_hi_u32 v8, v5, v3
	v_mad_u64_u32 v[10:11], s[16:17], s11, v5, v[0:1]
	v_add_u32_e32 v0, s10, v0
	v_mul_lo_u32 v11, v8, s9
	v_cmp_le_u32_e32 vcc, s18, v0
	v_sub_u32_e32 v11, v5, v11
	v_add_u32_e32 v12, 1, v8
	s_or_b64 s[0:1], vcc, s[0:1]
	v_cmp_le_u32_e32 vcc, s9, v11
	v_mul_lo_u32 v10, v10, s5
	s_nop 0
	v_cndmask_b32_e32 v8, v8, v12, vcc
	v_subrev_u32_e32 v12, s9, v11
	v_cndmask_b32_e32 v11, v11, v12, vcc
	v_add_u32_e32 v12, 1, v8
	v_cmp_le_u32_e32 vcc, s9, v11
	s_nop 1
	v_cndmask_b32_e32 v8, v8, v12, vcc
	v_mul_hi_u32 v11, v8, v4
	v_mul_lo_u32 v12, v8, s9
	v_mul_lo_u32 v13, v11, s8
	v_sub_u32_e32 v5, v5, v12
	v_sub_u32_e32 v12, v8, v13
	v_add_u32_e32 v14, 1, v11
	v_cmp_le_u32_e32 vcc, s8, v12
	v_subrev_u32_e32 v13, s8, v12
	v_mul_lo_u32 v5, v5, s3
	v_cndmask_b32_e32 v11, v11, v14, vcc
	v_cndmask_b32_e32 v12, v12, v13, vcc
	v_add_u32_e32 v13, 1, v11
	v_cmp_le_u32_e32 vcc, s8, v12
	s_nop 1
	v_cndmask_b32_e32 v11, v11, v13, vcc
	v_mul_lo_u32 v12, v11, s8
	v_mul_lo_u32 v11, v11, s4
	v_sub_u32_e32 v8, v8, v12
	v_add3_u32 v10, v10, s7, v11
	v_mul_lo_u32 v8, v8, s2
	v_add3_u32 v8, v10, v5, v8
	v_lshl_add_u64 v[8:9], v[8:9], 3, s[12:13]
	s_waitcnt vmcnt(0)
	global_store_dwordx2 v[8:9], v[6:7], off
	s_andn2_b64 exec, exec, s[0:1]
	s_cbranch_execnz .LBB178_2
.LBB178_3:
	s_endpgm
	.section	.rodata,"a",@progbits
	.p2align	6, 0x0
	.amdhsa_kernel _ZN2at6native12_GLOBAL__N_126CatArrayBatchedCopy_contigINS1_10OpaqueTypeILj8EEEjLi4ELi64ELi64EEEvPT_NS1_25CatArrInputTensorMetadataIS5_T0_XT2_EXT3_EEENS1_16TensorSizeStrideIS8_Lj4EEEiS8_
		.amdhsa_group_segment_fixed_size 0
		.amdhsa_private_segment_fixed_size 0
		.amdhsa_kernarg_size 3696
		.amdhsa_user_sgpr_count 2
		.amdhsa_user_sgpr_dispatch_ptr 0
		.amdhsa_user_sgpr_queue_ptr 0
		.amdhsa_user_sgpr_kernarg_segment_ptr 1
		.amdhsa_user_sgpr_dispatch_id 0
		.amdhsa_user_sgpr_kernarg_preload_length 0
		.amdhsa_user_sgpr_kernarg_preload_offset 0
		.amdhsa_user_sgpr_private_segment_size 0
		.amdhsa_uses_dynamic_stack 0
		.amdhsa_enable_private_segment 0
		.amdhsa_system_sgpr_workgroup_id_x 1
		.amdhsa_system_sgpr_workgroup_id_y 1
		.amdhsa_system_sgpr_workgroup_id_z 0
		.amdhsa_system_sgpr_workgroup_info 0
		.amdhsa_system_vgpr_workitem_id 0
		.amdhsa_next_free_vgpr 15
		.amdhsa_next_free_sgpr 27
		.amdhsa_accum_offset 16
		.amdhsa_reserve_vcc 1
		.amdhsa_float_round_mode_32 0
		.amdhsa_float_round_mode_16_64 0
		.amdhsa_float_denorm_mode_32 3
		.amdhsa_float_denorm_mode_16_64 3
		.amdhsa_dx10_clamp 1
		.amdhsa_ieee_mode 1
		.amdhsa_fp16_overflow 0
		.amdhsa_tg_split 0
		.amdhsa_exception_fp_ieee_invalid_op 0
		.amdhsa_exception_fp_denorm_src 0
		.amdhsa_exception_fp_ieee_div_zero 0
		.amdhsa_exception_fp_ieee_overflow 0
		.amdhsa_exception_fp_ieee_underflow 0
		.amdhsa_exception_fp_ieee_inexact 0
		.amdhsa_exception_int_div_zero 0
	.end_amdhsa_kernel
	.section	.text._ZN2at6native12_GLOBAL__N_126CatArrayBatchedCopy_contigINS1_10OpaqueTypeILj8EEEjLi4ELi64ELi64EEEvPT_NS1_25CatArrInputTensorMetadataIS5_T0_XT2_EXT3_EEENS1_16TensorSizeStrideIS8_Lj4EEEiS8_,"axG",@progbits,_ZN2at6native12_GLOBAL__N_126CatArrayBatchedCopy_contigINS1_10OpaqueTypeILj8EEEjLi4ELi64ELi64EEEvPT_NS1_25CatArrInputTensorMetadataIS5_T0_XT2_EXT3_EEENS1_16TensorSizeStrideIS8_Lj4EEEiS8_,comdat
.Lfunc_end178:
	.size	_ZN2at6native12_GLOBAL__N_126CatArrayBatchedCopy_contigINS1_10OpaqueTypeILj8EEEjLi4ELi64ELi64EEEvPT_NS1_25CatArrInputTensorMetadataIS5_T0_XT2_EXT3_EEENS1_16TensorSizeStrideIS8_Lj4EEEiS8_, .Lfunc_end178-_ZN2at6native12_GLOBAL__N_126CatArrayBatchedCopy_contigINS1_10OpaqueTypeILj8EEEjLi4ELi64ELi64EEEvPT_NS1_25CatArrInputTensorMetadataIS5_T0_XT2_EXT3_EEENS1_16TensorSizeStrideIS8_Lj4EEEiS8_
                                        ; -- End function
	.set _ZN2at6native12_GLOBAL__N_126CatArrayBatchedCopy_contigINS1_10OpaqueTypeILj8EEEjLi4ELi64ELi64EEEvPT_NS1_25CatArrInputTensorMetadataIS5_T0_XT2_EXT3_EEENS1_16TensorSizeStrideIS8_Lj4EEEiS8_.num_vgpr, 15
	.set _ZN2at6native12_GLOBAL__N_126CatArrayBatchedCopy_contigINS1_10OpaqueTypeILj8EEEjLi4ELi64ELi64EEEvPT_NS1_25CatArrInputTensorMetadataIS5_T0_XT2_EXT3_EEENS1_16TensorSizeStrideIS8_Lj4EEEiS8_.num_agpr, 0
	.set _ZN2at6native12_GLOBAL__N_126CatArrayBatchedCopy_contigINS1_10OpaqueTypeILj8EEEjLi4ELi64ELi64EEEvPT_NS1_25CatArrInputTensorMetadataIS5_T0_XT2_EXT3_EEENS1_16TensorSizeStrideIS8_Lj4EEEiS8_.numbered_sgpr, 27
	.set _ZN2at6native12_GLOBAL__N_126CatArrayBatchedCopy_contigINS1_10OpaqueTypeILj8EEEjLi4ELi64ELi64EEEvPT_NS1_25CatArrInputTensorMetadataIS5_T0_XT2_EXT3_EEENS1_16TensorSizeStrideIS8_Lj4EEEiS8_.num_named_barrier, 0
	.set _ZN2at6native12_GLOBAL__N_126CatArrayBatchedCopy_contigINS1_10OpaqueTypeILj8EEEjLi4ELi64ELi64EEEvPT_NS1_25CatArrInputTensorMetadataIS5_T0_XT2_EXT3_EEENS1_16TensorSizeStrideIS8_Lj4EEEiS8_.private_seg_size, 0
	.set _ZN2at6native12_GLOBAL__N_126CatArrayBatchedCopy_contigINS1_10OpaqueTypeILj8EEEjLi4ELi64ELi64EEEvPT_NS1_25CatArrInputTensorMetadataIS5_T0_XT2_EXT3_EEENS1_16TensorSizeStrideIS8_Lj4EEEiS8_.uses_vcc, 1
	.set _ZN2at6native12_GLOBAL__N_126CatArrayBatchedCopy_contigINS1_10OpaqueTypeILj8EEEjLi4ELi64ELi64EEEvPT_NS1_25CatArrInputTensorMetadataIS5_T0_XT2_EXT3_EEENS1_16TensorSizeStrideIS8_Lj4EEEiS8_.uses_flat_scratch, 0
	.set _ZN2at6native12_GLOBAL__N_126CatArrayBatchedCopy_contigINS1_10OpaqueTypeILj8EEEjLi4ELi64ELi64EEEvPT_NS1_25CatArrInputTensorMetadataIS5_T0_XT2_EXT3_EEENS1_16TensorSizeStrideIS8_Lj4EEEiS8_.has_dyn_sized_stack, 0
	.set _ZN2at6native12_GLOBAL__N_126CatArrayBatchedCopy_contigINS1_10OpaqueTypeILj8EEEjLi4ELi64ELi64EEEvPT_NS1_25CatArrInputTensorMetadataIS5_T0_XT2_EXT3_EEENS1_16TensorSizeStrideIS8_Lj4EEEiS8_.has_recursion, 0
	.set _ZN2at6native12_GLOBAL__N_126CatArrayBatchedCopy_contigINS1_10OpaqueTypeILj8EEEjLi4ELi64ELi64EEEvPT_NS1_25CatArrInputTensorMetadataIS5_T0_XT2_EXT3_EEENS1_16TensorSizeStrideIS8_Lj4EEEiS8_.has_indirect_call, 0
	.section	.AMDGPU.csdata,"",@progbits
; Kernel info:
; codeLenInByte = 704
; TotalNumSgprs: 33
; NumVgprs: 15
; NumAgprs: 0
; TotalNumVgprs: 15
; ScratchSize: 0
; MemoryBound: 0
; FloatMode: 240
; IeeeMode: 1
; LDSByteSize: 0 bytes/workgroup (compile time only)
; SGPRBlocks: 4
; VGPRBlocks: 1
; NumSGPRsForWavesPerEU: 33
; NumVGPRsForWavesPerEU: 15
; AccumOffset: 16
; Occupancy: 8
; WaveLimiterHint : 1
; COMPUTE_PGM_RSRC2:SCRATCH_EN: 0
; COMPUTE_PGM_RSRC2:USER_SGPR: 2
; COMPUTE_PGM_RSRC2:TRAP_HANDLER: 0
; COMPUTE_PGM_RSRC2:TGID_X_EN: 1
; COMPUTE_PGM_RSRC2:TGID_Y_EN: 1
; COMPUTE_PGM_RSRC2:TGID_Z_EN: 0
; COMPUTE_PGM_RSRC2:TIDIG_COMP_CNT: 0
; COMPUTE_PGM_RSRC3_GFX90A:ACCUM_OFFSET: 3
; COMPUTE_PGM_RSRC3_GFX90A:TG_SPLIT: 0
	.section	.text._ZN2at6native12_GLOBAL__N_119CatArrayBatchedCopyINS1_10OpaqueTypeILj8EEEjLi4ELi64ELi64EEEvPT_NS1_25CatArrInputTensorMetadataIS5_T0_XT2_EXT3_EEENS1_16TensorSizeStrideIS8_Lj4EEEiS8_,"axG",@progbits,_ZN2at6native12_GLOBAL__N_119CatArrayBatchedCopyINS1_10OpaqueTypeILj8EEEjLi4ELi64ELi64EEEvPT_NS1_25CatArrInputTensorMetadataIS5_T0_XT2_EXT3_EEENS1_16TensorSizeStrideIS8_Lj4EEEiS8_,comdat
	.globl	_ZN2at6native12_GLOBAL__N_119CatArrayBatchedCopyINS1_10OpaqueTypeILj8EEEjLi4ELi64ELi64EEEvPT_NS1_25CatArrInputTensorMetadataIS5_T0_XT2_EXT3_EEENS1_16TensorSizeStrideIS8_Lj4EEEiS8_ ; -- Begin function _ZN2at6native12_GLOBAL__N_119CatArrayBatchedCopyINS1_10OpaqueTypeILj8EEEjLi4ELi64ELi64EEEvPT_NS1_25CatArrInputTensorMetadataIS5_T0_XT2_EXT3_EEENS1_16TensorSizeStrideIS8_Lj4EEEiS8_
	.p2align	8
	.type	_ZN2at6native12_GLOBAL__N_119CatArrayBatchedCopyINS1_10OpaqueTypeILj8EEEjLi4ELi64ELi64EEEvPT_NS1_25CatArrInputTensorMetadataIS5_T0_XT2_EXT3_EEENS1_16TensorSizeStrideIS8_Lj4EEEiS8_,@function
_ZN2at6native12_GLOBAL__N_119CatArrayBatchedCopyINS1_10OpaqueTypeILj8EEEjLi4ELi64ELi64EEEvPT_NS1_25CatArrInputTensorMetadataIS5_T0_XT2_EXT3_EEENS1_16TensorSizeStrideIS8_Lj4EEEiS8_: ; @_ZN2at6native12_GLOBAL__N_119CatArrayBatchedCopyINS1_10OpaqueTypeILj8EEEjLi4ELi64ELi64EEEvPT_NS1_25CatArrInputTensorMetadataIS5_T0_XT2_EXT3_EEENS1_16TensorSizeStrideIS8_Lj4EEEiS8_
; %bb.0:
	s_load_dword s4, s[0:1], 0xd7c
	s_mov_b32 s10, s3
	s_or_b32 s3, s0, 8
	s_add_u32 s16, s0, 0xd70
	s_mov_b32 s11, 0
	s_addc_u32 s17, s1, 0
	s_waitcnt lgkmcnt(0)
	s_and_b32 s18, s4, 0xffff
	s_lshl_b64 s[8:9], s[10:11], 2
	s_add_u32 s4, s3, s8
	s_addc_u32 s5, s1, s9
	s_load_dword s24, s[4:5], 0x400
	s_mul_i32 s2, s2, s18
	v_add_u32_e32 v0, s2, v0
	s_waitcnt lgkmcnt(0)
	v_cmp_gt_u32_e32 vcc, s24, v0
	s_and_saveexec_b64 s[12:13], vcc
	s_cbranch_execz .LBB179_5
; %bb.1:
	s_mul_i32 s7, s10, 28
	s_mul_hi_u32 s2, s10, 28
	s_add_u32 s20, s4, s7
	s_addc_u32 s21, s5, s2
	s_add_u32 s26, s3, s10
	s_addc_u32 s27, s1, 0
	v_mov_b32_e32 v1, 0
	global_load_ubyte v2, v1, s[26:27] offset:1280
	s_mul_hi_u32 s19, s10, 7
	s_mul_i32 s25, s10, 7
	s_load_dwordx4 s[4:7], s[0:1], 0xd58
	s_load_dwordx2 s[22:23], s[0:1], 0xd68
	s_load_dwordx2 s[2:3], s[0:1], 0x0
	s_load_dwordx4 s[12:15], s[0:1], 0xd4c
	s_waitcnt lgkmcnt(0)
	s_load_dword s15, s[16:17], 0x0
                                        ; kill: killed $sgpr0 killed $sgpr1
	s_load_dwordx2 s[0:1], s[20:21], 0x544
	s_load_dword s30, s[20:21], 0x54c
                                        ; kill: killed $sgpr16 killed $sgpr17
	s_mov_b64 s[16:17], 0
	s_waitcnt lgkmcnt(0)
	s_mul_i32 s15, s15, s18
	s_waitcnt vmcnt(0)
	v_and_b32_e32 v2, 1, v2
	v_cmp_eq_u32_e32 vcc, 1, v2
	s_xor_b64 s[10:11], vcc, -1
	s_add_u32 s26, s26, s25
	s_addc_u32 s27, s27, s19
	s_sub_u32 s8, 0, s8
	s_subb_u32 s9, 0, s9
	s_add_u32 s28, s26, s8
	s_addc_u32 s29, s27, s9
	v_cndmask_b32_e64 v2, 0, 1, s[10:11]
	s_load_dword s25, s[28:29], 0x200
	s_load_dword s31, s[28:29], 0x300
	s_load_dwordx4 s[8:11], s[20:21], 0x550
	s_load_dwordx2 s[18:19], s[26:27], 0x0
	s_cmp_eq_u32 s22, 3
	s_waitcnt lgkmcnt(0)
	s_mul_i32 s20, s25, s23
	s_cselect_b32 s14, s31, s14
	s_cselect_b32 s21, s31, s30
	s_cmp_eq_u32 s22, 2
	s_cselect_b32 s13, s31, s13
	s_cselect_b32 s23, s31, s1
	s_cmp_eq_u32 s22, 1
	v_cvt_f32_u32_e32 v3, s14
	v_cvt_f32_u32_e32 v4, s21
	s_cselect_b32 s12, s31, s12
	s_cselect_b32 s22, s31, s0
	v_cvt_f32_u32_e32 v5, s13
	v_cvt_f32_u32_e32 v6, s23
	;; [unrolled: 1-line block ×4, first 2 shown]
	v_rcp_iflag_f32_e32 v3, v3
	v_rcp_iflag_f32_e32 v4, v4
	;; [unrolled: 1-line block ×6, first 2 shown]
	v_mul_f32_e32 v3, 0x4f7ffffe, v3
	v_mul_f32_e32 v4, 0x4f7ffffe, v4
	v_cvt_u32_f32_e32 v3, v3
	v_mul_f32_e32 v5, 0x4f7ffffe, v5
	v_cvt_u32_f32_e32 v9, v4
	;; [unrolled: 2-line block ×5, first 2 shown]
	v_cvt_u32_f32_e32 v10, v4
	s_sub_i32 s25, 0, s14
	s_sub_i32 s26, 0, s21
	;; [unrolled: 1-line block ×4, first 2 shown]
	v_mul_lo_u32 v4, s25, v3
	v_mul_lo_u32 v5, s26, v9
	s_sub_i32 s27, 0, s12
	s_sub_i32 s28, 0, s22
	v_mul_hi_u32 v4, v3, v4
	v_mul_lo_u32 v11, s0, v6
	v_mul_hi_u32 v5, v9, v5
	v_mul_lo_u32 v12, s1, v7
	v_add_u32_e32 v4, v3, v4
	v_mul_hi_u32 v3, v6, v11
	v_mul_lo_u32 v11, s27, v8
	v_add_u32_e32 v5, v9, v5
	;; [unrolled: 3-line block ×3, first 2 shown]
	v_mul_hi_u32 v3, v8, v11
	v_add_u32_e32 v7, v7, v9
	v_mul_hi_u32 v9, v10, v12
	v_add_u32_e32 v8, v8, v3
	v_add_u32_e32 v9, v10, v9
	v_cmp_ne_u32_e64 s[0:1], 1, v2
	s_branch .LBB179_3
.LBB179_2:                              ;   in Loop: Header=BB179_3 Depth=1
	v_lshl_add_u64 v[2:3], v[2:3], 3, s[18:19]
	global_load_dwordx2 v[2:3], v[2:3], off
	v_mul_hi_u32 v12, v4, v0
	v_mad_u64_u32 v[10:11], s[28:29], s25, v12, v[0:1]
	v_not_b32_e32 v13, v12
	v_add_u32_e32 v11, 1, v12
	v_cmp_le_u32_e32 vcc, s14, v10
	s_nop 1
	v_cndmask_b32_e32 v11, v12, v11, vcc
	v_mad_u64_u32 v[12:13], s[28:29], s14, v13, v[0:1]
	v_cndmask_b32_e32 v10, v10, v12, vcc
	v_add_u32_e32 v12, 1, v11
	v_cmp_le_u32_e32 vcc, s14, v10
	s_nop 1
	v_cndmask_b32_e32 v10, v11, v12, vcc
	v_mul_hi_u32 v11, v10, v6
	v_mul_lo_u32 v12, v11, s13
	v_sub_u32_e32 v12, v10, v12
	v_add_u32_e32 v13, 1, v11
	v_cmp_le_u32_e32 vcc, s13, v12
	s_nop 1
	v_cndmask_b32_e32 v11, v11, v13, vcc
	v_subrev_u32_e32 v13, s13, v12
	v_cndmask_b32_e32 v12, v12, v13, vcc
	v_add_u32_e32 v13, 1, v11
	v_cmp_le_u32_e32 vcc, s13, v12
	s_nop 1
	v_cndmask_b32_e32 v12, v11, v13, vcc
	v_mul_lo_u32 v11, v12, s13
	v_sub_u32_e32 v11, v10, v11
	v_mul_lo_u32 v13, v11, s6
	v_mad_u64_u32 v[10:11], s[28:29], s25, v10, v[0:1]
	v_mul_hi_u32 v11, v12, v8
	v_mul_lo_u32 v14, v11, s12
	v_sub_u32_e32 v14, v12, v14
	v_add_u32_e32 v15, 1, v11
	v_cmp_le_u32_e32 vcc, s12, v14
	v_mul_lo_u32 v10, v10, s7
	v_add_u32_e32 v0, s15, v0
	v_cndmask_b32_e32 v11, v11, v15, vcc
	v_subrev_u32_e32 v15, s12, v14
	v_cndmask_b32_e32 v14, v14, v15, vcc
	v_add_u32_e32 v15, 1, v11
	v_cmp_le_u32_e32 vcc, s12, v14
	s_nop 1
	v_cndmask_b32_e32 v11, v11, v15, vcc
	v_mul_lo_u32 v14, v11, s12
	v_sub_u32_e32 v12, v12, v14
	v_mul_lo_u32 v11, v11, s4
	v_mul_lo_u32 v12, v12, s5
	v_add3_u32 v10, v11, v10, v13
	v_add3_u32 v10, v10, v12, s20
	v_mov_b32_e32 v11, v1
	v_cmp_le_u32_e32 vcc, s24, v0
	v_lshl_add_u64 v[10:11], v[10:11], 3, s[2:3]
	s_or_b64 s[16:17], vcc, s[16:17]
	s_waitcnt vmcnt(0)
	global_store_dwordx2 v[10:11], v[2:3], off
	s_andn2_b64 exec, exec, s[16:17]
	s_cbranch_execz .LBB179_5
.LBB179_3:                              ; =>This Inner Loop Header: Depth=1
	s_and_b64 vcc, exec, s[0:1]
	v_mov_b64_e32 v[2:3], v[0:1]
	s_cbranch_vccnz .LBB179_2
; %bb.4:                                ;   in Loop: Header=BB179_3 Depth=1
	v_mul_hi_u32 v10, v5, v0
	v_mad_u64_u32 v[2:3], s[28:29], s26, v10, v[0:1]
	v_not_b32_e32 v11, v10
	v_add_u32_e32 v3, 1, v10
	v_cmp_le_u32_e32 vcc, s21, v2
	s_nop 1
	v_cndmask_b32_e32 v3, v10, v3, vcc
	v_mad_u64_u32 v[10:11], s[28:29], s21, v11, v[0:1]
	v_cndmask_b32_e32 v2, v2, v10, vcc
	v_add_u32_e32 v10, 1, v3
	v_cmp_le_u32_e32 vcc, s21, v2
	s_nop 1
	v_cndmask_b32_e32 v2, v3, v10, vcc
	v_mul_hi_u32 v3, v2, v7
	v_mul_lo_u32 v10, v3, s23
	v_sub_u32_e32 v10, v2, v10
	v_add_u32_e32 v11, 1, v3
	v_cmp_le_u32_e32 vcc, s23, v10
	s_nop 1
	v_cndmask_b32_e32 v3, v3, v11, vcc
	v_subrev_u32_e32 v11, s23, v10
	v_cndmask_b32_e32 v10, v10, v11, vcc
	v_add_u32_e32 v11, 1, v3
	v_cmp_le_u32_e32 vcc, s23, v10
	s_nop 1
	v_cndmask_b32_e32 v10, v3, v11, vcc
	v_mul_lo_u32 v3, v10, s23
	v_sub_u32_e32 v3, v2, v3
	v_mul_lo_u32 v11, v3, s10
	v_mad_u64_u32 v[2:3], s[28:29], s26, v2, v[0:1]
	v_mul_hi_u32 v3, v10, v9
	v_mul_lo_u32 v12, v3, s22
	v_sub_u32_e32 v12, v10, v12
	v_add_u32_e32 v13, 1, v3
	v_cmp_le_u32_e32 vcc, s22, v12
	v_mul_lo_u32 v2, v2, s11
	s_nop 0
	v_cndmask_b32_e32 v3, v3, v13, vcc
	v_subrev_u32_e32 v13, s22, v12
	v_cndmask_b32_e32 v12, v12, v13, vcc
	v_add_u32_e32 v13, 1, v3
	v_cmp_le_u32_e32 vcc, s22, v12
	s_nop 1
	v_cndmask_b32_e32 v3, v3, v13, vcc
	v_mul_lo_u32 v12, v3, s22
	v_sub_u32_e32 v10, v10, v12
	v_mul_lo_u32 v10, v10, s9
	v_mad_u64_u32 v[2:3], s[28:29], v3, s8, v[2:3]
	v_add3_u32 v2, v2, v11, v10
	v_mov_b32_e32 v3, v1
	s_branch .LBB179_2
.LBB179_5:
	s_endpgm
	.section	.rodata,"a",@progbits
	.p2align	6, 0x0
	.amdhsa_kernel _ZN2at6native12_GLOBAL__N_119CatArrayBatchedCopyINS1_10OpaqueTypeILj8EEEjLi4ELi64ELi64EEEvPT_NS1_25CatArrInputTensorMetadataIS5_T0_XT2_EXT3_EEENS1_16TensorSizeStrideIS8_Lj4EEEiS8_
		.amdhsa_group_segment_fixed_size 0
		.amdhsa_private_segment_fixed_size 0
		.amdhsa_kernarg_size 3696
		.amdhsa_user_sgpr_count 2
		.amdhsa_user_sgpr_dispatch_ptr 0
		.amdhsa_user_sgpr_queue_ptr 0
		.amdhsa_user_sgpr_kernarg_segment_ptr 1
		.amdhsa_user_sgpr_dispatch_id 0
		.amdhsa_user_sgpr_kernarg_preload_length 0
		.amdhsa_user_sgpr_kernarg_preload_offset 0
		.amdhsa_user_sgpr_private_segment_size 0
		.amdhsa_uses_dynamic_stack 0
		.amdhsa_enable_private_segment 0
		.amdhsa_system_sgpr_workgroup_id_x 1
		.amdhsa_system_sgpr_workgroup_id_y 1
		.amdhsa_system_sgpr_workgroup_id_z 0
		.amdhsa_system_sgpr_workgroup_info 0
		.amdhsa_system_vgpr_workitem_id 0
		.amdhsa_next_free_vgpr 16
		.amdhsa_next_free_sgpr 32
		.amdhsa_accum_offset 16
		.amdhsa_reserve_vcc 1
		.amdhsa_float_round_mode_32 0
		.amdhsa_float_round_mode_16_64 0
		.amdhsa_float_denorm_mode_32 3
		.amdhsa_float_denorm_mode_16_64 3
		.amdhsa_dx10_clamp 1
		.amdhsa_ieee_mode 1
		.amdhsa_fp16_overflow 0
		.amdhsa_tg_split 0
		.amdhsa_exception_fp_ieee_invalid_op 0
		.amdhsa_exception_fp_denorm_src 0
		.amdhsa_exception_fp_ieee_div_zero 0
		.amdhsa_exception_fp_ieee_overflow 0
		.amdhsa_exception_fp_ieee_underflow 0
		.amdhsa_exception_fp_ieee_inexact 0
		.amdhsa_exception_int_div_zero 0
	.end_amdhsa_kernel
	.section	.text._ZN2at6native12_GLOBAL__N_119CatArrayBatchedCopyINS1_10OpaqueTypeILj8EEEjLi4ELi64ELi64EEEvPT_NS1_25CatArrInputTensorMetadataIS5_T0_XT2_EXT3_EEENS1_16TensorSizeStrideIS8_Lj4EEEiS8_,"axG",@progbits,_ZN2at6native12_GLOBAL__N_119CatArrayBatchedCopyINS1_10OpaqueTypeILj8EEEjLi4ELi64ELi64EEEvPT_NS1_25CatArrInputTensorMetadataIS5_T0_XT2_EXT3_EEENS1_16TensorSizeStrideIS8_Lj4EEEiS8_,comdat
.Lfunc_end179:
	.size	_ZN2at6native12_GLOBAL__N_119CatArrayBatchedCopyINS1_10OpaqueTypeILj8EEEjLi4ELi64ELi64EEEvPT_NS1_25CatArrInputTensorMetadataIS5_T0_XT2_EXT3_EEENS1_16TensorSizeStrideIS8_Lj4EEEiS8_, .Lfunc_end179-_ZN2at6native12_GLOBAL__N_119CatArrayBatchedCopyINS1_10OpaqueTypeILj8EEEjLi4ELi64ELi64EEEvPT_NS1_25CatArrInputTensorMetadataIS5_T0_XT2_EXT3_EEENS1_16TensorSizeStrideIS8_Lj4EEEiS8_
                                        ; -- End function
	.set _ZN2at6native12_GLOBAL__N_119CatArrayBatchedCopyINS1_10OpaqueTypeILj8EEEjLi4ELi64ELi64EEEvPT_NS1_25CatArrInputTensorMetadataIS5_T0_XT2_EXT3_EEENS1_16TensorSizeStrideIS8_Lj4EEEiS8_.num_vgpr, 16
	.set _ZN2at6native12_GLOBAL__N_119CatArrayBatchedCopyINS1_10OpaqueTypeILj8EEEjLi4ELi64ELi64EEEvPT_NS1_25CatArrInputTensorMetadataIS5_T0_XT2_EXT3_EEENS1_16TensorSizeStrideIS8_Lj4EEEiS8_.num_agpr, 0
	.set _ZN2at6native12_GLOBAL__N_119CatArrayBatchedCopyINS1_10OpaqueTypeILj8EEEjLi4ELi64ELi64EEEvPT_NS1_25CatArrInputTensorMetadataIS5_T0_XT2_EXT3_EEENS1_16TensorSizeStrideIS8_Lj4EEEiS8_.numbered_sgpr, 32
	.set _ZN2at6native12_GLOBAL__N_119CatArrayBatchedCopyINS1_10OpaqueTypeILj8EEEjLi4ELi64ELi64EEEvPT_NS1_25CatArrInputTensorMetadataIS5_T0_XT2_EXT3_EEENS1_16TensorSizeStrideIS8_Lj4EEEiS8_.num_named_barrier, 0
	.set _ZN2at6native12_GLOBAL__N_119CatArrayBatchedCopyINS1_10OpaqueTypeILj8EEEjLi4ELi64ELi64EEEvPT_NS1_25CatArrInputTensorMetadataIS5_T0_XT2_EXT3_EEENS1_16TensorSizeStrideIS8_Lj4EEEiS8_.private_seg_size, 0
	.set _ZN2at6native12_GLOBAL__N_119CatArrayBatchedCopyINS1_10OpaqueTypeILj8EEEjLi4ELi64ELi64EEEvPT_NS1_25CatArrInputTensorMetadataIS5_T0_XT2_EXT3_EEENS1_16TensorSizeStrideIS8_Lj4EEEiS8_.uses_vcc, 1
	.set _ZN2at6native12_GLOBAL__N_119CatArrayBatchedCopyINS1_10OpaqueTypeILj8EEEjLi4ELi64ELi64EEEvPT_NS1_25CatArrInputTensorMetadataIS5_T0_XT2_EXT3_EEENS1_16TensorSizeStrideIS8_Lj4EEEiS8_.uses_flat_scratch, 0
	.set _ZN2at6native12_GLOBAL__N_119CatArrayBatchedCopyINS1_10OpaqueTypeILj8EEEjLi4ELi64ELi64EEEvPT_NS1_25CatArrInputTensorMetadataIS5_T0_XT2_EXT3_EEENS1_16TensorSizeStrideIS8_Lj4EEEiS8_.has_dyn_sized_stack, 0
	.set _ZN2at6native12_GLOBAL__N_119CatArrayBatchedCopyINS1_10OpaqueTypeILj8EEEjLi4ELi64ELi64EEEvPT_NS1_25CatArrInputTensorMetadataIS5_T0_XT2_EXT3_EEENS1_16TensorSizeStrideIS8_Lj4EEEiS8_.has_recursion, 0
	.set _ZN2at6native12_GLOBAL__N_119CatArrayBatchedCopyINS1_10OpaqueTypeILj8EEEjLi4ELi64ELi64EEEvPT_NS1_25CatArrInputTensorMetadataIS5_T0_XT2_EXT3_EEENS1_16TensorSizeStrideIS8_Lj4EEEiS8_.has_indirect_call, 0
	.section	.AMDGPU.csdata,"",@progbits
; Kernel info:
; codeLenInByte = 1204
; TotalNumSgprs: 38
; NumVgprs: 16
; NumAgprs: 0
; TotalNumVgprs: 16
; ScratchSize: 0
; MemoryBound: 0
; FloatMode: 240
; IeeeMode: 1
; LDSByteSize: 0 bytes/workgroup (compile time only)
; SGPRBlocks: 4
; VGPRBlocks: 1
; NumSGPRsForWavesPerEU: 38
; NumVGPRsForWavesPerEU: 16
; AccumOffset: 16
; Occupancy: 8
; WaveLimiterHint : 1
; COMPUTE_PGM_RSRC2:SCRATCH_EN: 0
; COMPUTE_PGM_RSRC2:USER_SGPR: 2
; COMPUTE_PGM_RSRC2:TRAP_HANDLER: 0
; COMPUTE_PGM_RSRC2:TGID_X_EN: 1
; COMPUTE_PGM_RSRC2:TGID_Y_EN: 1
; COMPUTE_PGM_RSRC2:TGID_Z_EN: 0
; COMPUTE_PGM_RSRC2:TIDIG_COMP_CNT: 0
; COMPUTE_PGM_RSRC3_GFX90A:ACCUM_OFFSET: 3
; COMPUTE_PGM_RSRC3_GFX90A:TG_SPLIT: 0
	.section	.text._ZN2at6native12_GLOBAL__N_130CatArrayBatchedCopy_vectorizedINS1_10OpaqueTypeILj16EEEjLi1ELi64ELi64ELi16ELi1EEEvPcNS1_25CatArrInputTensorMetadataIT_T0_XT2_EXT3_EEENS1_16TensorSizeStrideIS8_Lj4EEEiS8_,"axG",@progbits,_ZN2at6native12_GLOBAL__N_130CatArrayBatchedCopy_vectorizedINS1_10OpaqueTypeILj16EEEjLi1ELi64ELi64ELi16ELi1EEEvPcNS1_25CatArrInputTensorMetadataIT_T0_XT2_EXT3_EEENS1_16TensorSizeStrideIS8_Lj4EEEiS8_,comdat
	.globl	_ZN2at6native12_GLOBAL__N_130CatArrayBatchedCopy_vectorizedINS1_10OpaqueTypeILj16EEEjLi1ELi64ELi64ELi16ELi1EEEvPcNS1_25CatArrInputTensorMetadataIT_T0_XT2_EXT3_EEENS1_16TensorSizeStrideIS8_Lj4EEEiS8_ ; -- Begin function _ZN2at6native12_GLOBAL__N_130CatArrayBatchedCopy_vectorizedINS1_10OpaqueTypeILj16EEEjLi1ELi64ELi64ELi16ELi1EEEvPcNS1_25CatArrInputTensorMetadataIT_T0_XT2_EXT3_EEENS1_16TensorSizeStrideIS8_Lj4EEEiS8_
	.p2align	8
	.type	_ZN2at6native12_GLOBAL__N_130CatArrayBatchedCopy_vectorizedINS1_10OpaqueTypeILj16EEEjLi1ELi64ELi64ELi16ELi1EEEvPcNS1_25CatArrInputTensorMetadataIT_T0_XT2_EXT3_EEENS1_16TensorSizeStrideIS8_Lj4EEEiS8_,@function
_ZN2at6native12_GLOBAL__N_130CatArrayBatchedCopy_vectorizedINS1_10OpaqueTypeILj16EEEjLi1ELi64ELi64ELi16ELi1EEEvPcNS1_25CatArrInputTensorMetadataIT_T0_XT2_EXT3_EEENS1_16TensorSizeStrideIS8_Lj4EEEiS8_: ; @_ZN2at6native12_GLOBAL__N_130CatArrayBatchedCopy_vectorizedINS1_10OpaqueTypeILj16EEEjLi1ELi64ELi64ELi16ELi1EEEvPcNS1_25CatArrInputTensorMetadataIT_T0_XT2_EXT3_EEENS1_16TensorSizeStrideIS8_Lj4EEEiS8_
; %bb.0:
	s_mov_b32 s4, s3
	s_load_dword s3, s[0:1], 0xd7c
	s_add_u32 s6, s0, 0xd70
	s_mov_b32 s5, 0
	s_addc_u32 s7, s1, 0
	s_lshl_b64 s[8:9], s[4:5], 2
	s_waitcnt lgkmcnt(0)
	s_and_b32 s11, s3, 0xffff
	s_add_u32 s12, s0, s8
	s_addc_u32 s13, s1, s9
	s_load_dword s10, s[12:13], 0x408
	s_mul_i32 s2, s2, s11
	v_add_u32_e32 v0, s2, v0
	s_add_u32 s2, s12, 8
	s_addc_u32 s3, s13, 0
	s_waitcnt lgkmcnt(0)
	v_cmp_gt_u32_e32 vcc, s10, v0
	s_and_saveexec_b64 s[12:13], vcc
	s_cbranch_execz .LBB180_3
; %bb.1:
	s_load_dword s14, s[6:7], 0x0
	s_add_u32 s6, s2, s8
	s_addc_u32 s7, s3, s9
	s_sub_u32 s2, 0, s8
	s_subb_u32 s3, 0, s9
	s_add_u32 s8, s6, s2
	s_addc_u32 s9, s7, s3
	s_load_dword s4, s[8:9], 0x200
	s_load_dword s15, s[0:1], 0xd6c
	s_load_dwordx2 s[12:13], s[0:1], 0x0
	s_load_dwordx2 s[2:3], s[6:7], 0x0
	s_load_dword s16, s[0:1], 0xd58
	s_waitcnt lgkmcnt(0)
	s_mul_i32 s6, s14, s11
	s_mul_i32 s4, s4, s15
	s_lshl_b64 s[4:5], s[4:5], 4
	s_add_u32 s4, s12, s4
	s_mov_b64 s[0:1], 0
	s_addc_u32 s5, s13, s5
	v_mul_lo_u32 v2, s16, v0
	s_mul_i32 s7, s6, s16
	v_mov_b32_e32 v3, 0
.LBB180_2:                              ; =>This Inner Loop Header: Depth=1
	v_mov_b32_e32 v1, v3
	v_lshl_add_u64 v[4:5], v[0:1], 4, s[2:3]
	global_load_dwordx4 v[4:7], v[4:5], off
	v_add_u32_e32 v0, s6, v0
	v_cmp_le_u32_e32 vcc, s10, v0
	v_lshl_add_u64 v[8:9], v[2:3], 4, s[4:5]
	v_add_u32_e32 v2, s7, v2
	s_or_b64 s[0:1], vcc, s[0:1]
	s_waitcnt vmcnt(0)
	global_store_dwordx4 v[8:9], v[4:7], off
	s_andn2_b64 exec, exec, s[0:1]
	s_cbranch_execnz .LBB180_2
.LBB180_3:
	s_endpgm
	.section	.rodata,"a",@progbits
	.p2align	6, 0x0
	.amdhsa_kernel _ZN2at6native12_GLOBAL__N_130CatArrayBatchedCopy_vectorizedINS1_10OpaqueTypeILj16EEEjLi1ELi64ELi64ELi16ELi1EEEvPcNS1_25CatArrInputTensorMetadataIT_T0_XT2_EXT3_EEENS1_16TensorSizeStrideIS8_Lj4EEEiS8_
		.amdhsa_group_segment_fixed_size 0
		.amdhsa_private_segment_fixed_size 0
		.amdhsa_kernarg_size 3696
		.amdhsa_user_sgpr_count 2
		.amdhsa_user_sgpr_dispatch_ptr 0
		.amdhsa_user_sgpr_queue_ptr 0
		.amdhsa_user_sgpr_kernarg_segment_ptr 1
		.amdhsa_user_sgpr_dispatch_id 0
		.amdhsa_user_sgpr_kernarg_preload_length 0
		.amdhsa_user_sgpr_kernarg_preload_offset 0
		.amdhsa_user_sgpr_private_segment_size 0
		.amdhsa_uses_dynamic_stack 0
		.amdhsa_enable_private_segment 0
		.amdhsa_system_sgpr_workgroup_id_x 1
		.amdhsa_system_sgpr_workgroup_id_y 1
		.amdhsa_system_sgpr_workgroup_id_z 0
		.amdhsa_system_sgpr_workgroup_info 0
		.amdhsa_system_vgpr_workitem_id 0
		.amdhsa_next_free_vgpr 10
		.amdhsa_next_free_sgpr 17
		.amdhsa_accum_offset 12
		.amdhsa_reserve_vcc 1
		.amdhsa_float_round_mode_32 0
		.amdhsa_float_round_mode_16_64 0
		.amdhsa_float_denorm_mode_32 3
		.amdhsa_float_denorm_mode_16_64 3
		.amdhsa_dx10_clamp 1
		.amdhsa_ieee_mode 1
		.amdhsa_fp16_overflow 0
		.amdhsa_tg_split 0
		.amdhsa_exception_fp_ieee_invalid_op 0
		.amdhsa_exception_fp_denorm_src 0
		.amdhsa_exception_fp_ieee_div_zero 0
		.amdhsa_exception_fp_ieee_overflow 0
		.amdhsa_exception_fp_ieee_underflow 0
		.amdhsa_exception_fp_ieee_inexact 0
		.amdhsa_exception_int_div_zero 0
	.end_amdhsa_kernel
	.section	.text._ZN2at6native12_GLOBAL__N_130CatArrayBatchedCopy_vectorizedINS1_10OpaqueTypeILj16EEEjLi1ELi64ELi64ELi16ELi1EEEvPcNS1_25CatArrInputTensorMetadataIT_T0_XT2_EXT3_EEENS1_16TensorSizeStrideIS8_Lj4EEEiS8_,"axG",@progbits,_ZN2at6native12_GLOBAL__N_130CatArrayBatchedCopy_vectorizedINS1_10OpaqueTypeILj16EEEjLi1ELi64ELi64ELi16ELi1EEEvPcNS1_25CatArrInputTensorMetadataIT_T0_XT2_EXT3_EEENS1_16TensorSizeStrideIS8_Lj4EEEiS8_,comdat
.Lfunc_end180:
	.size	_ZN2at6native12_GLOBAL__N_130CatArrayBatchedCopy_vectorizedINS1_10OpaqueTypeILj16EEEjLi1ELi64ELi64ELi16ELi1EEEvPcNS1_25CatArrInputTensorMetadataIT_T0_XT2_EXT3_EEENS1_16TensorSizeStrideIS8_Lj4EEEiS8_, .Lfunc_end180-_ZN2at6native12_GLOBAL__N_130CatArrayBatchedCopy_vectorizedINS1_10OpaqueTypeILj16EEEjLi1ELi64ELi64ELi16ELi1EEEvPcNS1_25CatArrInputTensorMetadataIT_T0_XT2_EXT3_EEENS1_16TensorSizeStrideIS8_Lj4EEEiS8_
                                        ; -- End function
	.set _ZN2at6native12_GLOBAL__N_130CatArrayBatchedCopy_vectorizedINS1_10OpaqueTypeILj16EEEjLi1ELi64ELi64ELi16ELi1EEEvPcNS1_25CatArrInputTensorMetadataIT_T0_XT2_EXT3_EEENS1_16TensorSizeStrideIS8_Lj4EEEiS8_.num_vgpr, 10
	.set _ZN2at6native12_GLOBAL__N_130CatArrayBatchedCopy_vectorizedINS1_10OpaqueTypeILj16EEEjLi1ELi64ELi64ELi16ELi1EEEvPcNS1_25CatArrInputTensorMetadataIT_T0_XT2_EXT3_EEENS1_16TensorSizeStrideIS8_Lj4EEEiS8_.num_agpr, 0
	.set _ZN2at6native12_GLOBAL__N_130CatArrayBatchedCopy_vectorizedINS1_10OpaqueTypeILj16EEEjLi1ELi64ELi64ELi16ELi1EEEvPcNS1_25CatArrInputTensorMetadataIT_T0_XT2_EXT3_EEENS1_16TensorSizeStrideIS8_Lj4EEEiS8_.numbered_sgpr, 17
	.set _ZN2at6native12_GLOBAL__N_130CatArrayBatchedCopy_vectorizedINS1_10OpaqueTypeILj16EEEjLi1ELi64ELi64ELi16ELi1EEEvPcNS1_25CatArrInputTensorMetadataIT_T0_XT2_EXT3_EEENS1_16TensorSizeStrideIS8_Lj4EEEiS8_.num_named_barrier, 0
	.set _ZN2at6native12_GLOBAL__N_130CatArrayBatchedCopy_vectorizedINS1_10OpaqueTypeILj16EEEjLi1ELi64ELi64ELi16ELi1EEEvPcNS1_25CatArrInputTensorMetadataIT_T0_XT2_EXT3_EEENS1_16TensorSizeStrideIS8_Lj4EEEiS8_.private_seg_size, 0
	.set _ZN2at6native12_GLOBAL__N_130CatArrayBatchedCopy_vectorizedINS1_10OpaqueTypeILj16EEEjLi1ELi64ELi64ELi16ELi1EEEvPcNS1_25CatArrInputTensorMetadataIT_T0_XT2_EXT3_EEENS1_16TensorSizeStrideIS8_Lj4EEEiS8_.uses_vcc, 1
	.set _ZN2at6native12_GLOBAL__N_130CatArrayBatchedCopy_vectorizedINS1_10OpaqueTypeILj16EEEjLi1ELi64ELi64ELi16ELi1EEEvPcNS1_25CatArrInputTensorMetadataIT_T0_XT2_EXT3_EEENS1_16TensorSizeStrideIS8_Lj4EEEiS8_.uses_flat_scratch, 0
	.set _ZN2at6native12_GLOBAL__N_130CatArrayBatchedCopy_vectorizedINS1_10OpaqueTypeILj16EEEjLi1ELi64ELi64ELi16ELi1EEEvPcNS1_25CatArrInputTensorMetadataIT_T0_XT2_EXT3_EEENS1_16TensorSizeStrideIS8_Lj4EEEiS8_.has_dyn_sized_stack, 0
	.set _ZN2at6native12_GLOBAL__N_130CatArrayBatchedCopy_vectorizedINS1_10OpaqueTypeILj16EEEjLi1ELi64ELi64ELi16ELi1EEEvPcNS1_25CatArrInputTensorMetadataIT_T0_XT2_EXT3_EEENS1_16TensorSizeStrideIS8_Lj4EEEiS8_.has_recursion, 0
	.set _ZN2at6native12_GLOBAL__N_130CatArrayBatchedCopy_vectorizedINS1_10OpaqueTypeILj16EEEjLi1ELi64ELi64ELi16ELi1EEEvPcNS1_25CatArrInputTensorMetadataIT_T0_XT2_EXT3_EEENS1_16TensorSizeStrideIS8_Lj4EEEiS8_.has_indirect_call, 0
	.section	.AMDGPU.csdata,"",@progbits
; Kernel info:
; codeLenInByte = 276
; TotalNumSgprs: 23
; NumVgprs: 10
; NumAgprs: 0
; TotalNumVgprs: 10
; ScratchSize: 0
; MemoryBound: 0
; FloatMode: 240
; IeeeMode: 1
; LDSByteSize: 0 bytes/workgroup (compile time only)
; SGPRBlocks: 2
; VGPRBlocks: 1
; NumSGPRsForWavesPerEU: 23
; NumVGPRsForWavesPerEU: 10
; AccumOffset: 12
; Occupancy: 8
; WaveLimiterHint : 1
; COMPUTE_PGM_RSRC2:SCRATCH_EN: 0
; COMPUTE_PGM_RSRC2:USER_SGPR: 2
; COMPUTE_PGM_RSRC2:TRAP_HANDLER: 0
; COMPUTE_PGM_RSRC2:TGID_X_EN: 1
; COMPUTE_PGM_RSRC2:TGID_Y_EN: 1
; COMPUTE_PGM_RSRC2:TGID_Z_EN: 0
; COMPUTE_PGM_RSRC2:TIDIG_COMP_CNT: 0
; COMPUTE_PGM_RSRC3_GFX90A:ACCUM_OFFSET: 2
; COMPUTE_PGM_RSRC3_GFX90A:TG_SPLIT: 0
	.section	.text._ZN2at6native12_GLOBAL__N_135CatArrayBatchedCopy_alignedK_contigINS1_10OpaqueTypeILj16EEEjLi1ELi64ELi64ELi16EEEvPT_NS1_25CatArrInputTensorMetadataIS5_T0_XT2_EXT3_EEENS1_16TensorSizeStrideIS8_Lj4EEEiS8_,"axG",@progbits,_ZN2at6native12_GLOBAL__N_135CatArrayBatchedCopy_alignedK_contigINS1_10OpaqueTypeILj16EEEjLi1ELi64ELi64ELi16EEEvPT_NS1_25CatArrInputTensorMetadataIS5_T0_XT2_EXT3_EEENS1_16TensorSizeStrideIS8_Lj4EEEiS8_,comdat
	.globl	_ZN2at6native12_GLOBAL__N_135CatArrayBatchedCopy_alignedK_contigINS1_10OpaqueTypeILj16EEEjLi1ELi64ELi64ELi16EEEvPT_NS1_25CatArrInputTensorMetadataIS5_T0_XT2_EXT3_EEENS1_16TensorSizeStrideIS8_Lj4EEEiS8_ ; -- Begin function _ZN2at6native12_GLOBAL__N_135CatArrayBatchedCopy_alignedK_contigINS1_10OpaqueTypeILj16EEEjLi1ELi64ELi64ELi16EEEvPT_NS1_25CatArrInputTensorMetadataIS5_T0_XT2_EXT3_EEENS1_16TensorSizeStrideIS8_Lj4EEEiS8_
	.p2align	8
	.type	_ZN2at6native12_GLOBAL__N_135CatArrayBatchedCopy_alignedK_contigINS1_10OpaqueTypeILj16EEEjLi1ELi64ELi64ELi16EEEvPT_NS1_25CatArrInputTensorMetadataIS5_T0_XT2_EXT3_EEENS1_16TensorSizeStrideIS8_Lj4EEEiS8_,@function
_ZN2at6native12_GLOBAL__N_135CatArrayBatchedCopy_alignedK_contigINS1_10OpaqueTypeILj16EEEjLi1ELi64ELi64ELi16EEEvPT_NS1_25CatArrInputTensorMetadataIS5_T0_XT2_EXT3_EEENS1_16TensorSizeStrideIS8_Lj4EEEiS8_: ; @_ZN2at6native12_GLOBAL__N_135CatArrayBatchedCopy_alignedK_contigINS1_10OpaqueTypeILj16EEEjLi1ELi64ELi64ELi16EEEvPT_NS1_25CatArrInputTensorMetadataIS5_T0_XT2_EXT3_EEENS1_16TensorSizeStrideIS8_Lj4EEEiS8_
; %bb.0:
	s_mov_b32 s4, s3
	s_load_dword s3, s[0:1], 0xd7c
	s_add_u32 s6, s0, 0xd70
	s_mov_b32 s5, 0
	s_addc_u32 s7, s1, 0
	s_lshl_b64 s[4:5], s[4:5], 2
	s_waitcnt lgkmcnt(0)
	s_and_b32 s9, s3, 0xffff
	s_add_u32 s10, s0, s4
	s_addc_u32 s11, s1, s5
	s_load_dword s8, s[10:11], 0x408
	s_mul_i32 s2, s2, s9
	v_add_u32_e32 v0, s2, v0
	s_add_u32 s2, s10, 8
	s_addc_u32 s3, s11, 0
	s_waitcnt lgkmcnt(0)
	v_cmp_gt_u32_e32 vcc, s8, v0
	s_and_saveexec_b64 s[10:11], vcc
	s_cbranch_execz .LBB181_6
; %bb.1:
	s_add_u32 s10, s2, s4
	s_addc_u32 s11, s3, s5
	s_sub_u32 s2, 0, s4
	s_subb_u32 s3, 0, s5
	s_add_u32 s12, s10, s2
	s_load_dword s7, s[6:7], 0x0
	s_addc_u32 s13, s11, s3
	s_load_dword s14, s[12:13], 0x200
	s_load_dword s15, s[0:1], 0xd6c
	s_load_dwordx2 s[4:5], s[10:11], 0x0
	s_load_dword s6, s[0:1], 0xd58
	s_load_dwordx2 s[2:3], s[0:1], 0x0
	s_mov_b64 s[0:1], 0
	s_waitcnt lgkmcnt(0)
	s_mul_i32 s14, s14, s15
	s_mul_i32 s7, s7, s9
	v_mul_lo_u32 v1, s6, v0
	s_mul_i32 s9, s7, s6
	v_add_u32_e32 v2, s14, v1
	v_mov_b32_e32 v1, 0
.LBB181_2:                              ; =>This Inner Loop Header: Depth=1
	v_lshl_add_u64 v[4:5], v[0:1], 4, s[4:5]
	global_load_dwordx4 v[4:7], v[4:5], off
	v_mov_b32_e32 v3, v1
	v_add_u32_e32 v0, s7, v0
	v_lshl_add_u64 v[8:9], v[2:3], 4, s[2:3]
	v_add_u32_e32 v3, 1, v0
	v_cmp_lt_u32_e32 vcc, s8, v3
	v_add_u32_e32 v2, s9, v2
	s_or_b64 s[0:1], vcc, s[0:1]
	s_waitcnt vmcnt(0)
	global_store_dwordx4 v[8:9], v[4:7], off
	s_andn2_b64 exec, exec, s[0:1]
	s_cbranch_execnz .LBB181_2
; %bb.3:
	s_or_b64 exec, exec, s[0:1]
	v_cmp_gt_u32_e32 vcc, s8, v0
	s_and_b64 exec, exec, vcc
	s_cbranch_execz .LBB181_6
; %bb.4:
	v_mov_b32_e32 v3, 0
	v_mov_b32_e32 v1, v3
	v_lshl_add_u64 v[4:5], v[0:1], 4, s[4:5]
	s_mov_b64 s[0:1], 0
.LBB181_5:                              ; =>This Inner Loop Header: Depth=1
	global_load_dwordx4 v[6:9], v[4:5], off
	v_add_u32_e32 v0, 1, v0
	v_cmp_le_u32_e32 vcc, s8, v0
	v_lshl_add_u64 v[10:11], v[2:3], 4, s[2:3]
	v_lshl_add_u64 v[4:5], v[4:5], 0, 16
	v_add_u32_e32 v2, s6, v2
	s_or_b64 s[0:1], vcc, s[0:1]
	s_waitcnt vmcnt(0)
	global_store_dwordx4 v[10:11], v[6:9], off
	s_andn2_b64 exec, exec, s[0:1]
	s_cbranch_execnz .LBB181_5
.LBB181_6:
	s_endpgm
	.section	.rodata,"a",@progbits
	.p2align	6, 0x0
	.amdhsa_kernel _ZN2at6native12_GLOBAL__N_135CatArrayBatchedCopy_alignedK_contigINS1_10OpaqueTypeILj16EEEjLi1ELi64ELi64ELi16EEEvPT_NS1_25CatArrInputTensorMetadataIS5_T0_XT2_EXT3_EEENS1_16TensorSizeStrideIS8_Lj4EEEiS8_
		.amdhsa_group_segment_fixed_size 0
		.amdhsa_private_segment_fixed_size 0
		.amdhsa_kernarg_size 3696
		.amdhsa_user_sgpr_count 2
		.amdhsa_user_sgpr_dispatch_ptr 0
		.amdhsa_user_sgpr_queue_ptr 0
		.amdhsa_user_sgpr_kernarg_segment_ptr 1
		.amdhsa_user_sgpr_dispatch_id 0
		.amdhsa_user_sgpr_kernarg_preload_length 0
		.amdhsa_user_sgpr_kernarg_preload_offset 0
		.amdhsa_user_sgpr_private_segment_size 0
		.amdhsa_uses_dynamic_stack 0
		.amdhsa_enable_private_segment 0
		.amdhsa_system_sgpr_workgroup_id_x 1
		.amdhsa_system_sgpr_workgroup_id_y 1
		.amdhsa_system_sgpr_workgroup_id_z 0
		.amdhsa_system_sgpr_workgroup_info 0
		.amdhsa_system_vgpr_workitem_id 0
		.amdhsa_next_free_vgpr 12
		.amdhsa_next_free_sgpr 16
		.amdhsa_accum_offset 12
		.amdhsa_reserve_vcc 1
		.amdhsa_float_round_mode_32 0
		.amdhsa_float_round_mode_16_64 0
		.amdhsa_float_denorm_mode_32 3
		.amdhsa_float_denorm_mode_16_64 3
		.amdhsa_dx10_clamp 1
		.amdhsa_ieee_mode 1
		.amdhsa_fp16_overflow 0
		.amdhsa_tg_split 0
		.amdhsa_exception_fp_ieee_invalid_op 0
		.amdhsa_exception_fp_denorm_src 0
		.amdhsa_exception_fp_ieee_div_zero 0
		.amdhsa_exception_fp_ieee_overflow 0
		.amdhsa_exception_fp_ieee_underflow 0
		.amdhsa_exception_fp_ieee_inexact 0
		.amdhsa_exception_int_div_zero 0
	.end_amdhsa_kernel
	.section	.text._ZN2at6native12_GLOBAL__N_135CatArrayBatchedCopy_alignedK_contigINS1_10OpaqueTypeILj16EEEjLi1ELi64ELi64ELi16EEEvPT_NS1_25CatArrInputTensorMetadataIS5_T0_XT2_EXT3_EEENS1_16TensorSizeStrideIS8_Lj4EEEiS8_,"axG",@progbits,_ZN2at6native12_GLOBAL__N_135CatArrayBatchedCopy_alignedK_contigINS1_10OpaqueTypeILj16EEEjLi1ELi64ELi64ELi16EEEvPT_NS1_25CatArrInputTensorMetadataIS5_T0_XT2_EXT3_EEENS1_16TensorSizeStrideIS8_Lj4EEEiS8_,comdat
.Lfunc_end181:
	.size	_ZN2at6native12_GLOBAL__N_135CatArrayBatchedCopy_alignedK_contigINS1_10OpaqueTypeILj16EEEjLi1ELi64ELi64ELi16EEEvPT_NS1_25CatArrInputTensorMetadataIS5_T0_XT2_EXT3_EEENS1_16TensorSizeStrideIS8_Lj4EEEiS8_, .Lfunc_end181-_ZN2at6native12_GLOBAL__N_135CatArrayBatchedCopy_alignedK_contigINS1_10OpaqueTypeILj16EEEjLi1ELi64ELi64ELi16EEEvPT_NS1_25CatArrInputTensorMetadataIS5_T0_XT2_EXT3_EEENS1_16TensorSizeStrideIS8_Lj4EEEiS8_
                                        ; -- End function
	.set _ZN2at6native12_GLOBAL__N_135CatArrayBatchedCopy_alignedK_contigINS1_10OpaqueTypeILj16EEEjLi1ELi64ELi64ELi16EEEvPT_NS1_25CatArrInputTensorMetadataIS5_T0_XT2_EXT3_EEENS1_16TensorSizeStrideIS8_Lj4EEEiS8_.num_vgpr, 12
	.set _ZN2at6native12_GLOBAL__N_135CatArrayBatchedCopy_alignedK_contigINS1_10OpaqueTypeILj16EEEjLi1ELi64ELi64ELi16EEEvPT_NS1_25CatArrInputTensorMetadataIS5_T0_XT2_EXT3_EEENS1_16TensorSizeStrideIS8_Lj4EEEiS8_.num_agpr, 0
	.set _ZN2at6native12_GLOBAL__N_135CatArrayBatchedCopy_alignedK_contigINS1_10OpaqueTypeILj16EEEjLi1ELi64ELi64ELi16EEEvPT_NS1_25CatArrInputTensorMetadataIS5_T0_XT2_EXT3_EEENS1_16TensorSizeStrideIS8_Lj4EEEiS8_.numbered_sgpr, 16
	.set _ZN2at6native12_GLOBAL__N_135CatArrayBatchedCopy_alignedK_contigINS1_10OpaqueTypeILj16EEEjLi1ELi64ELi64ELi16EEEvPT_NS1_25CatArrInputTensorMetadataIS5_T0_XT2_EXT3_EEENS1_16TensorSizeStrideIS8_Lj4EEEiS8_.num_named_barrier, 0
	.set _ZN2at6native12_GLOBAL__N_135CatArrayBatchedCopy_alignedK_contigINS1_10OpaqueTypeILj16EEEjLi1ELi64ELi64ELi16EEEvPT_NS1_25CatArrInputTensorMetadataIS5_T0_XT2_EXT3_EEENS1_16TensorSizeStrideIS8_Lj4EEEiS8_.private_seg_size, 0
	.set _ZN2at6native12_GLOBAL__N_135CatArrayBatchedCopy_alignedK_contigINS1_10OpaqueTypeILj16EEEjLi1ELi64ELi64ELi16EEEvPT_NS1_25CatArrInputTensorMetadataIS5_T0_XT2_EXT3_EEENS1_16TensorSizeStrideIS8_Lj4EEEiS8_.uses_vcc, 1
	.set _ZN2at6native12_GLOBAL__N_135CatArrayBatchedCopy_alignedK_contigINS1_10OpaqueTypeILj16EEEjLi1ELi64ELi64ELi16EEEvPT_NS1_25CatArrInputTensorMetadataIS5_T0_XT2_EXT3_EEENS1_16TensorSizeStrideIS8_Lj4EEEiS8_.uses_flat_scratch, 0
	.set _ZN2at6native12_GLOBAL__N_135CatArrayBatchedCopy_alignedK_contigINS1_10OpaqueTypeILj16EEEjLi1ELi64ELi64ELi16EEEvPT_NS1_25CatArrInputTensorMetadataIS5_T0_XT2_EXT3_EEENS1_16TensorSizeStrideIS8_Lj4EEEiS8_.has_dyn_sized_stack, 0
	.set _ZN2at6native12_GLOBAL__N_135CatArrayBatchedCopy_alignedK_contigINS1_10OpaqueTypeILj16EEEjLi1ELi64ELi64ELi16EEEvPT_NS1_25CatArrInputTensorMetadataIS5_T0_XT2_EXT3_EEENS1_16TensorSizeStrideIS8_Lj4EEEiS8_.has_recursion, 0
	.set _ZN2at6native12_GLOBAL__N_135CatArrayBatchedCopy_alignedK_contigINS1_10OpaqueTypeILj16EEEjLi1ELi64ELi64ELi16EEEvPT_NS1_25CatArrInputTensorMetadataIS5_T0_XT2_EXT3_EEENS1_16TensorSizeStrideIS8_Lj4EEEiS8_.has_indirect_call, 0
	.section	.AMDGPU.csdata,"",@progbits
; Kernel info:
; codeLenInByte = 368
; TotalNumSgprs: 22
; NumVgprs: 12
; NumAgprs: 0
; TotalNumVgprs: 12
; ScratchSize: 0
; MemoryBound: 0
; FloatMode: 240
; IeeeMode: 1
; LDSByteSize: 0 bytes/workgroup (compile time only)
; SGPRBlocks: 2
; VGPRBlocks: 1
; NumSGPRsForWavesPerEU: 22
; NumVGPRsForWavesPerEU: 12
; AccumOffset: 12
; Occupancy: 8
; WaveLimiterHint : 1
; COMPUTE_PGM_RSRC2:SCRATCH_EN: 0
; COMPUTE_PGM_RSRC2:USER_SGPR: 2
; COMPUTE_PGM_RSRC2:TRAP_HANDLER: 0
; COMPUTE_PGM_RSRC2:TGID_X_EN: 1
; COMPUTE_PGM_RSRC2:TGID_Y_EN: 1
; COMPUTE_PGM_RSRC2:TGID_Z_EN: 0
; COMPUTE_PGM_RSRC2:TIDIG_COMP_CNT: 0
; COMPUTE_PGM_RSRC3_GFX90A:ACCUM_OFFSET: 2
; COMPUTE_PGM_RSRC3_GFX90A:TG_SPLIT: 0
	.section	.text._ZN2at6native12_GLOBAL__N_135CatArrayBatchedCopy_alignedK_contigINS1_10OpaqueTypeILj16EEEjLi1ELi64ELi64ELi8EEEvPT_NS1_25CatArrInputTensorMetadataIS5_T0_XT2_EXT3_EEENS1_16TensorSizeStrideIS8_Lj4EEEiS8_,"axG",@progbits,_ZN2at6native12_GLOBAL__N_135CatArrayBatchedCopy_alignedK_contigINS1_10OpaqueTypeILj16EEEjLi1ELi64ELi64ELi8EEEvPT_NS1_25CatArrInputTensorMetadataIS5_T0_XT2_EXT3_EEENS1_16TensorSizeStrideIS8_Lj4EEEiS8_,comdat
	.globl	_ZN2at6native12_GLOBAL__N_135CatArrayBatchedCopy_alignedK_contigINS1_10OpaqueTypeILj16EEEjLi1ELi64ELi64ELi8EEEvPT_NS1_25CatArrInputTensorMetadataIS5_T0_XT2_EXT3_EEENS1_16TensorSizeStrideIS8_Lj4EEEiS8_ ; -- Begin function _ZN2at6native12_GLOBAL__N_135CatArrayBatchedCopy_alignedK_contigINS1_10OpaqueTypeILj16EEEjLi1ELi64ELi64ELi8EEEvPT_NS1_25CatArrInputTensorMetadataIS5_T0_XT2_EXT3_EEENS1_16TensorSizeStrideIS8_Lj4EEEiS8_
	.p2align	8
	.type	_ZN2at6native12_GLOBAL__N_135CatArrayBatchedCopy_alignedK_contigINS1_10OpaqueTypeILj16EEEjLi1ELi64ELi64ELi8EEEvPT_NS1_25CatArrInputTensorMetadataIS5_T0_XT2_EXT3_EEENS1_16TensorSizeStrideIS8_Lj4EEEiS8_,@function
_ZN2at6native12_GLOBAL__N_135CatArrayBatchedCopy_alignedK_contigINS1_10OpaqueTypeILj16EEEjLi1ELi64ELi64ELi8EEEvPT_NS1_25CatArrInputTensorMetadataIS5_T0_XT2_EXT3_EEENS1_16TensorSizeStrideIS8_Lj4EEEiS8_: ; @_ZN2at6native12_GLOBAL__N_135CatArrayBatchedCopy_alignedK_contigINS1_10OpaqueTypeILj16EEEjLi1ELi64ELi64ELi8EEEvPT_NS1_25CatArrInputTensorMetadataIS5_T0_XT2_EXT3_EEENS1_16TensorSizeStrideIS8_Lj4EEEiS8_
; %bb.0:
	s_mov_b32 s4, s3
	s_load_dword s3, s[0:1], 0xd7c
	s_add_u32 s6, s0, 0xd70
	s_mov_b32 s5, 0
	s_addc_u32 s7, s1, 0
	s_lshl_b64 s[4:5], s[4:5], 2
	s_waitcnt lgkmcnt(0)
	s_and_b32 s9, s3, 0xffff
	s_add_u32 s10, s0, s4
	s_addc_u32 s11, s1, s5
	s_load_dword s8, s[10:11], 0x408
	s_mul_i32 s2, s2, s9
	v_add_u32_e32 v0, s2, v0
	s_add_u32 s2, s10, 8
	s_addc_u32 s3, s11, 0
	s_waitcnt lgkmcnt(0)
	v_cmp_gt_u32_e32 vcc, s8, v0
	s_and_saveexec_b64 s[10:11], vcc
	s_cbranch_execz .LBB182_6
; %bb.1:
	s_add_u32 s10, s2, s4
	s_addc_u32 s11, s3, s5
	s_sub_u32 s2, 0, s4
	s_subb_u32 s3, 0, s5
	s_add_u32 s12, s10, s2
	s_load_dword s7, s[6:7], 0x0
	s_addc_u32 s13, s11, s3
	s_load_dword s14, s[12:13], 0x200
	s_load_dword s15, s[0:1], 0xd6c
	s_load_dwordx2 s[4:5], s[10:11], 0x0
	s_load_dword s6, s[0:1], 0xd58
	s_load_dwordx2 s[2:3], s[0:1], 0x0
	s_mov_b64 s[0:1], 0
	s_waitcnt lgkmcnt(0)
	s_mul_i32 s14, s14, s15
	s_mul_i32 s7, s7, s9
	v_mul_lo_u32 v1, s6, v0
	s_mul_i32 s9, s7, s6
	v_add_u32_e32 v2, s14, v1
	v_mov_b32_e32 v1, 0
.LBB182_2:                              ; =>This Inner Loop Header: Depth=1
	v_lshl_add_u64 v[4:5], v[0:1], 4, s[4:5]
	global_load_dwordx4 v[4:7], v[4:5], off
	v_mov_b32_e32 v3, v1
	v_add_u32_e32 v0, s7, v0
	v_lshl_add_u64 v[8:9], v[2:3], 4, s[2:3]
	v_add_u32_e32 v3, 1, v0
	v_cmp_lt_u32_e32 vcc, s8, v3
	v_add_u32_e32 v2, s9, v2
	s_or_b64 s[0:1], vcc, s[0:1]
	s_waitcnt vmcnt(0)
	global_store_dwordx4 v[8:9], v[4:7], off
	s_andn2_b64 exec, exec, s[0:1]
	s_cbranch_execnz .LBB182_2
; %bb.3:
	s_or_b64 exec, exec, s[0:1]
	v_cmp_gt_u32_e32 vcc, s8, v0
	s_and_b64 exec, exec, vcc
	s_cbranch_execz .LBB182_6
; %bb.4:
	v_mov_b32_e32 v3, 0
	v_mov_b32_e32 v1, v3
	v_lshl_add_u64 v[4:5], v[0:1], 4, s[4:5]
	s_mov_b64 s[0:1], 0
.LBB182_5:                              ; =>This Inner Loop Header: Depth=1
	global_load_dwordx4 v[6:9], v[4:5], off
	v_add_u32_e32 v0, 1, v0
	v_cmp_le_u32_e32 vcc, s8, v0
	v_lshl_add_u64 v[10:11], v[2:3], 4, s[2:3]
	v_lshl_add_u64 v[4:5], v[4:5], 0, 16
	v_add_u32_e32 v2, s6, v2
	s_or_b64 s[0:1], vcc, s[0:1]
	s_waitcnt vmcnt(0)
	global_store_dwordx4 v[10:11], v[6:9], off
	s_andn2_b64 exec, exec, s[0:1]
	s_cbranch_execnz .LBB182_5
.LBB182_6:
	s_endpgm
	.section	.rodata,"a",@progbits
	.p2align	6, 0x0
	.amdhsa_kernel _ZN2at6native12_GLOBAL__N_135CatArrayBatchedCopy_alignedK_contigINS1_10OpaqueTypeILj16EEEjLi1ELi64ELi64ELi8EEEvPT_NS1_25CatArrInputTensorMetadataIS5_T0_XT2_EXT3_EEENS1_16TensorSizeStrideIS8_Lj4EEEiS8_
		.amdhsa_group_segment_fixed_size 0
		.amdhsa_private_segment_fixed_size 0
		.amdhsa_kernarg_size 3696
		.amdhsa_user_sgpr_count 2
		.amdhsa_user_sgpr_dispatch_ptr 0
		.amdhsa_user_sgpr_queue_ptr 0
		.amdhsa_user_sgpr_kernarg_segment_ptr 1
		.amdhsa_user_sgpr_dispatch_id 0
		.amdhsa_user_sgpr_kernarg_preload_length 0
		.amdhsa_user_sgpr_kernarg_preload_offset 0
		.amdhsa_user_sgpr_private_segment_size 0
		.amdhsa_uses_dynamic_stack 0
		.amdhsa_enable_private_segment 0
		.amdhsa_system_sgpr_workgroup_id_x 1
		.amdhsa_system_sgpr_workgroup_id_y 1
		.amdhsa_system_sgpr_workgroup_id_z 0
		.amdhsa_system_sgpr_workgroup_info 0
		.amdhsa_system_vgpr_workitem_id 0
		.amdhsa_next_free_vgpr 12
		.amdhsa_next_free_sgpr 16
		.amdhsa_accum_offset 12
		.amdhsa_reserve_vcc 1
		.amdhsa_float_round_mode_32 0
		.amdhsa_float_round_mode_16_64 0
		.amdhsa_float_denorm_mode_32 3
		.amdhsa_float_denorm_mode_16_64 3
		.amdhsa_dx10_clamp 1
		.amdhsa_ieee_mode 1
		.amdhsa_fp16_overflow 0
		.amdhsa_tg_split 0
		.amdhsa_exception_fp_ieee_invalid_op 0
		.amdhsa_exception_fp_denorm_src 0
		.amdhsa_exception_fp_ieee_div_zero 0
		.amdhsa_exception_fp_ieee_overflow 0
		.amdhsa_exception_fp_ieee_underflow 0
		.amdhsa_exception_fp_ieee_inexact 0
		.amdhsa_exception_int_div_zero 0
	.end_amdhsa_kernel
	.section	.text._ZN2at6native12_GLOBAL__N_135CatArrayBatchedCopy_alignedK_contigINS1_10OpaqueTypeILj16EEEjLi1ELi64ELi64ELi8EEEvPT_NS1_25CatArrInputTensorMetadataIS5_T0_XT2_EXT3_EEENS1_16TensorSizeStrideIS8_Lj4EEEiS8_,"axG",@progbits,_ZN2at6native12_GLOBAL__N_135CatArrayBatchedCopy_alignedK_contigINS1_10OpaqueTypeILj16EEEjLi1ELi64ELi64ELi8EEEvPT_NS1_25CatArrInputTensorMetadataIS5_T0_XT2_EXT3_EEENS1_16TensorSizeStrideIS8_Lj4EEEiS8_,comdat
.Lfunc_end182:
	.size	_ZN2at6native12_GLOBAL__N_135CatArrayBatchedCopy_alignedK_contigINS1_10OpaqueTypeILj16EEEjLi1ELi64ELi64ELi8EEEvPT_NS1_25CatArrInputTensorMetadataIS5_T0_XT2_EXT3_EEENS1_16TensorSizeStrideIS8_Lj4EEEiS8_, .Lfunc_end182-_ZN2at6native12_GLOBAL__N_135CatArrayBatchedCopy_alignedK_contigINS1_10OpaqueTypeILj16EEEjLi1ELi64ELi64ELi8EEEvPT_NS1_25CatArrInputTensorMetadataIS5_T0_XT2_EXT3_EEENS1_16TensorSizeStrideIS8_Lj4EEEiS8_
                                        ; -- End function
	.set _ZN2at6native12_GLOBAL__N_135CatArrayBatchedCopy_alignedK_contigINS1_10OpaqueTypeILj16EEEjLi1ELi64ELi64ELi8EEEvPT_NS1_25CatArrInputTensorMetadataIS5_T0_XT2_EXT3_EEENS1_16TensorSizeStrideIS8_Lj4EEEiS8_.num_vgpr, 12
	.set _ZN2at6native12_GLOBAL__N_135CatArrayBatchedCopy_alignedK_contigINS1_10OpaqueTypeILj16EEEjLi1ELi64ELi64ELi8EEEvPT_NS1_25CatArrInputTensorMetadataIS5_T0_XT2_EXT3_EEENS1_16TensorSizeStrideIS8_Lj4EEEiS8_.num_agpr, 0
	.set _ZN2at6native12_GLOBAL__N_135CatArrayBatchedCopy_alignedK_contigINS1_10OpaqueTypeILj16EEEjLi1ELi64ELi64ELi8EEEvPT_NS1_25CatArrInputTensorMetadataIS5_T0_XT2_EXT3_EEENS1_16TensorSizeStrideIS8_Lj4EEEiS8_.numbered_sgpr, 16
	.set _ZN2at6native12_GLOBAL__N_135CatArrayBatchedCopy_alignedK_contigINS1_10OpaqueTypeILj16EEEjLi1ELi64ELi64ELi8EEEvPT_NS1_25CatArrInputTensorMetadataIS5_T0_XT2_EXT3_EEENS1_16TensorSizeStrideIS8_Lj4EEEiS8_.num_named_barrier, 0
	.set _ZN2at6native12_GLOBAL__N_135CatArrayBatchedCopy_alignedK_contigINS1_10OpaqueTypeILj16EEEjLi1ELi64ELi64ELi8EEEvPT_NS1_25CatArrInputTensorMetadataIS5_T0_XT2_EXT3_EEENS1_16TensorSizeStrideIS8_Lj4EEEiS8_.private_seg_size, 0
	.set _ZN2at6native12_GLOBAL__N_135CatArrayBatchedCopy_alignedK_contigINS1_10OpaqueTypeILj16EEEjLi1ELi64ELi64ELi8EEEvPT_NS1_25CatArrInputTensorMetadataIS5_T0_XT2_EXT3_EEENS1_16TensorSizeStrideIS8_Lj4EEEiS8_.uses_vcc, 1
	.set _ZN2at6native12_GLOBAL__N_135CatArrayBatchedCopy_alignedK_contigINS1_10OpaqueTypeILj16EEEjLi1ELi64ELi64ELi8EEEvPT_NS1_25CatArrInputTensorMetadataIS5_T0_XT2_EXT3_EEENS1_16TensorSizeStrideIS8_Lj4EEEiS8_.uses_flat_scratch, 0
	.set _ZN2at6native12_GLOBAL__N_135CatArrayBatchedCopy_alignedK_contigINS1_10OpaqueTypeILj16EEEjLi1ELi64ELi64ELi8EEEvPT_NS1_25CatArrInputTensorMetadataIS5_T0_XT2_EXT3_EEENS1_16TensorSizeStrideIS8_Lj4EEEiS8_.has_dyn_sized_stack, 0
	.set _ZN2at6native12_GLOBAL__N_135CatArrayBatchedCopy_alignedK_contigINS1_10OpaqueTypeILj16EEEjLi1ELi64ELi64ELi8EEEvPT_NS1_25CatArrInputTensorMetadataIS5_T0_XT2_EXT3_EEENS1_16TensorSizeStrideIS8_Lj4EEEiS8_.has_recursion, 0
	.set _ZN2at6native12_GLOBAL__N_135CatArrayBatchedCopy_alignedK_contigINS1_10OpaqueTypeILj16EEEjLi1ELi64ELi64ELi8EEEvPT_NS1_25CatArrInputTensorMetadataIS5_T0_XT2_EXT3_EEENS1_16TensorSizeStrideIS8_Lj4EEEiS8_.has_indirect_call, 0
	.section	.AMDGPU.csdata,"",@progbits
; Kernel info:
; codeLenInByte = 368
; TotalNumSgprs: 22
; NumVgprs: 12
; NumAgprs: 0
; TotalNumVgprs: 12
; ScratchSize: 0
; MemoryBound: 0
; FloatMode: 240
; IeeeMode: 1
; LDSByteSize: 0 bytes/workgroup (compile time only)
; SGPRBlocks: 2
; VGPRBlocks: 1
; NumSGPRsForWavesPerEU: 22
; NumVGPRsForWavesPerEU: 12
; AccumOffset: 12
; Occupancy: 8
; WaveLimiterHint : 1
; COMPUTE_PGM_RSRC2:SCRATCH_EN: 0
; COMPUTE_PGM_RSRC2:USER_SGPR: 2
; COMPUTE_PGM_RSRC2:TRAP_HANDLER: 0
; COMPUTE_PGM_RSRC2:TGID_X_EN: 1
; COMPUTE_PGM_RSRC2:TGID_Y_EN: 1
; COMPUTE_PGM_RSRC2:TGID_Z_EN: 0
; COMPUTE_PGM_RSRC2:TIDIG_COMP_CNT: 0
; COMPUTE_PGM_RSRC3_GFX90A:ACCUM_OFFSET: 2
; COMPUTE_PGM_RSRC3_GFX90A:TG_SPLIT: 0
	.section	.text._ZN2at6native12_GLOBAL__N_126CatArrayBatchedCopy_contigINS1_10OpaqueTypeILj16EEEjLi1ELi64ELi64EEEvPT_NS1_25CatArrInputTensorMetadataIS5_T0_XT2_EXT3_EEENS1_16TensorSizeStrideIS8_Lj4EEEiS8_,"axG",@progbits,_ZN2at6native12_GLOBAL__N_126CatArrayBatchedCopy_contigINS1_10OpaqueTypeILj16EEEjLi1ELi64ELi64EEEvPT_NS1_25CatArrInputTensorMetadataIS5_T0_XT2_EXT3_EEENS1_16TensorSizeStrideIS8_Lj4EEEiS8_,comdat
	.globl	_ZN2at6native12_GLOBAL__N_126CatArrayBatchedCopy_contigINS1_10OpaqueTypeILj16EEEjLi1ELi64ELi64EEEvPT_NS1_25CatArrInputTensorMetadataIS5_T0_XT2_EXT3_EEENS1_16TensorSizeStrideIS8_Lj4EEEiS8_ ; -- Begin function _ZN2at6native12_GLOBAL__N_126CatArrayBatchedCopy_contigINS1_10OpaqueTypeILj16EEEjLi1ELi64ELi64EEEvPT_NS1_25CatArrInputTensorMetadataIS5_T0_XT2_EXT3_EEENS1_16TensorSizeStrideIS8_Lj4EEEiS8_
	.p2align	8
	.type	_ZN2at6native12_GLOBAL__N_126CatArrayBatchedCopy_contigINS1_10OpaqueTypeILj16EEEjLi1ELi64ELi64EEEvPT_NS1_25CatArrInputTensorMetadataIS5_T0_XT2_EXT3_EEENS1_16TensorSizeStrideIS8_Lj4EEEiS8_,@function
_ZN2at6native12_GLOBAL__N_126CatArrayBatchedCopy_contigINS1_10OpaqueTypeILj16EEEjLi1ELi64ELi64EEEvPT_NS1_25CatArrInputTensorMetadataIS5_T0_XT2_EXT3_EEENS1_16TensorSizeStrideIS8_Lj4EEEiS8_: ; @_ZN2at6native12_GLOBAL__N_126CatArrayBatchedCopy_contigINS1_10OpaqueTypeILj16EEEjLi1ELi64ELi64EEEvPT_NS1_25CatArrInputTensorMetadataIS5_T0_XT2_EXT3_EEENS1_16TensorSizeStrideIS8_Lj4EEEiS8_
; %bb.0:
	s_mov_b32 s6, s3
	s_load_dword s3, s[0:1], 0xd7c
	s_add_u32 s4, s0, 0xd70
	s_mov_b32 s7, 0
	s_addc_u32 s5, s1, 0
	s_lshl_b64 s[6:7], s[6:7], 2
	s_waitcnt lgkmcnt(0)
	s_and_b32 s9, s3, 0xffff
	s_add_u32 s10, s0, s6
	s_addc_u32 s11, s1, s7
	s_load_dword s8, s[10:11], 0x408
	s_mul_i32 s2, s2, s9
	v_add_u32_e32 v0, s2, v0
	s_add_u32 s2, s10, 8
	s_addc_u32 s3, s11, 0
	s_waitcnt lgkmcnt(0)
	v_cmp_gt_u32_e32 vcc, s8, v0
	s_and_saveexec_b64 s[10:11], vcc
	s_cbranch_execz .LBB183_3
; %bb.1:
	s_add_u32 s10, s2, s6
	s_addc_u32 s11, s3, s7
	s_sub_u32 s2, 0, s6
	s_subb_u32 s3, 0, s7
	s_add_u32 s6, s10, s2
	s_load_dword s12, s[4:5], 0x0
	s_addc_u32 s7, s11, s3
	s_load_dword s13, s[6:7], 0x200
	s_load_dword s14, s[0:1], 0xd6c
	s_load_dwordx2 s[2:3], s[10:11], 0x0
	s_load_dword s15, s[0:1], 0xd58
	s_load_dwordx2 s[4:5], s[0:1], 0x0
	s_mov_b64 s[0:1], 0
	s_waitcnt lgkmcnt(0)
	s_mul_i32 s13, s13, s14
	s_mul_i32 s6, s12, s9
	v_mul_lo_u32 v1, s15, v0
	v_add_u32_e32 v2, s13, v1
	s_mul_i32 s7, s6, s15
	v_mov_b32_e32 v1, 0
.LBB183_2:                              ; =>This Inner Loop Header: Depth=1
	v_lshl_add_u64 v[4:5], v[0:1], 4, s[2:3]
	global_load_dwordx4 v[4:7], v[4:5], off
	v_add_u32_e32 v0, s6, v0
	v_mov_b32_e32 v3, v1
	v_cmp_le_u32_e32 vcc, s8, v0
	v_lshl_add_u64 v[8:9], v[2:3], 4, s[4:5]
	v_add_u32_e32 v2, s7, v2
	s_or_b64 s[0:1], vcc, s[0:1]
	s_waitcnt vmcnt(0)
	global_store_dwordx4 v[8:9], v[4:7], off
	s_andn2_b64 exec, exec, s[0:1]
	s_cbranch_execnz .LBB183_2
.LBB183_3:
	s_endpgm
	.section	.rodata,"a",@progbits
	.p2align	6, 0x0
	.amdhsa_kernel _ZN2at6native12_GLOBAL__N_126CatArrayBatchedCopy_contigINS1_10OpaqueTypeILj16EEEjLi1ELi64ELi64EEEvPT_NS1_25CatArrInputTensorMetadataIS5_T0_XT2_EXT3_EEENS1_16TensorSizeStrideIS8_Lj4EEEiS8_
		.amdhsa_group_segment_fixed_size 0
		.amdhsa_private_segment_fixed_size 0
		.amdhsa_kernarg_size 3696
		.amdhsa_user_sgpr_count 2
		.amdhsa_user_sgpr_dispatch_ptr 0
		.amdhsa_user_sgpr_queue_ptr 0
		.amdhsa_user_sgpr_kernarg_segment_ptr 1
		.amdhsa_user_sgpr_dispatch_id 0
		.amdhsa_user_sgpr_kernarg_preload_length 0
		.amdhsa_user_sgpr_kernarg_preload_offset 0
		.amdhsa_user_sgpr_private_segment_size 0
		.amdhsa_uses_dynamic_stack 0
		.amdhsa_enable_private_segment 0
		.amdhsa_system_sgpr_workgroup_id_x 1
		.amdhsa_system_sgpr_workgroup_id_y 1
		.amdhsa_system_sgpr_workgroup_id_z 0
		.amdhsa_system_sgpr_workgroup_info 0
		.amdhsa_system_vgpr_workitem_id 0
		.amdhsa_next_free_vgpr 10
		.amdhsa_next_free_sgpr 16
		.amdhsa_accum_offset 12
		.amdhsa_reserve_vcc 1
		.amdhsa_float_round_mode_32 0
		.amdhsa_float_round_mode_16_64 0
		.amdhsa_float_denorm_mode_32 3
		.amdhsa_float_denorm_mode_16_64 3
		.amdhsa_dx10_clamp 1
		.amdhsa_ieee_mode 1
		.amdhsa_fp16_overflow 0
		.amdhsa_tg_split 0
		.amdhsa_exception_fp_ieee_invalid_op 0
		.amdhsa_exception_fp_denorm_src 0
		.amdhsa_exception_fp_ieee_div_zero 0
		.amdhsa_exception_fp_ieee_overflow 0
		.amdhsa_exception_fp_ieee_underflow 0
		.amdhsa_exception_fp_ieee_inexact 0
		.amdhsa_exception_int_div_zero 0
	.end_amdhsa_kernel
	.section	.text._ZN2at6native12_GLOBAL__N_126CatArrayBatchedCopy_contigINS1_10OpaqueTypeILj16EEEjLi1ELi64ELi64EEEvPT_NS1_25CatArrInputTensorMetadataIS5_T0_XT2_EXT3_EEENS1_16TensorSizeStrideIS8_Lj4EEEiS8_,"axG",@progbits,_ZN2at6native12_GLOBAL__N_126CatArrayBatchedCopy_contigINS1_10OpaqueTypeILj16EEEjLi1ELi64ELi64EEEvPT_NS1_25CatArrInputTensorMetadataIS5_T0_XT2_EXT3_EEENS1_16TensorSizeStrideIS8_Lj4EEEiS8_,comdat
.Lfunc_end183:
	.size	_ZN2at6native12_GLOBAL__N_126CatArrayBatchedCopy_contigINS1_10OpaqueTypeILj16EEEjLi1ELi64ELi64EEEvPT_NS1_25CatArrInputTensorMetadataIS5_T0_XT2_EXT3_EEENS1_16TensorSizeStrideIS8_Lj4EEEiS8_, .Lfunc_end183-_ZN2at6native12_GLOBAL__N_126CatArrayBatchedCopy_contigINS1_10OpaqueTypeILj16EEEjLi1ELi64ELi64EEEvPT_NS1_25CatArrInputTensorMetadataIS5_T0_XT2_EXT3_EEENS1_16TensorSizeStrideIS8_Lj4EEEiS8_
                                        ; -- End function
	.set _ZN2at6native12_GLOBAL__N_126CatArrayBatchedCopy_contigINS1_10OpaqueTypeILj16EEEjLi1ELi64ELi64EEEvPT_NS1_25CatArrInputTensorMetadataIS5_T0_XT2_EXT3_EEENS1_16TensorSizeStrideIS8_Lj4EEEiS8_.num_vgpr, 10
	.set _ZN2at6native12_GLOBAL__N_126CatArrayBatchedCopy_contigINS1_10OpaqueTypeILj16EEEjLi1ELi64ELi64EEEvPT_NS1_25CatArrInputTensorMetadataIS5_T0_XT2_EXT3_EEENS1_16TensorSizeStrideIS8_Lj4EEEiS8_.num_agpr, 0
	.set _ZN2at6native12_GLOBAL__N_126CatArrayBatchedCopy_contigINS1_10OpaqueTypeILj16EEEjLi1ELi64ELi64EEEvPT_NS1_25CatArrInputTensorMetadataIS5_T0_XT2_EXT3_EEENS1_16TensorSizeStrideIS8_Lj4EEEiS8_.numbered_sgpr, 16
	.set _ZN2at6native12_GLOBAL__N_126CatArrayBatchedCopy_contigINS1_10OpaqueTypeILj16EEEjLi1ELi64ELi64EEEvPT_NS1_25CatArrInputTensorMetadataIS5_T0_XT2_EXT3_EEENS1_16TensorSizeStrideIS8_Lj4EEEiS8_.num_named_barrier, 0
	.set _ZN2at6native12_GLOBAL__N_126CatArrayBatchedCopy_contigINS1_10OpaqueTypeILj16EEEjLi1ELi64ELi64EEEvPT_NS1_25CatArrInputTensorMetadataIS5_T0_XT2_EXT3_EEENS1_16TensorSizeStrideIS8_Lj4EEEiS8_.private_seg_size, 0
	.set _ZN2at6native12_GLOBAL__N_126CatArrayBatchedCopy_contigINS1_10OpaqueTypeILj16EEEjLi1ELi64ELi64EEEvPT_NS1_25CatArrInputTensorMetadataIS5_T0_XT2_EXT3_EEENS1_16TensorSizeStrideIS8_Lj4EEEiS8_.uses_vcc, 1
	.set _ZN2at6native12_GLOBAL__N_126CatArrayBatchedCopy_contigINS1_10OpaqueTypeILj16EEEjLi1ELi64ELi64EEEvPT_NS1_25CatArrInputTensorMetadataIS5_T0_XT2_EXT3_EEENS1_16TensorSizeStrideIS8_Lj4EEEiS8_.uses_flat_scratch, 0
	.set _ZN2at6native12_GLOBAL__N_126CatArrayBatchedCopy_contigINS1_10OpaqueTypeILj16EEEjLi1ELi64ELi64EEEvPT_NS1_25CatArrInputTensorMetadataIS5_T0_XT2_EXT3_EEENS1_16TensorSizeStrideIS8_Lj4EEEiS8_.has_dyn_sized_stack, 0
	.set _ZN2at6native12_GLOBAL__N_126CatArrayBatchedCopy_contigINS1_10OpaqueTypeILj16EEEjLi1ELi64ELi64EEEvPT_NS1_25CatArrInputTensorMetadataIS5_T0_XT2_EXT3_EEENS1_16TensorSizeStrideIS8_Lj4EEEiS8_.has_recursion, 0
	.set _ZN2at6native12_GLOBAL__N_126CatArrayBatchedCopy_contigINS1_10OpaqueTypeILj16EEEjLi1ELi64ELi64EEEvPT_NS1_25CatArrInputTensorMetadataIS5_T0_XT2_EXT3_EEENS1_16TensorSizeStrideIS8_Lj4EEEiS8_.has_indirect_call, 0
	.section	.AMDGPU.csdata,"",@progbits
; Kernel info:
; codeLenInByte = 268
; TotalNumSgprs: 22
; NumVgprs: 10
; NumAgprs: 0
; TotalNumVgprs: 10
; ScratchSize: 0
; MemoryBound: 0
; FloatMode: 240
; IeeeMode: 1
; LDSByteSize: 0 bytes/workgroup (compile time only)
; SGPRBlocks: 2
; VGPRBlocks: 1
; NumSGPRsForWavesPerEU: 22
; NumVGPRsForWavesPerEU: 10
; AccumOffset: 12
; Occupancy: 8
; WaveLimiterHint : 1
; COMPUTE_PGM_RSRC2:SCRATCH_EN: 0
; COMPUTE_PGM_RSRC2:USER_SGPR: 2
; COMPUTE_PGM_RSRC2:TRAP_HANDLER: 0
; COMPUTE_PGM_RSRC2:TGID_X_EN: 1
; COMPUTE_PGM_RSRC2:TGID_Y_EN: 1
; COMPUTE_PGM_RSRC2:TGID_Z_EN: 0
; COMPUTE_PGM_RSRC2:TIDIG_COMP_CNT: 0
; COMPUTE_PGM_RSRC3_GFX90A:ACCUM_OFFSET: 2
; COMPUTE_PGM_RSRC3_GFX90A:TG_SPLIT: 0
	.section	.text._ZN2at6native12_GLOBAL__N_119CatArrayBatchedCopyINS1_10OpaqueTypeILj16EEEjLi1ELi64ELi64EEEvPT_NS1_25CatArrInputTensorMetadataIS5_T0_XT2_EXT3_EEENS1_16TensorSizeStrideIS8_Lj4EEEiS8_,"axG",@progbits,_ZN2at6native12_GLOBAL__N_119CatArrayBatchedCopyINS1_10OpaqueTypeILj16EEEjLi1ELi64ELi64EEEvPT_NS1_25CatArrInputTensorMetadataIS5_T0_XT2_EXT3_EEENS1_16TensorSizeStrideIS8_Lj4EEEiS8_,comdat
	.globl	_ZN2at6native12_GLOBAL__N_119CatArrayBatchedCopyINS1_10OpaqueTypeILj16EEEjLi1ELi64ELi64EEEvPT_NS1_25CatArrInputTensorMetadataIS5_T0_XT2_EXT3_EEENS1_16TensorSizeStrideIS8_Lj4EEEiS8_ ; -- Begin function _ZN2at6native12_GLOBAL__N_119CatArrayBatchedCopyINS1_10OpaqueTypeILj16EEEjLi1ELi64ELi64EEEvPT_NS1_25CatArrInputTensorMetadataIS5_T0_XT2_EXT3_EEENS1_16TensorSizeStrideIS8_Lj4EEEiS8_
	.p2align	8
	.type	_ZN2at6native12_GLOBAL__N_119CatArrayBatchedCopyINS1_10OpaqueTypeILj16EEEjLi1ELi64ELi64EEEvPT_NS1_25CatArrInputTensorMetadataIS5_T0_XT2_EXT3_EEENS1_16TensorSizeStrideIS8_Lj4EEEiS8_,@function
_ZN2at6native12_GLOBAL__N_119CatArrayBatchedCopyINS1_10OpaqueTypeILj16EEEjLi1ELi64ELi64EEEvPT_NS1_25CatArrInputTensorMetadataIS5_T0_XT2_EXT3_EEENS1_16TensorSizeStrideIS8_Lj4EEEiS8_: ; @_ZN2at6native12_GLOBAL__N_119CatArrayBatchedCopyINS1_10OpaqueTypeILj16EEEjLi1ELi64ELi64EEEvPT_NS1_25CatArrInputTensorMetadataIS5_T0_XT2_EXT3_EEENS1_16TensorSizeStrideIS8_Lj4EEEiS8_
; %bb.0:
	s_load_dword s5, s[0:1], 0xd7c
	s_mov_b32 s4, s3
	s_or_b32 s3, s0, 8
	s_add_u32 s8, s0, 0xd70
	s_addc_u32 s9, s1, 0
	s_waitcnt lgkmcnt(0)
	s_and_b32 s13, s5, 0xffff
	s_mov_b32 s5, 0
	s_lshl_b64 s[6:7], s[4:5], 2
	s_add_u32 s10, s3, s6
	s_addc_u32 s11, s1, s7
	s_load_dword s12, s[10:11], 0x400
	s_mul_i32 s2, s2, s13
	v_add_u32_e32 v4, s2, v0
	s_waitcnt lgkmcnt(0)
	v_cmp_gt_u32_e32 vcc, s12, v4
	s_and_saveexec_b64 s[14:15], vcc
	s_cbranch_execz .LBB184_3
; %bb.1:
	s_mul_i32 s14, s4, 28
	s_mul_hi_u32 s2, s4, 28
	s_add_u32 s10, s10, s14
	s_addc_u32 s11, s11, s2
	s_add_u32 s14, s3, s4
	s_addc_u32 s15, s1, 0
	v_mov_b32_e32 v1, 0
	global_load_ubyte v0, v1, s[14:15] offset:1280
	s_load_dword s5, s[8:9], 0x0
	s_load_dwordx2 s[2:3], s[0:1], 0x0
	s_load_dword s16, s[0:1], 0xd6c
	s_load_dword s17, s[10:11], 0x550
	;; [unrolled: 1-line block ×3, first 2 shown]
	s_waitcnt lgkmcnt(0)
	s_mul_i32 s8, s5, s13
	s_mul_hi_u32 s9, s4, 7
	s_mul_i32 s4, s4, 7
	s_mov_b64 s[0:1], 0
	v_mul_lo_u32 v2, s18, v4
	s_waitcnt vmcnt(0)
	v_readfirstlane_b32 s5, v0
	s_and_b32 s13, 1, s5
	s_add_u32 s10, s14, s4
	s_addc_u32 s11, s15, s9
	s_sub_u32 s4, 0, s6
	s_subb_u32 s5, 0, s7
	s_add_u32 s6, s10, s4
	s_addc_u32 s7, s11, s5
	s_load_dwordx2 s[4:5], s[10:11], 0x0
	s_load_dword s9, s[6:7], 0x200
	s_cmp_eq_u32 s13, 1
	s_cselect_b32 s6, 1, s17
	v_mul_lo_u32 v0, s6, v4
	s_mul_i32 s6, s8, s6
	s_waitcnt lgkmcnt(0)
	s_mul_i32 s9, s9, s16
	v_add_u32_e32 v2, s9, v2
	s_mul_i32 s7, s8, s18
.LBB184_2:                              ; =>This Inner Loop Header: Depth=1
	v_lshl_add_u64 v[6:7], v[0:1], 4, s[4:5]
	global_load_dwordx4 v[6:9], v[6:7], off
	v_add_u32_e32 v4, s8, v4
	v_mov_b32_e32 v3, v1
	v_cmp_le_u32_e32 vcc, s12, v4
	v_add_u32_e32 v0, s6, v0
	v_lshl_add_u64 v[10:11], v[2:3], 4, s[2:3]
	v_add_u32_e32 v2, s7, v2
	s_or_b64 s[0:1], vcc, s[0:1]
	s_waitcnt vmcnt(0)
	global_store_dwordx4 v[10:11], v[6:9], off
	s_andn2_b64 exec, exec, s[0:1]
	s_cbranch_execnz .LBB184_2
.LBB184_3:
	s_endpgm
	.section	.rodata,"a",@progbits
	.p2align	6, 0x0
	.amdhsa_kernel _ZN2at6native12_GLOBAL__N_119CatArrayBatchedCopyINS1_10OpaqueTypeILj16EEEjLi1ELi64ELi64EEEvPT_NS1_25CatArrInputTensorMetadataIS5_T0_XT2_EXT3_EEENS1_16TensorSizeStrideIS8_Lj4EEEiS8_
		.amdhsa_group_segment_fixed_size 0
		.amdhsa_private_segment_fixed_size 0
		.amdhsa_kernarg_size 3696
		.amdhsa_user_sgpr_count 2
		.amdhsa_user_sgpr_dispatch_ptr 0
		.amdhsa_user_sgpr_queue_ptr 0
		.amdhsa_user_sgpr_kernarg_segment_ptr 1
		.amdhsa_user_sgpr_dispatch_id 0
		.amdhsa_user_sgpr_kernarg_preload_length 0
		.amdhsa_user_sgpr_kernarg_preload_offset 0
		.amdhsa_user_sgpr_private_segment_size 0
		.amdhsa_uses_dynamic_stack 0
		.amdhsa_enable_private_segment 0
		.amdhsa_system_sgpr_workgroup_id_x 1
		.amdhsa_system_sgpr_workgroup_id_y 1
		.amdhsa_system_sgpr_workgroup_id_z 0
		.amdhsa_system_sgpr_workgroup_info 0
		.amdhsa_system_vgpr_workitem_id 0
		.amdhsa_next_free_vgpr 12
		.amdhsa_next_free_sgpr 19
		.amdhsa_accum_offset 12
		.amdhsa_reserve_vcc 1
		.amdhsa_float_round_mode_32 0
		.amdhsa_float_round_mode_16_64 0
		.amdhsa_float_denorm_mode_32 3
		.amdhsa_float_denorm_mode_16_64 3
		.amdhsa_dx10_clamp 1
		.amdhsa_ieee_mode 1
		.amdhsa_fp16_overflow 0
		.amdhsa_tg_split 0
		.amdhsa_exception_fp_ieee_invalid_op 0
		.amdhsa_exception_fp_denorm_src 0
		.amdhsa_exception_fp_ieee_div_zero 0
		.amdhsa_exception_fp_ieee_overflow 0
		.amdhsa_exception_fp_ieee_underflow 0
		.amdhsa_exception_fp_ieee_inexact 0
		.amdhsa_exception_int_div_zero 0
	.end_amdhsa_kernel
	.section	.text._ZN2at6native12_GLOBAL__N_119CatArrayBatchedCopyINS1_10OpaqueTypeILj16EEEjLi1ELi64ELi64EEEvPT_NS1_25CatArrInputTensorMetadataIS5_T0_XT2_EXT3_EEENS1_16TensorSizeStrideIS8_Lj4EEEiS8_,"axG",@progbits,_ZN2at6native12_GLOBAL__N_119CatArrayBatchedCopyINS1_10OpaqueTypeILj16EEEjLi1ELi64ELi64EEEvPT_NS1_25CatArrInputTensorMetadataIS5_T0_XT2_EXT3_EEENS1_16TensorSizeStrideIS8_Lj4EEEiS8_,comdat
.Lfunc_end184:
	.size	_ZN2at6native12_GLOBAL__N_119CatArrayBatchedCopyINS1_10OpaqueTypeILj16EEEjLi1ELi64ELi64EEEvPT_NS1_25CatArrInputTensorMetadataIS5_T0_XT2_EXT3_EEENS1_16TensorSizeStrideIS8_Lj4EEEiS8_, .Lfunc_end184-_ZN2at6native12_GLOBAL__N_119CatArrayBatchedCopyINS1_10OpaqueTypeILj16EEEjLi1ELi64ELi64EEEvPT_NS1_25CatArrInputTensorMetadataIS5_T0_XT2_EXT3_EEENS1_16TensorSizeStrideIS8_Lj4EEEiS8_
                                        ; -- End function
	.set _ZN2at6native12_GLOBAL__N_119CatArrayBatchedCopyINS1_10OpaqueTypeILj16EEEjLi1ELi64ELi64EEEvPT_NS1_25CatArrInputTensorMetadataIS5_T0_XT2_EXT3_EEENS1_16TensorSizeStrideIS8_Lj4EEEiS8_.num_vgpr, 12
	.set _ZN2at6native12_GLOBAL__N_119CatArrayBatchedCopyINS1_10OpaqueTypeILj16EEEjLi1ELi64ELi64EEEvPT_NS1_25CatArrInputTensorMetadataIS5_T0_XT2_EXT3_EEENS1_16TensorSizeStrideIS8_Lj4EEEiS8_.num_agpr, 0
	.set _ZN2at6native12_GLOBAL__N_119CatArrayBatchedCopyINS1_10OpaqueTypeILj16EEEjLi1ELi64ELi64EEEvPT_NS1_25CatArrInputTensorMetadataIS5_T0_XT2_EXT3_EEENS1_16TensorSizeStrideIS8_Lj4EEEiS8_.numbered_sgpr, 19
	.set _ZN2at6native12_GLOBAL__N_119CatArrayBatchedCopyINS1_10OpaqueTypeILj16EEEjLi1ELi64ELi64EEEvPT_NS1_25CatArrInputTensorMetadataIS5_T0_XT2_EXT3_EEENS1_16TensorSizeStrideIS8_Lj4EEEiS8_.num_named_barrier, 0
	.set _ZN2at6native12_GLOBAL__N_119CatArrayBatchedCopyINS1_10OpaqueTypeILj16EEEjLi1ELi64ELi64EEEvPT_NS1_25CatArrInputTensorMetadataIS5_T0_XT2_EXT3_EEENS1_16TensorSizeStrideIS8_Lj4EEEiS8_.private_seg_size, 0
	.set _ZN2at6native12_GLOBAL__N_119CatArrayBatchedCopyINS1_10OpaqueTypeILj16EEEjLi1ELi64ELi64EEEvPT_NS1_25CatArrInputTensorMetadataIS5_T0_XT2_EXT3_EEENS1_16TensorSizeStrideIS8_Lj4EEEiS8_.uses_vcc, 1
	.set _ZN2at6native12_GLOBAL__N_119CatArrayBatchedCopyINS1_10OpaqueTypeILj16EEEjLi1ELi64ELi64EEEvPT_NS1_25CatArrInputTensorMetadataIS5_T0_XT2_EXT3_EEENS1_16TensorSizeStrideIS8_Lj4EEEiS8_.uses_flat_scratch, 0
	.set _ZN2at6native12_GLOBAL__N_119CatArrayBatchedCopyINS1_10OpaqueTypeILj16EEEjLi1ELi64ELi64EEEvPT_NS1_25CatArrInputTensorMetadataIS5_T0_XT2_EXT3_EEENS1_16TensorSizeStrideIS8_Lj4EEEiS8_.has_dyn_sized_stack, 0
	.set _ZN2at6native12_GLOBAL__N_119CatArrayBatchedCopyINS1_10OpaqueTypeILj16EEEjLi1ELi64ELi64EEEvPT_NS1_25CatArrInputTensorMetadataIS5_T0_XT2_EXT3_EEENS1_16TensorSizeStrideIS8_Lj4EEEiS8_.has_recursion, 0
	.set _ZN2at6native12_GLOBAL__N_119CatArrayBatchedCopyINS1_10OpaqueTypeILj16EEEjLi1ELi64ELi64EEEvPT_NS1_25CatArrInputTensorMetadataIS5_T0_XT2_EXT3_EEENS1_16TensorSizeStrideIS8_Lj4EEEiS8_.has_indirect_call, 0
	.section	.AMDGPU.csdata,"",@progbits
; Kernel info:
; codeLenInByte = 352
; TotalNumSgprs: 25
; NumVgprs: 12
; NumAgprs: 0
; TotalNumVgprs: 12
; ScratchSize: 0
; MemoryBound: 0
; FloatMode: 240
; IeeeMode: 1
; LDSByteSize: 0 bytes/workgroup (compile time only)
; SGPRBlocks: 3
; VGPRBlocks: 1
; NumSGPRsForWavesPerEU: 25
; NumVGPRsForWavesPerEU: 12
; AccumOffset: 12
; Occupancy: 8
; WaveLimiterHint : 1
; COMPUTE_PGM_RSRC2:SCRATCH_EN: 0
; COMPUTE_PGM_RSRC2:USER_SGPR: 2
; COMPUTE_PGM_RSRC2:TRAP_HANDLER: 0
; COMPUTE_PGM_RSRC2:TGID_X_EN: 1
; COMPUTE_PGM_RSRC2:TGID_Y_EN: 1
; COMPUTE_PGM_RSRC2:TGID_Z_EN: 0
; COMPUTE_PGM_RSRC2:TIDIG_COMP_CNT: 0
; COMPUTE_PGM_RSRC3_GFX90A:ACCUM_OFFSET: 2
; COMPUTE_PGM_RSRC3_GFX90A:TG_SPLIT: 0
	.section	.text._ZN2at6native12_GLOBAL__N_130CatArrayBatchedCopy_vectorizedINS1_10OpaqueTypeILj16EEEjLi2ELi64ELi64ELi16ELi1EEEvPcNS1_25CatArrInputTensorMetadataIT_T0_XT2_EXT3_EEENS1_16TensorSizeStrideIS8_Lj4EEEiS8_,"axG",@progbits,_ZN2at6native12_GLOBAL__N_130CatArrayBatchedCopy_vectorizedINS1_10OpaqueTypeILj16EEEjLi2ELi64ELi64ELi16ELi1EEEvPcNS1_25CatArrInputTensorMetadataIT_T0_XT2_EXT3_EEENS1_16TensorSizeStrideIS8_Lj4EEEiS8_,comdat
	.globl	_ZN2at6native12_GLOBAL__N_130CatArrayBatchedCopy_vectorizedINS1_10OpaqueTypeILj16EEEjLi2ELi64ELi64ELi16ELi1EEEvPcNS1_25CatArrInputTensorMetadataIT_T0_XT2_EXT3_EEENS1_16TensorSizeStrideIS8_Lj4EEEiS8_ ; -- Begin function _ZN2at6native12_GLOBAL__N_130CatArrayBatchedCopy_vectorizedINS1_10OpaqueTypeILj16EEEjLi2ELi64ELi64ELi16ELi1EEEvPcNS1_25CatArrInputTensorMetadataIT_T0_XT2_EXT3_EEENS1_16TensorSizeStrideIS8_Lj4EEEiS8_
	.p2align	8
	.type	_ZN2at6native12_GLOBAL__N_130CatArrayBatchedCopy_vectorizedINS1_10OpaqueTypeILj16EEEjLi2ELi64ELi64ELi16ELi1EEEvPcNS1_25CatArrInputTensorMetadataIT_T0_XT2_EXT3_EEENS1_16TensorSizeStrideIS8_Lj4EEEiS8_,@function
_ZN2at6native12_GLOBAL__N_130CatArrayBatchedCopy_vectorizedINS1_10OpaqueTypeILj16EEEjLi2ELi64ELi64ELi16ELi1EEEvPcNS1_25CatArrInputTensorMetadataIT_T0_XT2_EXT3_EEENS1_16TensorSizeStrideIS8_Lj4EEEiS8_: ; @_ZN2at6native12_GLOBAL__N_130CatArrayBatchedCopy_vectorizedINS1_10OpaqueTypeILj16EEEjLi2ELi64ELi64ELi16ELi1EEEvPcNS1_25CatArrInputTensorMetadataIT_T0_XT2_EXT3_EEENS1_16TensorSizeStrideIS8_Lj4EEEiS8_
; %bb.0:
	s_mov_b32 s4, s3
	s_load_dword s3, s[0:1], 0xd7c
	s_add_u32 s6, s0, 0xd70
	s_mov_b32 s5, 0
	s_addc_u32 s7, s1, 0
	s_lshl_b64 s[8:9], s[4:5], 2
	s_waitcnt lgkmcnt(0)
	s_and_b32 s11, s3, 0xffff
	s_add_u32 s12, s0, s8
	s_addc_u32 s13, s1, s9
	s_load_dword s10, s[12:13], 0x408
	s_mul_i32 s2, s2, s11
	v_add_u32_e32 v0, s2, v0
	s_add_u32 s2, s12, 8
	s_addc_u32 s3, s13, 0
	s_waitcnt lgkmcnt(0)
	v_cmp_gt_u32_e32 vcc, s10, v0
	s_and_saveexec_b64 s[12:13], vcc
	s_cbranch_execz .LBB185_3
; %bb.1:
	s_add_u32 s14, s2, s8
	s_addc_u32 s15, s3, s9
	s_sub_u32 s2, 0, s8
	s_load_dwordx2 s[12:13], s[0:1], 0xd68
	s_subb_u32 s3, 0, s9
	s_add_u32 s8, s14, s2
	s_addc_u32 s9, s15, s3
	s_load_dword s4, s[8:9], 0x200
	s_load_dword s16, s[8:9], 0x300
	s_load_dwordx2 s[2:3], s[0:1], 0xd58
	s_load_dword s18, s[0:1], 0xd4c
	s_waitcnt lgkmcnt(0)
	s_mul_i32 s4, s4, s13
	s_mul_i32 s8, s16, s13
	s_lshl_b64 s[16:17], s[4:5], 4
	s_cmp_eq_u32 s12, 1
	s_cselect_b32 s8, s8, s18
	v_cvt_f32_u32_e32 v1, s8
	s_load_dword s9, s[6:7], 0x0
	s_load_dwordx2 s[4:5], s[14:15], 0x0
	v_rcp_iflag_f32_e32 v1, v1
	s_load_dwordx2 s[6:7], s[0:1], 0x0
	s_waitcnt lgkmcnt(0)
	s_mul_i32 s9, s9, s11
	s_mov_b64 s[0:1], 0
	v_mul_f32_e32 v1, 0x4f7ffffe, v1
	v_cvt_u32_f32_e32 v1, v1
	s_add_u32 s6, s6, s16
	s_addc_u32 s7, s7, s17
	s_sub_i32 s11, 0, s8
	v_mul_lo_u32 v2, s11, v1
	v_mul_hi_u32 v2, v1, v2
	v_add_u32_e32 v2, v1, v2
	v_mov_b32_e32 v1, 0
.LBB185_2:                              ; =>This Inner Loop Header: Depth=1
	v_lshl_add_u64 v[4:5], v[0:1], 4, s[4:5]
	global_load_dwordx4 v[4:7], v[4:5], off
	v_mul_hi_u32 v3, v2, v0
	v_mul_lo_u32 v8, s8, v3
	v_not_b32_e32 v9, v3
	v_sub_u32_e32 v11, v0, v8
	v_add_u32_e32 v10, 1, v3
	v_mad_u64_u32 v[8:9], s[12:13], s8, v9, v[0:1]
	v_cmp_le_u32_e32 vcc, s8, v11
	s_nop 1
	v_cndmask_b32_e32 v3, v3, v10, vcc
	v_cndmask_b32_e32 v8, v11, v8, vcc
	v_add_u32_e32 v9, 1, v3
	v_cmp_le_u32_e32 vcc, s8, v8
	s_nop 1
	v_cndmask_b32_e32 v3, v3, v9, vcc
	v_mad_u64_u32 v[8:9], s[12:13], s11, v3, v[0:1]
	v_mul_lo_u32 v10, v3, s2
	v_add_u32_e32 v0, s9, v0
	v_mad_u64_u32 v[8:9], s[12:13], v8, s3, v[10:11]
	v_cmp_le_u32_e32 vcc, s10, v0
	v_mov_b32_e32 v9, v1
	s_or_b64 s[0:1], vcc, s[0:1]
	v_lshl_add_u64 v[8:9], v[8:9], 4, s[6:7]
	s_waitcnt vmcnt(0)
	global_store_dwordx4 v[8:9], v[4:7], off
	s_andn2_b64 exec, exec, s[0:1]
	s_cbranch_execnz .LBB185_2
.LBB185_3:
	s_endpgm
	.section	.rodata,"a",@progbits
	.p2align	6, 0x0
	.amdhsa_kernel _ZN2at6native12_GLOBAL__N_130CatArrayBatchedCopy_vectorizedINS1_10OpaqueTypeILj16EEEjLi2ELi64ELi64ELi16ELi1EEEvPcNS1_25CatArrInputTensorMetadataIT_T0_XT2_EXT3_EEENS1_16TensorSizeStrideIS8_Lj4EEEiS8_
		.amdhsa_group_segment_fixed_size 0
		.amdhsa_private_segment_fixed_size 0
		.amdhsa_kernarg_size 3696
		.amdhsa_user_sgpr_count 2
		.amdhsa_user_sgpr_dispatch_ptr 0
		.amdhsa_user_sgpr_queue_ptr 0
		.amdhsa_user_sgpr_kernarg_segment_ptr 1
		.amdhsa_user_sgpr_dispatch_id 0
		.amdhsa_user_sgpr_kernarg_preload_length 0
		.amdhsa_user_sgpr_kernarg_preload_offset 0
		.amdhsa_user_sgpr_private_segment_size 0
		.amdhsa_uses_dynamic_stack 0
		.amdhsa_enable_private_segment 0
		.amdhsa_system_sgpr_workgroup_id_x 1
		.amdhsa_system_sgpr_workgroup_id_y 1
		.amdhsa_system_sgpr_workgroup_id_z 0
		.amdhsa_system_sgpr_workgroup_info 0
		.amdhsa_system_vgpr_workitem_id 0
		.amdhsa_next_free_vgpr 12
		.amdhsa_next_free_sgpr 19
		.amdhsa_accum_offset 12
		.amdhsa_reserve_vcc 1
		.amdhsa_float_round_mode_32 0
		.amdhsa_float_round_mode_16_64 0
		.amdhsa_float_denorm_mode_32 3
		.amdhsa_float_denorm_mode_16_64 3
		.amdhsa_dx10_clamp 1
		.amdhsa_ieee_mode 1
		.amdhsa_fp16_overflow 0
		.amdhsa_tg_split 0
		.amdhsa_exception_fp_ieee_invalid_op 0
		.amdhsa_exception_fp_denorm_src 0
		.amdhsa_exception_fp_ieee_div_zero 0
		.amdhsa_exception_fp_ieee_overflow 0
		.amdhsa_exception_fp_ieee_underflow 0
		.amdhsa_exception_fp_ieee_inexact 0
		.amdhsa_exception_int_div_zero 0
	.end_amdhsa_kernel
	.section	.text._ZN2at6native12_GLOBAL__N_130CatArrayBatchedCopy_vectorizedINS1_10OpaqueTypeILj16EEEjLi2ELi64ELi64ELi16ELi1EEEvPcNS1_25CatArrInputTensorMetadataIT_T0_XT2_EXT3_EEENS1_16TensorSizeStrideIS8_Lj4EEEiS8_,"axG",@progbits,_ZN2at6native12_GLOBAL__N_130CatArrayBatchedCopy_vectorizedINS1_10OpaqueTypeILj16EEEjLi2ELi64ELi64ELi16ELi1EEEvPcNS1_25CatArrInputTensorMetadataIT_T0_XT2_EXT3_EEENS1_16TensorSizeStrideIS8_Lj4EEEiS8_,comdat
.Lfunc_end185:
	.size	_ZN2at6native12_GLOBAL__N_130CatArrayBatchedCopy_vectorizedINS1_10OpaqueTypeILj16EEEjLi2ELi64ELi64ELi16ELi1EEEvPcNS1_25CatArrInputTensorMetadataIT_T0_XT2_EXT3_EEENS1_16TensorSizeStrideIS8_Lj4EEEiS8_, .Lfunc_end185-_ZN2at6native12_GLOBAL__N_130CatArrayBatchedCopy_vectorizedINS1_10OpaqueTypeILj16EEEjLi2ELi64ELi64ELi16ELi1EEEvPcNS1_25CatArrInputTensorMetadataIT_T0_XT2_EXT3_EEENS1_16TensorSizeStrideIS8_Lj4EEEiS8_
                                        ; -- End function
	.set _ZN2at6native12_GLOBAL__N_130CatArrayBatchedCopy_vectorizedINS1_10OpaqueTypeILj16EEEjLi2ELi64ELi64ELi16ELi1EEEvPcNS1_25CatArrInputTensorMetadataIT_T0_XT2_EXT3_EEENS1_16TensorSizeStrideIS8_Lj4EEEiS8_.num_vgpr, 12
	.set _ZN2at6native12_GLOBAL__N_130CatArrayBatchedCopy_vectorizedINS1_10OpaqueTypeILj16EEEjLi2ELi64ELi64ELi16ELi1EEEvPcNS1_25CatArrInputTensorMetadataIT_T0_XT2_EXT3_EEENS1_16TensorSizeStrideIS8_Lj4EEEiS8_.num_agpr, 0
	.set _ZN2at6native12_GLOBAL__N_130CatArrayBatchedCopy_vectorizedINS1_10OpaqueTypeILj16EEEjLi2ELi64ELi64ELi16ELi1EEEvPcNS1_25CatArrInputTensorMetadataIT_T0_XT2_EXT3_EEENS1_16TensorSizeStrideIS8_Lj4EEEiS8_.numbered_sgpr, 19
	.set _ZN2at6native12_GLOBAL__N_130CatArrayBatchedCopy_vectorizedINS1_10OpaqueTypeILj16EEEjLi2ELi64ELi64ELi16ELi1EEEvPcNS1_25CatArrInputTensorMetadataIT_T0_XT2_EXT3_EEENS1_16TensorSizeStrideIS8_Lj4EEEiS8_.num_named_barrier, 0
	.set _ZN2at6native12_GLOBAL__N_130CatArrayBatchedCopy_vectorizedINS1_10OpaqueTypeILj16EEEjLi2ELi64ELi64ELi16ELi1EEEvPcNS1_25CatArrInputTensorMetadataIT_T0_XT2_EXT3_EEENS1_16TensorSizeStrideIS8_Lj4EEEiS8_.private_seg_size, 0
	.set _ZN2at6native12_GLOBAL__N_130CatArrayBatchedCopy_vectorizedINS1_10OpaqueTypeILj16EEEjLi2ELi64ELi64ELi16ELi1EEEvPcNS1_25CatArrInputTensorMetadataIT_T0_XT2_EXT3_EEENS1_16TensorSizeStrideIS8_Lj4EEEiS8_.uses_vcc, 1
	.set _ZN2at6native12_GLOBAL__N_130CatArrayBatchedCopy_vectorizedINS1_10OpaqueTypeILj16EEEjLi2ELi64ELi64ELi16ELi1EEEvPcNS1_25CatArrInputTensorMetadataIT_T0_XT2_EXT3_EEENS1_16TensorSizeStrideIS8_Lj4EEEiS8_.uses_flat_scratch, 0
	.set _ZN2at6native12_GLOBAL__N_130CatArrayBatchedCopy_vectorizedINS1_10OpaqueTypeILj16EEEjLi2ELi64ELi64ELi16ELi1EEEvPcNS1_25CatArrInputTensorMetadataIT_T0_XT2_EXT3_EEENS1_16TensorSizeStrideIS8_Lj4EEEiS8_.has_dyn_sized_stack, 0
	.set _ZN2at6native12_GLOBAL__N_130CatArrayBatchedCopy_vectorizedINS1_10OpaqueTypeILj16EEEjLi2ELi64ELi64ELi16ELi1EEEvPcNS1_25CatArrInputTensorMetadataIT_T0_XT2_EXT3_EEENS1_16TensorSizeStrideIS8_Lj4EEEiS8_.has_recursion, 0
	.set _ZN2at6native12_GLOBAL__N_130CatArrayBatchedCopy_vectorizedINS1_10OpaqueTypeILj16EEEjLi2ELi64ELi64ELi16ELi1EEEvPcNS1_25CatArrInputTensorMetadataIT_T0_XT2_EXT3_EEENS1_16TensorSizeStrideIS8_Lj4EEEiS8_.has_indirect_call, 0
	.section	.AMDGPU.csdata,"",@progbits
; Kernel info:
; codeLenInByte = 428
; TotalNumSgprs: 25
; NumVgprs: 12
; NumAgprs: 0
; TotalNumVgprs: 12
; ScratchSize: 0
; MemoryBound: 0
; FloatMode: 240
; IeeeMode: 1
; LDSByteSize: 0 bytes/workgroup (compile time only)
; SGPRBlocks: 3
; VGPRBlocks: 1
; NumSGPRsForWavesPerEU: 25
; NumVGPRsForWavesPerEU: 12
; AccumOffset: 12
; Occupancy: 8
; WaveLimiterHint : 1
; COMPUTE_PGM_RSRC2:SCRATCH_EN: 0
; COMPUTE_PGM_RSRC2:USER_SGPR: 2
; COMPUTE_PGM_RSRC2:TRAP_HANDLER: 0
; COMPUTE_PGM_RSRC2:TGID_X_EN: 1
; COMPUTE_PGM_RSRC2:TGID_Y_EN: 1
; COMPUTE_PGM_RSRC2:TGID_Z_EN: 0
; COMPUTE_PGM_RSRC2:TIDIG_COMP_CNT: 0
; COMPUTE_PGM_RSRC3_GFX90A:ACCUM_OFFSET: 2
; COMPUTE_PGM_RSRC3_GFX90A:TG_SPLIT: 0
	.section	.text._ZN2at6native12_GLOBAL__N_135CatArrayBatchedCopy_alignedK_contigINS1_10OpaqueTypeILj16EEEjLi2ELi64ELi64ELi16EEEvPT_NS1_25CatArrInputTensorMetadataIS5_T0_XT2_EXT3_EEENS1_16TensorSizeStrideIS8_Lj4EEEiS8_,"axG",@progbits,_ZN2at6native12_GLOBAL__N_135CatArrayBatchedCopy_alignedK_contigINS1_10OpaqueTypeILj16EEEjLi2ELi64ELi64ELi16EEEvPT_NS1_25CatArrInputTensorMetadataIS5_T0_XT2_EXT3_EEENS1_16TensorSizeStrideIS8_Lj4EEEiS8_,comdat
	.globl	_ZN2at6native12_GLOBAL__N_135CatArrayBatchedCopy_alignedK_contigINS1_10OpaqueTypeILj16EEEjLi2ELi64ELi64ELi16EEEvPT_NS1_25CatArrInputTensorMetadataIS5_T0_XT2_EXT3_EEENS1_16TensorSizeStrideIS8_Lj4EEEiS8_ ; -- Begin function _ZN2at6native12_GLOBAL__N_135CatArrayBatchedCopy_alignedK_contigINS1_10OpaqueTypeILj16EEEjLi2ELi64ELi64ELi16EEEvPT_NS1_25CatArrInputTensorMetadataIS5_T0_XT2_EXT3_EEENS1_16TensorSizeStrideIS8_Lj4EEEiS8_
	.p2align	8
	.type	_ZN2at6native12_GLOBAL__N_135CatArrayBatchedCopy_alignedK_contigINS1_10OpaqueTypeILj16EEEjLi2ELi64ELi64ELi16EEEvPT_NS1_25CatArrInputTensorMetadataIS5_T0_XT2_EXT3_EEENS1_16TensorSizeStrideIS8_Lj4EEEiS8_,@function
_ZN2at6native12_GLOBAL__N_135CatArrayBatchedCopy_alignedK_contigINS1_10OpaqueTypeILj16EEEjLi2ELi64ELi64ELi16EEEvPT_NS1_25CatArrInputTensorMetadataIS5_T0_XT2_EXT3_EEENS1_16TensorSizeStrideIS8_Lj4EEEiS8_: ; @_ZN2at6native12_GLOBAL__N_135CatArrayBatchedCopy_alignedK_contigINS1_10OpaqueTypeILj16EEEjLi2ELi64ELi64ELi16EEEvPT_NS1_25CatArrInputTensorMetadataIS5_T0_XT2_EXT3_EEENS1_16TensorSizeStrideIS8_Lj4EEEiS8_
; %bb.0:
	s_mov_b32 s4, s3
	s_load_dword s3, s[0:1], 0xd7c
	s_add_u32 s8, s0, 0xd70
	s_mov_b32 s5, 0
	s_addc_u32 s9, s1, 0
	s_lshl_b64 s[4:5], s[4:5], 2
	s_waitcnt lgkmcnt(0)
	s_and_b32 s12, s3, 0xffff
	s_add_u32 s6, s0, s4
	s_addc_u32 s7, s1, s5
	s_load_dword s10, s[6:7], 0x408
	s_mul_i32 s2, s2, s12
	v_add_u32_e32 v2, s2, v0
	s_add_u32 s2, s6, 8
	s_addc_u32 s3, s7, 0
	s_waitcnt lgkmcnt(0)
	v_cmp_gt_u32_e32 vcc, s10, v2
	s_and_saveexec_b64 s[6:7], vcc
	s_cbranch_execz .LBB186_6
; %bb.1:
	s_add_u32 s14, s2, s4
	s_addc_u32 s15, s3, s5
	s_sub_u32 s2, 0, s4
	s_subb_u32 s3, 0, s5
	s_add_u32 s16, s14, s2
	s_addc_u32 s17, s15, s3
	s_load_dword s4, s[16:17], 0x300
	s_load_dwordx2 s[18:19], s[0:1], 0xd68
	s_load_dword s5, s[0:1], 0xd4c
	s_load_dwordx2 s[2:3], s[0:1], 0xd58
	v_mov_b32_e32 v5, 0
	v_add_u32_e32 v3, 1, v2
	s_waitcnt lgkmcnt(0)
	s_cmp_eq_u32 s18, 1
	s_cselect_b32 s11, s4, s5
	v_cvt_f32_u32_e32 v0, s11
	s_load_dwordx2 s[4:5], s[0:1], 0x0
	s_load_dwordx2 s[6:7], s[14:15], 0x0
	s_load_dword s13, s[16:17], 0x200
	s_mov_b64 s[0:1], 0
	s_load_dword s8, s[8:9], 0x0
	v_rcp_iflag_f32_e32 v0, v0
	s_sub_i32 s9, 0, s11
	s_waitcnt lgkmcnt(0)
	s_mul_i32 s12, s8, s12
	v_mul_f32_e32 v0, 0x4f7ffffe, v0
	v_cvt_u32_f32_e32 v0, v0
	s_mul_i32 s8, s13, s19
	v_mul_lo_u32 v1, s9, v0
	v_mul_hi_u32 v1, v0, v1
	v_add_u32_e32 v0, v0, v1
	v_mov_b32_e32 v1, v5
.LBB186_2:                              ; =>This Inner Loop Header: Depth=1
	v_add_u32_e32 v4, -1, v3
	v_lshl_add_u64 v[6:7], v[4:5], 4, s[6:7]
	global_load_dwordx4 v[6:9], v[6:7], off
	v_mul_hi_u32 v10, v0, v2
	v_add_u32_e32 v3, s12, v3
	v_mul_lo_u32 v11, s11, v10
	v_not_b32_e32 v10, v10
	v_mul_hi_u32 v12, v4, v0
	v_cmp_lt_u32_e32 vcc, s10, v3
	v_sub_u32_e32 v13, v2, v11
	v_mad_u64_u32 v[10:11], s[14:15], s11, v10, v[2:3]
	v_add_u32_e32 v11, 1, v12
	s_or_b64 s[0:1], vcc, s[0:1]
	v_cmp_le_u32_e32 vcc, s11, v13
	v_add_u32_e32 v2, s12, v2
	s_nop 0
	v_cndmask_b32_e32 v11, v12, v11, vcc
	v_cndmask_b32_e32 v10, v13, v10, vcc
	v_add_u32_e32 v12, 1, v11
	v_cmp_le_u32_e32 vcc, s11, v10
	s_nop 1
	v_cndmask_b32_e32 v12, v11, v12, vcc
	v_mad_u64_u32 v[10:11], s[14:15], s9, v12, v[4:5]
	v_mul_lo_u32 v4, v12, s2
	v_mul_lo_u32 v10, v10, s3
	v_add3_u32 v4, v10, v4, s8
	v_lshl_add_u64 v[10:11], v[4:5], 4, s[4:5]
	s_waitcnt vmcnt(0)
	global_store_dwordx4 v[10:11], v[6:9], off
	s_andn2_b64 exec, exec, s[0:1]
	s_cbranch_execnz .LBB186_2
; %bb.3:
	s_or_b64 exec, exec, s[0:1]
	v_add_u32_e32 v2, -1, v3
	v_cmp_gt_u32_e32 vcc, s10, v2
	s_and_b64 exec, exec, vcc
	s_cbranch_execz .LBB186_6
; %bb.4:
	v_mov_b32_e32 v5, 0
	v_mov_b32_e32 v3, v5
	v_mad_u64_u32 v[6:7], s[0:1], v0, v2, 0
	v_lshl_add_u64 v[8:9], v[2:3], 4, s[6:7]
	s_mov_b64 s[0:1], 0
.LBB186_5:                              ; =>This Inner Loop Header: Depth=1
	global_load_dwordx4 v[10:13], v[8:9], off
	v_not_b32_e32 v3, v7
	v_mul_lo_u32 v4, s11, v7
	v_mad_u64_u32 v[14:15], s[6:7], s11, v3, v[2:3]
	v_sub_u32_e32 v3, v2, v4
	v_add_u32_e32 v16, 1, v7
	v_cmp_le_u32_e32 vcc, s11, v3
	v_lshl_add_u64 v[8:9], v[8:9], 0, 16
	s_nop 0
	v_cndmask_b32_e32 v4, v7, v16, vcc
	v_cndmask_b32_e32 v3, v3, v14, vcc
	v_add_u32_e32 v14, 1, v4
	v_cmp_le_u32_e32 vcc, s11, v3
	v_lshl_add_u64 v[6:7], v[6:7], 0, v[0:1]
	s_nop 0
	v_cndmask_b32_e32 v3, v4, v14, vcc
	v_mad_u64_u32 v[14:15], s[6:7], s9, v3, v[2:3]
	v_mul_lo_u32 v3, v3, s2
	v_add_u32_e32 v2, 1, v2
	v_mul_lo_u32 v4, v14, s3
	v_cmp_le_u32_e32 vcc, s10, v2
	v_add3_u32 v4, v3, s8, v4
	s_or_b64 s[0:1], vcc, s[0:1]
	v_lshl_add_u64 v[14:15], v[4:5], 4, s[4:5]
	s_waitcnt vmcnt(0)
	global_store_dwordx4 v[14:15], v[10:13], off
	s_andn2_b64 exec, exec, s[0:1]
	s_cbranch_execnz .LBB186_5
.LBB186_6:
	s_endpgm
	.section	.rodata,"a",@progbits
	.p2align	6, 0x0
	.amdhsa_kernel _ZN2at6native12_GLOBAL__N_135CatArrayBatchedCopy_alignedK_contigINS1_10OpaqueTypeILj16EEEjLi2ELi64ELi64ELi16EEEvPT_NS1_25CatArrInputTensorMetadataIS5_T0_XT2_EXT3_EEENS1_16TensorSizeStrideIS8_Lj4EEEiS8_
		.amdhsa_group_segment_fixed_size 0
		.amdhsa_private_segment_fixed_size 0
		.amdhsa_kernarg_size 3696
		.amdhsa_user_sgpr_count 2
		.amdhsa_user_sgpr_dispatch_ptr 0
		.amdhsa_user_sgpr_queue_ptr 0
		.amdhsa_user_sgpr_kernarg_segment_ptr 1
		.amdhsa_user_sgpr_dispatch_id 0
		.amdhsa_user_sgpr_kernarg_preload_length 0
		.amdhsa_user_sgpr_kernarg_preload_offset 0
		.amdhsa_user_sgpr_private_segment_size 0
		.amdhsa_uses_dynamic_stack 0
		.amdhsa_enable_private_segment 0
		.amdhsa_system_sgpr_workgroup_id_x 1
		.amdhsa_system_sgpr_workgroup_id_y 1
		.amdhsa_system_sgpr_workgroup_id_z 0
		.amdhsa_system_sgpr_workgroup_info 0
		.amdhsa_system_vgpr_workitem_id 0
		.amdhsa_next_free_vgpr 17
		.amdhsa_next_free_sgpr 20
		.amdhsa_accum_offset 20
		.amdhsa_reserve_vcc 1
		.amdhsa_float_round_mode_32 0
		.amdhsa_float_round_mode_16_64 0
		.amdhsa_float_denorm_mode_32 3
		.amdhsa_float_denorm_mode_16_64 3
		.amdhsa_dx10_clamp 1
		.amdhsa_ieee_mode 1
		.amdhsa_fp16_overflow 0
		.amdhsa_tg_split 0
		.amdhsa_exception_fp_ieee_invalid_op 0
		.amdhsa_exception_fp_denorm_src 0
		.amdhsa_exception_fp_ieee_div_zero 0
		.amdhsa_exception_fp_ieee_overflow 0
		.amdhsa_exception_fp_ieee_underflow 0
		.amdhsa_exception_fp_ieee_inexact 0
		.amdhsa_exception_int_div_zero 0
	.end_amdhsa_kernel
	.section	.text._ZN2at6native12_GLOBAL__N_135CatArrayBatchedCopy_alignedK_contigINS1_10OpaqueTypeILj16EEEjLi2ELi64ELi64ELi16EEEvPT_NS1_25CatArrInputTensorMetadataIS5_T0_XT2_EXT3_EEENS1_16TensorSizeStrideIS8_Lj4EEEiS8_,"axG",@progbits,_ZN2at6native12_GLOBAL__N_135CatArrayBatchedCopy_alignedK_contigINS1_10OpaqueTypeILj16EEEjLi2ELi64ELi64ELi16EEEvPT_NS1_25CatArrInputTensorMetadataIS5_T0_XT2_EXT3_EEENS1_16TensorSizeStrideIS8_Lj4EEEiS8_,comdat
.Lfunc_end186:
	.size	_ZN2at6native12_GLOBAL__N_135CatArrayBatchedCopy_alignedK_contigINS1_10OpaqueTypeILj16EEEjLi2ELi64ELi64ELi16EEEvPT_NS1_25CatArrInputTensorMetadataIS5_T0_XT2_EXT3_EEENS1_16TensorSizeStrideIS8_Lj4EEEiS8_, .Lfunc_end186-_ZN2at6native12_GLOBAL__N_135CatArrayBatchedCopy_alignedK_contigINS1_10OpaqueTypeILj16EEEjLi2ELi64ELi64ELi16EEEvPT_NS1_25CatArrInputTensorMetadataIS5_T0_XT2_EXT3_EEENS1_16TensorSizeStrideIS8_Lj4EEEiS8_
                                        ; -- End function
	.set _ZN2at6native12_GLOBAL__N_135CatArrayBatchedCopy_alignedK_contigINS1_10OpaqueTypeILj16EEEjLi2ELi64ELi64ELi16EEEvPT_NS1_25CatArrInputTensorMetadataIS5_T0_XT2_EXT3_EEENS1_16TensorSizeStrideIS8_Lj4EEEiS8_.num_vgpr, 17
	.set _ZN2at6native12_GLOBAL__N_135CatArrayBatchedCopy_alignedK_contigINS1_10OpaqueTypeILj16EEEjLi2ELi64ELi64ELi16EEEvPT_NS1_25CatArrInputTensorMetadataIS5_T0_XT2_EXT3_EEENS1_16TensorSizeStrideIS8_Lj4EEEiS8_.num_agpr, 0
	.set _ZN2at6native12_GLOBAL__N_135CatArrayBatchedCopy_alignedK_contigINS1_10OpaqueTypeILj16EEEjLi2ELi64ELi64ELi16EEEvPT_NS1_25CatArrInputTensorMetadataIS5_T0_XT2_EXT3_EEENS1_16TensorSizeStrideIS8_Lj4EEEiS8_.numbered_sgpr, 20
	.set _ZN2at6native12_GLOBAL__N_135CatArrayBatchedCopy_alignedK_contigINS1_10OpaqueTypeILj16EEEjLi2ELi64ELi64ELi16EEEvPT_NS1_25CatArrInputTensorMetadataIS5_T0_XT2_EXT3_EEENS1_16TensorSizeStrideIS8_Lj4EEEiS8_.num_named_barrier, 0
	.set _ZN2at6native12_GLOBAL__N_135CatArrayBatchedCopy_alignedK_contigINS1_10OpaqueTypeILj16EEEjLi2ELi64ELi64ELi16EEEvPT_NS1_25CatArrInputTensorMetadataIS5_T0_XT2_EXT3_EEENS1_16TensorSizeStrideIS8_Lj4EEEiS8_.private_seg_size, 0
	.set _ZN2at6native12_GLOBAL__N_135CatArrayBatchedCopy_alignedK_contigINS1_10OpaqueTypeILj16EEEjLi2ELi64ELi64ELi16EEEvPT_NS1_25CatArrInputTensorMetadataIS5_T0_XT2_EXT3_EEENS1_16TensorSizeStrideIS8_Lj4EEEiS8_.uses_vcc, 1
	.set _ZN2at6native12_GLOBAL__N_135CatArrayBatchedCopy_alignedK_contigINS1_10OpaqueTypeILj16EEEjLi2ELi64ELi64ELi16EEEvPT_NS1_25CatArrInputTensorMetadataIS5_T0_XT2_EXT3_EEENS1_16TensorSizeStrideIS8_Lj4EEEiS8_.uses_flat_scratch, 0
	.set _ZN2at6native12_GLOBAL__N_135CatArrayBatchedCopy_alignedK_contigINS1_10OpaqueTypeILj16EEEjLi2ELi64ELi64ELi16EEEvPT_NS1_25CatArrInputTensorMetadataIS5_T0_XT2_EXT3_EEENS1_16TensorSizeStrideIS8_Lj4EEEiS8_.has_dyn_sized_stack, 0
	.set _ZN2at6native12_GLOBAL__N_135CatArrayBatchedCopy_alignedK_contigINS1_10OpaqueTypeILj16EEEjLi2ELi64ELi64ELi16EEEvPT_NS1_25CatArrInputTensorMetadataIS5_T0_XT2_EXT3_EEENS1_16TensorSizeStrideIS8_Lj4EEEiS8_.has_recursion, 0
	.set _ZN2at6native12_GLOBAL__N_135CatArrayBatchedCopy_alignedK_contigINS1_10OpaqueTypeILj16EEEjLi2ELi64ELi64ELi16EEEvPT_NS1_25CatArrInputTensorMetadataIS5_T0_XT2_EXT3_EEENS1_16TensorSizeStrideIS8_Lj4EEEiS8_.has_indirect_call, 0
	.section	.AMDGPU.csdata,"",@progbits
; Kernel info:
; codeLenInByte = 644
; TotalNumSgprs: 26
; NumVgprs: 17
; NumAgprs: 0
; TotalNumVgprs: 17
; ScratchSize: 0
; MemoryBound: 0
; FloatMode: 240
; IeeeMode: 1
; LDSByteSize: 0 bytes/workgroup (compile time only)
; SGPRBlocks: 3
; VGPRBlocks: 2
; NumSGPRsForWavesPerEU: 26
; NumVGPRsForWavesPerEU: 17
; AccumOffset: 20
; Occupancy: 8
; WaveLimiterHint : 1
; COMPUTE_PGM_RSRC2:SCRATCH_EN: 0
; COMPUTE_PGM_RSRC2:USER_SGPR: 2
; COMPUTE_PGM_RSRC2:TRAP_HANDLER: 0
; COMPUTE_PGM_RSRC2:TGID_X_EN: 1
; COMPUTE_PGM_RSRC2:TGID_Y_EN: 1
; COMPUTE_PGM_RSRC2:TGID_Z_EN: 0
; COMPUTE_PGM_RSRC2:TIDIG_COMP_CNT: 0
; COMPUTE_PGM_RSRC3_GFX90A:ACCUM_OFFSET: 4
; COMPUTE_PGM_RSRC3_GFX90A:TG_SPLIT: 0
	.section	.text._ZN2at6native12_GLOBAL__N_135CatArrayBatchedCopy_alignedK_contigINS1_10OpaqueTypeILj16EEEjLi2ELi64ELi64ELi8EEEvPT_NS1_25CatArrInputTensorMetadataIS5_T0_XT2_EXT3_EEENS1_16TensorSizeStrideIS8_Lj4EEEiS8_,"axG",@progbits,_ZN2at6native12_GLOBAL__N_135CatArrayBatchedCopy_alignedK_contigINS1_10OpaqueTypeILj16EEEjLi2ELi64ELi64ELi8EEEvPT_NS1_25CatArrInputTensorMetadataIS5_T0_XT2_EXT3_EEENS1_16TensorSizeStrideIS8_Lj4EEEiS8_,comdat
	.globl	_ZN2at6native12_GLOBAL__N_135CatArrayBatchedCopy_alignedK_contigINS1_10OpaqueTypeILj16EEEjLi2ELi64ELi64ELi8EEEvPT_NS1_25CatArrInputTensorMetadataIS5_T0_XT2_EXT3_EEENS1_16TensorSizeStrideIS8_Lj4EEEiS8_ ; -- Begin function _ZN2at6native12_GLOBAL__N_135CatArrayBatchedCopy_alignedK_contigINS1_10OpaqueTypeILj16EEEjLi2ELi64ELi64ELi8EEEvPT_NS1_25CatArrInputTensorMetadataIS5_T0_XT2_EXT3_EEENS1_16TensorSizeStrideIS8_Lj4EEEiS8_
	.p2align	8
	.type	_ZN2at6native12_GLOBAL__N_135CatArrayBatchedCopy_alignedK_contigINS1_10OpaqueTypeILj16EEEjLi2ELi64ELi64ELi8EEEvPT_NS1_25CatArrInputTensorMetadataIS5_T0_XT2_EXT3_EEENS1_16TensorSizeStrideIS8_Lj4EEEiS8_,@function
_ZN2at6native12_GLOBAL__N_135CatArrayBatchedCopy_alignedK_contigINS1_10OpaqueTypeILj16EEEjLi2ELi64ELi64ELi8EEEvPT_NS1_25CatArrInputTensorMetadataIS5_T0_XT2_EXT3_EEENS1_16TensorSizeStrideIS8_Lj4EEEiS8_: ; @_ZN2at6native12_GLOBAL__N_135CatArrayBatchedCopy_alignedK_contigINS1_10OpaqueTypeILj16EEEjLi2ELi64ELi64ELi8EEEvPT_NS1_25CatArrInputTensorMetadataIS5_T0_XT2_EXT3_EEENS1_16TensorSizeStrideIS8_Lj4EEEiS8_
; %bb.0:
	s_mov_b32 s4, s3
	s_load_dword s3, s[0:1], 0xd7c
	s_add_u32 s8, s0, 0xd70
	s_mov_b32 s5, 0
	s_addc_u32 s9, s1, 0
	s_lshl_b64 s[4:5], s[4:5], 2
	s_waitcnt lgkmcnt(0)
	s_and_b32 s12, s3, 0xffff
	s_add_u32 s6, s0, s4
	s_addc_u32 s7, s1, s5
	s_load_dword s10, s[6:7], 0x408
	s_mul_i32 s2, s2, s12
	v_add_u32_e32 v2, s2, v0
	s_add_u32 s2, s6, 8
	s_addc_u32 s3, s7, 0
	s_waitcnt lgkmcnt(0)
	v_cmp_gt_u32_e32 vcc, s10, v2
	s_and_saveexec_b64 s[6:7], vcc
	s_cbranch_execz .LBB187_6
; %bb.1:
	s_add_u32 s14, s2, s4
	s_addc_u32 s15, s3, s5
	s_sub_u32 s2, 0, s4
	s_subb_u32 s3, 0, s5
	s_add_u32 s16, s14, s2
	s_addc_u32 s17, s15, s3
	s_load_dword s4, s[16:17], 0x300
	s_load_dwordx2 s[18:19], s[0:1], 0xd68
	s_load_dword s5, s[0:1], 0xd4c
	s_load_dwordx2 s[2:3], s[0:1], 0xd58
	v_mov_b32_e32 v5, 0
	v_add_u32_e32 v3, 1, v2
	s_waitcnt lgkmcnt(0)
	s_cmp_eq_u32 s18, 1
	s_cselect_b32 s11, s4, s5
	v_cvt_f32_u32_e32 v0, s11
	s_load_dwordx2 s[4:5], s[0:1], 0x0
	s_load_dwordx2 s[6:7], s[14:15], 0x0
	s_load_dword s13, s[16:17], 0x200
	s_mov_b64 s[0:1], 0
	s_load_dword s8, s[8:9], 0x0
	v_rcp_iflag_f32_e32 v0, v0
	s_sub_i32 s9, 0, s11
	s_waitcnt lgkmcnt(0)
	s_mul_i32 s12, s8, s12
	v_mul_f32_e32 v0, 0x4f7ffffe, v0
	v_cvt_u32_f32_e32 v0, v0
	s_mul_i32 s8, s13, s19
	v_mul_lo_u32 v1, s9, v0
	v_mul_hi_u32 v1, v0, v1
	v_add_u32_e32 v0, v0, v1
	v_mov_b32_e32 v1, v5
.LBB187_2:                              ; =>This Inner Loop Header: Depth=1
	v_add_u32_e32 v4, -1, v3
	v_lshl_add_u64 v[6:7], v[4:5], 4, s[6:7]
	global_load_dwordx4 v[6:9], v[6:7], off
	v_mul_hi_u32 v10, v0, v2
	v_add_u32_e32 v3, s12, v3
	v_mul_lo_u32 v11, s11, v10
	v_not_b32_e32 v10, v10
	v_mul_hi_u32 v12, v4, v0
	v_cmp_lt_u32_e32 vcc, s10, v3
	v_sub_u32_e32 v13, v2, v11
	v_mad_u64_u32 v[10:11], s[14:15], s11, v10, v[2:3]
	v_add_u32_e32 v11, 1, v12
	s_or_b64 s[0:1], vcc, s[0:1]
	v_cmp_le_u32_e32 vcc, s11, v13
	v_add_u32_e32 v2, s12, v2
	s_nop 0
	v_cndmask_b32_e32 v11, v12, v11, vcc
	v_cndmask_b32_e32 v10, v13, v10, vcc
	v_add_u32_e32 v12, 1, v11
	v_cmp_le_u32_e32 vcc, s11, v10
	s_nop 1
	v_cndmask_b32_e32 v12, v11, v12, vcc
	v_mad_u64_u32 v[10:11], s[14:15], s9, v12, v[4:5]
	v_mul_lo_u32 v4, v12, s2
	v_mul_lo_u32 v10, v10, s3
	v_add3_u32 v4, v10, v4, s8
	v_lshl_add_u64 v[10:11], v[4:5], 4, s[4:5]
	s_waitcnt vmcnt(0)
	global_store_dwordx4 v[10:11], v[6:9], off
	s_andn2_b64 exec, exec, s[0:1]
	s_cbranch_execnz .LBB187_2
; %bb.3:
	s_or_b64 exec, exec, s[0:1]
	v_add_u32_e32 v2, -1, v3
	v_cmp_gt_u32_e32 vcc, s10, v2
	s_and_b64 exec, exec, vcc
	s_cbranch_execz .LBB187_6
; %bb.4:
	v_mov_b32_e32 v5, 0
	v_mov_b32_e32 v3, v5
	v_mad_u64_u32 v[6:7], s[0:1], v0, v2, 0
	v_lshl_add_u64 v[8:9], v[2:3], 4, s[6:7]
	s_mov_b64 s[0:1], 0
.LBB187_5:                              ; =>This Inner Loop Header: Depth=1
	global_load_dwordx4 v[10:13], v[8:9], off
	v_not_b32_e32 v3, v7
	v_mul_lo_u32 v4, s11, v7
	v_mad_u64_u32 v[14:15], s[6:7], s11, v3, v[2:3]
	v_sub_u32_e32 v3, v2, v4
	v_add_u32_e32 v16, 1, v7
	v_cmp_le_u32_e32 vcc, s11, v3
	v_lshl_add_u64 v[8:9], v[8:9], 0, 16
	s_nop 0
	v_cndmask_b32_e32 v4, v7, v16, vcc
	v_cndmask_b32_e32 v3, v3, v14, vcc
	v_add_u32_e32 v14, 1, v4
	v_cmp_le_u32_e32 vcc, s11, v3
	v_lshl_add_u64 v[6:7], v[6:7], 0, v[0:1]
	s_nop 0
	v_cndmask_b32_e32 v3, v4, v14, vcc
	v_mad_u64_u32 v[14:15], s[6:7], s9, v3, v[2:3]
	v_mul_lo_u32 v3, v3, s2
	v_add_u32_e32 v2, 1, v2
	v_mul_lo_u32 v4, v14, s3
	v_cmp_le_u32_e32 vcc, s10, v2
	v_add3_u32 v4, v3, s8, v4
	s_or_b64 s[0:1], vcc, s[0:1]
	v_lshl_add_u64 v[14:15], v[4:5], 4, s[4:5]
	s_waitcnt vmcnt(0)
	global_store_dwordx4 v[14:15], v[10:13], off
	s_andn2_b64 exec, exec, s[0:1]
	s_cbranch_execnz .LBB187_5
.LBB187_6:
	s_endpgm
	.section	.rodata,"a",@progbits
	.p2align	6, 0x0
	.amdhsa_kernel _ZN2at6native12_GLOBAL__N_135CatArrayBatchedCopy_alignedK_contigINS1_10OpaqueTypeILj16EEEjLi2ELi64ELi64ELi8EEEvPT_NS1_25CatArrInputTensorMetadataIS5_T0_XT2_EXT3_EEENS1_16TensorSizeStrideIS8_Lj4EEEiS8_
		.amdhsa_group_segment_fixed_size 0
		.amdhsa_private_segment_fixed_size 0
		.amdhsa_kernarg_size 3696
		.amdhsa_user_sgpr_count 2
		.amdhsa_user_sgpr_dispatch_ptr 0
		.amdhsa_user_sgpr_queue_ptr 0
		.amdhsa_user_sgpr_kernarg_segment_ptr 1
		.amdhsa_user_sgpr_dispatch_id 0
		.amdhsa_user_sgpr_kernarg_preload_length 0
		.amdhsa_user_sgpr_kernarg_preload_offset 0
		.amdhsa_user_sgpr_private_segment_size 0
		.amdhsa_uses_dynamic_stack 0
		.amdhsa_enable_private_segment 0
		.amdhsa_system_sgpr_workgroup_id_x 1
		.amdhsa_system_sgpr_workgroup_id_y 1
		.amdhsa_system_sgpr_workgroup_id_z 0
		.amdhsa_system_sgpr_workgroup_info 0
		.amdhsa_system_vgpr_workitem_id 0
		.amdhsa_next_free_vgpr 17
		.amdhsa_next_free_sgpr 20
		.amdhsa_accum_offset 20
		.amdhsa_reserve_vcc 1
		.amdhsa_float_round_mode_32 0
		.amdhsa_float_round_mode_16_64 0
		.amdhsa_float_denorm_mode_32 3
		.amdhsa_float_denorm_mode_16_64 3
		.amdhsa_dx10_clamp 1
		.amdhsa_ieee_mode 1
		.amdhsa_fp16_overflow 0
		.amdhsa_tg_split 0
		.amdhsa_exception_fp_ieee_invalid_op 0
		.amdhsa_exception_fp_denorm_src 0
		.amdhsa_exception_fp_ieee_div_zero 0
		.amdhsa_exception_fp_ieee_overflow 0
		.amdhsa_exception_fp_ieee_underflow 0
		.amdhsa_exception_fp_ieee_inexact 0
		.amdhsa_exception_int_div_zero 0
	.end_amdhsa_kernel
	.section	.text._ZN2at6native12_GLOBAL__N_135CatArrayBatchedCopy_alignedK_contigINS1_10OpaqueTypeILj16EEEjLi2ELi64ELi64ELi8EEEvPT_NS1_25CatArrInputTensorMetadataIS5_T0_XT2_EXT3_EEENS1_16TensorSizeStrideIS8_Lj4EEEiS8_,"axG",@progbits,_ZN2at6native12_GLOBAL__N_135CatArrayBatchedCopy_alignedK_contigINS1_10OpaqueTypeILj16EEEjLi2ELi64ELi64ELi8EEEvPT_NS1_25CatArrInputTensorMetadataIS5_T0_XT2_EXT3_EEENS1_16TensorSizeStrideIS8_Lj4EEEiS8_,comdat
.Lfunc_end187:
	.size	_ZN2at6native12_GLOBAL__N_135CatArrayBatchedCopy_alignedK_contigINS1_10OpaqueTypeILj16EEEjLi2ELi64ELi64ELi8EEEvPT_NS1_25CatArrInputTensorMetadataIS5_T0_XT2_EXT3_EEENS1_16TensorSizeStrideIS8_Lj4EEEiS8_, .Lfunc_end187-_ZN2at6native12_GLOBAL__N_135CatArrayBatchedCopy_alignedK_contigINS1_10OpaqueTypeILj16EEEjLi2ELi64ELi64ELi8EEEvPT_NS1_25CatArrInputTensorMetadataIS5_T0_XT2_EXT3_EEENS1_16TensorSizeStrideIS8_Lj4EEEiS8_
                                        ; -- End function
	.set _ZN2at6native12_GLOBAL__N_135CatArrayBatchedCopy_alignedK_contigINS1_10OpaqueTypeILj16EEEjLi2ELi64ELi64ELi8EEEvPT_NS1_25CatArrInputTensorMetadataIS5_T0_XT2_EXT3_EEENS1_16TensorSizeStrideIS8_Lj4EEEiS8_.num_vgpr, 17
	.set _ZN2at6native12_GLOBAL__N_135CatArrayBatchedCopy_alignedK_contigINS1_10OpaqueTypeILj16EEEjLi2ELi64ELi64ELi8EEEvPT_NS1_25CatArrInputTensorMetadataIS5_T0_XT2_EXT3_EEENS1_16TensorSizeStrideIS8_Lj4EEEiS8_.num_agpr, 0
	.set _ZN2at6native12_GLOBAL__N_135CatArrayBatchedCopy_alignedK_contigINS1_10OpaqueTypeILj16EEEjLi2ELi64ELi64ELi8EEEvPT_NS1_25CatArrInputTensorMetadataIS5_T0_XT2_EXT3_EEENS1_16TensorSizeStrideIS8_Lj4EEEiS8_.numbered_sgpr, 20
	.set _ZN2at6native12_GLOBAL__N_135CatArrayBatchedCopy_alignedK_contigINS1_10OpaqueTypeILj16EEEjLi2ELi64ELi64ELi8EEEvPT_NS1_25CatArrInputTensorMetadataIS5_T0_XT2_EXT3_EEENS1_16TensorSizeStrideIS8_Lj4EEEiS8_.num_named_barrier, 0
	.set _ZN2at6native12_GLOBAL__N_135CatArrayBatchedCopy_alignedK_contigINS1_10OpaqueTypeILj16EEEjLi2ELi64ELi64ELi8EEEvPT_NS1_25CatArrInputTensorMetadataIS5_T0_XT2_EXT3_EEENS1_16TensorSizeStrideIS8_Lj4EEEiS8_.private_seg_size, 0
	.set _ZN2at6native12_GLOBAL__N_135CatArrayBatchedCopy_alignedK_contigINS1_10OpaqueTypeILj16EEEjLi2ELi64ELi64ELi8EEEvPT_NS1_25CatArrInputTensorMetadataIS5_T0_XT2_EXT3_EEENS1_16TensorSizeStrideIS8_Lj4EEEiS8_.uses_vcc, 1
	.set _ZN2at6native12_GLOBAL__N_135CatArrayBatchedCopy_alignedK_contigINS1_10OpaqueTypeILj16EEEjLi2ELi64ELi64ELi8EEEvPT_NS1_25CatArrInputTensorMetadataIS5_T0_XT2_EXT3_EEENS1_16TensorSizeStrideIS8_Lj4EEEiS8_.uses_flat_scratch, 0
	.set _ZN2at6native12_GLOBAL__N_135CatArrayBatchedCopy_alignedK_contigINS1_10OpaqueTypeILj16EEEjLi2ELi64ELi64ELi8EEEvPT_NS1_25CatArrInputTensorMetadataIS5_T0_XT2_EXT3_EEENS1_16TensorSizeStrideIS8_Lj4EEEiS8_.has_dyn_sized_stack, 0
	.set _ZN2at6native12_GLOBAL__N_135CatArrayBatchedCopy_alignedK_contigINS1_10OpaqueTypeILj16EEEjLi2ELi64ELi64ELi8EEEvPT_NS1_25CatArrInputTensorMetadataIS5_T0_XT2_EXT3_EEENS1_16TensorSizeStrideIS8_Lj4EEEiS8_.has_recursion, 0
	.set _ZN2at6native12_GLOBAL__N_135CatArrayBatchedCopy_alignedK_contigINS1_10OpaqueTypeILj16EEEjLi2ELi64ELi64ELi8EEEvPT_NS1_25CatArrInputTensorMetadataIS5_T0_XT2_EXT3_EEENS1_16TensorSizeStrideIS8_Lj4EEEiS8_.has_indirect_call, 0
	.section	.AMDGPU.csdata,"",@progbits
; Kernel info:
; codeLenInByte = 644
; TotalNumSgprs: 26
; NumVgprs: 17
; NumAgprs: 0
; TotalNumVgprs: 17
; ScratchSize: 0
; MemoryBound: 0
; FloatMode: 240
; IeeeMode: 1
; LDSByteSize: 0 bytes/workgroup (compile time only)
; SGPRBlocks: 3
; VGPRBlocks: 2
; NumSGPRsForWavesPerEU: 26
; NumVGPRsForWavesPerEU: 17
; AccumOffset: 20
; Occupancy: 8
; WaveLimiterHint : 1
; COMPUTE_PGM_RSRC2:SCRATCH_EN: 0
; COMPUTE_PGM_RSRC2:USER_SGPR: 2
; COMPUTE_PGM_RSRC2:TRAP_HANDLER: 0
; COMPUTE_PGM_RSRC2:TGID_X_EN: 1
; COMPUTE_PGM_RSRC2:TGID_Y_EN: 1
; COMPUTE_PGM_RSRC2:TGID_Z_EN: 0
; COMPUTE_PGM_RSRC2:TIDIG_COMP_CNT: 0
; COMPUTE_PGM_RSRC3_GFX90A:ACCUM_OFFSET: 4
; COMPUTE_PGM_RSRC3_GFX90A:TG_SPLIT: 0
	.section	.text._ZN2at6native12_GLOBAL__N_126CatArrayBatchedCopy_contigINS1_10OpaqueTypeILj16EEEjLi2ELi64ELi64EEEvPT_NS1_25CatArrInputTensorMetadataIS5_T0_XT2_EXT3_EEENS1_16TensorSizeStrideIS8_Lj4EEEiS8_,"axG",@progbits,_ZN2at6native12_GLOBAL__N_126CatArrayBatchedCopy_contigINS1_10OpaqueTypeILj16EEEjLi2ELi64ELi64EEEvPT_NS1_25CatArrInputTensorMetadataIS5_T0_XT2_EXT3_EEENS1_16TensorSizeStrideIS8_Lj4EEEiS8_,comdat
	.globl	_ZN2at6native12_GLOBAL__N_126CatArrayBatchedCopy_contigINS1_10OpaqueTypeILj16EEEjLi2ELi64ELi64EEEvPT_NS1_25CatArrInputTensorMetadataIS5_T0_XT2_EXT3_EEENS1_16TensorSizeStrideIS8_Lj4EEEiS8_ ; -- Begin function _ZN2at6native12_GLOBAL__N_126CatArrayBatchedCopy_contigINS1_10OpaqueTypeILj16EEEjLi2ELi64ELi64EEEvPT_NS1_25CatArrInputTensorMetadataIS5_T0_XT2_EXT3_EEENS1_16TensorSizeStrideIS8_Lj4EEEiS8_
	.p2align	8
	.type	_ZN2at6native12_GLOBAL__N_126CatArrayBatchedCopy_contigINS1_10OpaqueTypeILj16EEEjLi2ELi64ELi64EEEvPT_NS1_25CatArrInputTensorMetadataIS5_T0_XT2_EXT3_EEENS1_16TensorSizeStrideIS8_Lj4EEEiS8_,@function
_ZN2at6native12_GLOBAL__N_126CatArrayBatchedCopy_contigINS1_10OpaqueTypeILj16EEEjLi2ELi64ELi64EEEvPT_NS1_25CatArrInputTensorMetadataIS5_T0_XT2_EXT3_EEENS1_16TensorSizeStrideIS8_Lj4EEEiS8_: ; @_ZN2at6native12_GLOBAL__N_126CatArrayBatchedCopy_contigINS1_10OpaqueTypeILj16EEEjLi2ELi64ELi64EEEvPT_NS1_25CatArrInputTensorMetadataIS5_T0_XT2_EXT3_EEENS1_16TensorSizeStrideIS8_Lj4EEEiS8_
; %bb.0:
	s_mov_b32 s4, s3
	s_load_dword s3, s[0:1], 0xd7c
	s_add_u32 s6, s0, 0xd70
	s_mov_b32 s5, 0
	s_addc_u32 s7, s1, 0
	s_lshl_b64 s[4:5], s[4:5], 2
	s_waitcnt lgkmcnt(0)
	s_and_b32 s10, s3, 0xffff
	s_add_u32 s12, s0, s4
	s_addc_u32 s13, s1, s5
	s_load_dword s8, s[12:13], 0x408
	s_mul_i32 s2, s2, s10
	v_add_u32_e32 v0, s2, v0
	s_add_u32 s2, s12, 8
	s_addc_u32 s3, s13, 0
	s_waitcnt lgkmcnt(0)
	v_cmp_gt_u32_e32 vcc, s8, v0
	s_and_saveexec_b64 s[12:13], vcc
	s_cbranch_execz .LBB188_3
; %bb.1:
	s_add_u32 s12, s2, s4
	s_addc_u32 s13, s3, s5
	s_sub_u32 s2, 0, s4
	s_subb_u32 s3, 0, s5
	s_add_u32 s14, s12, s2
	s_addc_u32 s15, s13, s3
	s_load_dword s4, s[14:15], 0x300
	s_load_dwordx2 s[16:17], s[0:1], 0xd68
	s_load_dword s5, s[0:1], 0xd4c
	s_load_dwordx2 s[2:3], s[0:1], 0xd58
	s_waitcnt lgkmcnt(0)
	s_cmp_eq_u32 s16, 1
	s_cselect_b32 s9, s4, s5
	v_cvt_f32_u32_e32 v1, s9
	s_load_dwordx2 s[4:5], s[0:1], 0x0
	s_load_dword s11, s[6:7], 0x0
	s_nop 0
	s_load_dwordx2 s[0:1], s[12:13], 0x0
	s_load_dword s16, s[14:15], 0x200
	s_sub_i32 s12, 0, s9
	v_rcp_iflag_f32_e32 v1, v1
	s_mov_b64 s[6:7], 0
	s_waitcnt lgkmcnt(0)
	s_mul_i32 s10, s11, s10
	s_mul_i32 s11, s16, s17
	v_mul_f32_e32 v1, 0x4f7ffffe, v1
	v_cvt_u32_f32_e32 v1, v1
	v_mul_lo_u32 v2, s12, v1
	v_mul_hi_u32 v2, v1, v2
	v_add_u32_e32 v2, v1, v2
	v_mov_b32_e32 v1, 0
.LBB188_2:                              ; =>This Inner Loop Header: Depth=1
	v_lshl_add_u64 v[4:5], v[0:1], 4, s[0:1]
	global_load_dwordx4 v[4:7], v[4:5], off
	v_mul_hi_u32 v3, v2, v0
	v_mul_lo_u32 v8, s9, v3
	v_not_b32_e32 v10, v3
	v_sub_u32_e32 v8, v0, v8
	v_add_u32_e32 v12, 1, v3
	v_mad_u64_u32 v[10:11], s[14:15], s9, v10, v[0:1]
	v_cmp_le_u32_e32 vcc, s9, v8
	v_mov_b32_e32 v9, v1
	s_nop 0
	v_cndmask_b32_e32 v3, v3, v12, vcc
	v_cndmask_b32_e32 v8, v8, v10, vcc
	v_add_u32_e32 v10, 1, v3
	v_cmp_le_u32_e32 vcc, s9, v8
	s_nop 1
	v_cndmask_b32_e32 v3, v3, v10, vcc
	v_mad_u64_u32 v[10:11], s[14:15], s12, v3, v[0:1]
	v_mul_lo_u32 v3, v3, s2
	v_add_u32_e32 v0, s10, v0
	v_mul_lo_u32 v8, v10, s3
	v_cmp_le_u32_e32 vcc, s8, v0
	v_add3_u32 v8, v3, s11, v8
	s_or_b64 s[6:7], vcc, s[6:7]
	v_lshl_add_u64 v[8:9], v[8:9], 4, s[4:5]
	s_waitcnt vmcnt(0)
	global_store_dwordx4 v[8:9], v[4:7], off
	s_andn2_b64 exec, exec, s[6:7]
	s_cbranch_execnz .LBB188_2
.LBB188_3:
	s_endpgm
	.section	.rodata,"a",@progbits
	.p2align	6, 0x0
	.amdhsa_kernel _ZN2at6native12_GLOBAL__N_126CatArrayBatchedCopy_contigINS1_10OpaqueTypeILj16EEEjLi2ELi64ELi64EEEvPT_NS1_25CatArrInputTensorMetadataIS5_T0_XT2_EXT3_EEENS1_16TensorSizeStrideIS8_Lj4EEEiS8_
		.amdhsa_group_segment_fixed_size 0
		.amdhsa_private_segment_fixed_size 0
		.amdhsa_kernarg_size 3696
		.amdhsa_user_sgpr_count 2
		.amdhsa_user_sgpr_dispatch_ptr 0
		.amdhsa_user_sgpr_queue_ptr 0
		.amdhsa_user_sgpr_kernarg_segment_ptr 1
		.amdhsa_user_sgpr_dispatch_id 0
		.amdhsa_user_sgpr_kernarg_preload_length 0
		.amdhsa_user_sgpr_kernarg_preload_offset 0
		.amdhsa_user_sgpr_private_segment_size 0
		.amdhsa_uses_dynamic_stack 0
		.amdhsa_enable_private_segment 0
		.amdhsa_system_sgpr_workgroup_id_x 1
		.amdhsa_system_sgpr_workgroup_id_y 1
		.amdhsa_system_sgpr_workgroup_id_z 0
		.amdhsa_system_sgpr_workgroup_info 0
		.amdhsa_system_vgpr_workitem_id 0
		.amdhsa_next_free_vgpr 13
		.amdhsa_next_free_sgpr 18
		.amdhsa_accum_offset 16
		.amdhsa_reserve_vcc 1
		.amdhsa_float_round_mode_32 0
		.amdhsa_float_round_mode_16_64 0
		.amdhsa_float_denorm_mode_32 3
		.amdhsa_float_denorm_mode_16_64 3
		.amdhsa_dx10_clamp 1
		.amdhsa_ieee_mode 1
		.amdhsa_fp16_overflow 0
		.amdhsa_tg_split 0
		.amdhsa_exception_fp_ieee_invalid_op 0
		.amdhsa_exception_fp_denorm_src 0
		.amdhsa_exception_fp_ieee_div_zero 0
		.amdhsa_exception_fp_ieee_overflow 0
		.amdhsa_exception_fp_ieee_underflow 0
		.amdhsa_exception_fp_ieee_inexact 0
		.amdhsa_exception_int_div_zero 0
	.end_amdhsa_kernel
	.section	.text._ZN2at6native12_GLOBAL__N_126CatArrayBatchedCopy_contigINS1_10OpaqueTypeILj16EEEjLi2ELi64ELi64EEEvPT_NS1_25CatArrInputTensorMetadataIS5_T0_XT2_EXT3_EEENS1_16TensorSizeStrideIS8_Lj4EEEiS8_,"axG",@progbits,_ZN2at6native12_GLOBAL__N_126CatArrayBatchedCopy_contigINS1_10OpaqueTypeILj16EEEjLi2ELi64ELi64EEEvPT_NS1_25CatArrInputTensorMetadataIS5_T0_XT2_EXT3_EEENS1_16TensorSizeStrideIS8_Lj4EEEiS8_,comdat
.Lfunc_end188:
	.size	_ZN2at6native12_GLOBAL__N_126CatArrayBatchedCopy_contigINS1_10OpaqueTypeILj16EEEjLi2ELi64ELi64EEEvPT_NS1_25CatArrInputTensorMetadataIS5_T0_XT2_EXT3_EEENS1_16TensorSizeStrideIS8_Lj4EEEiS8_, .Lfunc_end188-_ZN2at6native12_GLOBAL__N_126CatArrayBatchedCopy_contigINS1_10OpaqueTypeILj16EEEjLi2ELi64ELi64EEEvPT_NS1_25CatArrInputTensorMetadataIS5_T0_XT2_EXT3_EEENS1_16TensorSizeStrideIS8_Lj4EEEiS8_
                                        ; -- End function
	.set _ZN2at6native12_GLOBAL__N_126CatArrayBatchedCopy_contigINS1_10OpaqueTypeILj16EEEjLi2ELi64ELi64EEEvPT_NS1_25CatArrInputTensorMetadataIS5_T0_XT2_EXT3_EEENS1_16TensorSizeStrideIS8_Lj4EEEiS8_.num_vgpr, 13
	.set _ZN2at6native12_GLOBAL__N_126CatArrayBatchedCopy_contigINS1_10OpaqueTypeILj16EEEjLi2ELi64ELi64EEEvPT_NS1_25CatArrInputTensorMetadataIS5_T0_XT2_EXT3_EEENS1_16TensorSizeStrideIS8_Lj4EEEiS8_.num_agpr, 0
	.set _ZN2at6native12_GLOBAL__N_126CatArrayBatchedCopy_contigINS1_10OpaqueTypeILj16EEEjLi2ELi64ELi64EEEvPT_NS1_25CatArrInputTensorMetadataIS5_T0_XT2_EXT3_EEENS1_16TensorSizeStrideIS8_Lj4EEEiS8_.numbered_sgpr, 18
	.set _ZN2at6native12_GLOBAL__N_126CatArrayBatchedCopy_contigINS1_10OpaqueTypeILj16EEEjLi2ELi64ELi64EEEvPT_NS1_25CatArrInputTensorMetadataIS5_T0_XT2_EXT3_EEENS1_16TensorSizeStrideIS8_Lj4EEEiS8_.num_named_barrier, 0
	.set _ZN2at6native12_GLOBAL__N_126CatArrayBatchedCopy_contigINS1_10OpaqueTypeILj16EEEjLi2ELi64ELi64EEEvPT_NS1_25CatArrInputTensorMetadataIS5_T0_XT2_EXT3_EEENS1_16TensorSizeStrideIS8_Lj4EEEiS8_.private_seg_size, 0
	.set _ZN2at6native12_GLOBAL__N_126CatArrayBatchedCopy_contigINS1_10OpaqueTypeILj16EEEjLi2ELi64ELi64EEEvPT_NS1_25CatArrInputTensorMetadataIS5_T0_XT2_EXT3_EEENS1_16TensorSizeStrideIS8_Lj4EEEiS8_.uses_vcc, 1
	.set _ZN2at6native12_GLOBAL__N_126CatArrayBatchedCopy_contigINS1_10OpaqueTypeILj16EEEjLi2ELi64ELi64EEEvPT_NS1_25CatArrInputTensorMetadataIS5_T0_XT2_EXT3_EEENS1_16TensorSizeStrideIS8_Lj4EEEiS8_.uses_flat_scratch, 0
	.set _ZN2at6native12_GLOBAL__N_126CatArrayBatchedCopy_contigINS1_10OpaqueTypeILj16EEEjLi2ELi64ELi64EEEvPT_NS1_25CatArrInputTensorMetadataIS5_T0_XT2_EXT3_EEENS1_16TensorSizeStrideIS8_Lj4EEEiS8_.has_dyn_sized_stack, 0
	.set _ZN2at6native12_GLOBAL__N_126CatArrayBatchedCopy_contigINS1_10OpaqueTypeILj16EEEjLi2ELi64ELi64EEEvPT_NS1_25CatArrInputTensorMetadataIS5_T0_XT2_EXT3_EEENS1_16TensorSizeStrideIS8_Lj4EEEiS8_.has_recursion, 0
	.set _ZN2at6native12_GLOBAL__N_126CatArrayBatchedCopy_contigINS1_10OpaqueTypeILj16EEEjLi2ELi64ELi64EEEvPT_NS1_25CatArrInputTensorMetadataIS5_T0_XT2_EXT3_EEENS1_16TensorSizeStrideIS8_Lj4EEEiS8_.has_indirect_call, 0
	.section	.AMDGPU.csdata,"",@progbits
; Kernel info:
; codeLenInByte = 424
; TotalNumSgprs: 24
; NumVgprs: 13
; NumAgprs: 0
; TotalNumVgprs: 13
; ScratchSize: 0
; MemoryBound: 0
; FloatMode: 240
; IeeeMode: 1
; LDSByteSize: 0 bytes/workgroup (compile time only)
; SGPRBlocks: 2
; VGPRBlocks: 1
; NumSGPRsForWavesPerEU: 24
; NumVGPRsForWavesPerEU: 13
; AccumOffset: 16
; Occupancy: 8
; WaveLimiterHint : 1
; COMPUTE_PGM_RSRC2:SCRATCH_EN: 0
; COMPUTE_PGM_RSRC2:USER_SGPR: 2
; COMPUTE_PGM_RSRC2:TRAP_HANDLER: 0
; COMPUTE_PGM_RSRC2:TGID_X_EN: 1
; COMPUTE_PGM_RSRC2:TGID_Y_EN: 1
; COMPUTE_PGM_RSRC2:TGID_Z_EN: 0
; COMPUTE_PGM_RSRC2:TIDIG_COMP_CNT: 0
; COMPUTE_PGM_RSRC3_GFX90A:ACCUM_OFFSET: 3
; COMPUTE_PGM_RSRC3_GFX90A:TG_SPLIT: 0
	.section	.text._ZN2at6native12_GLOBAL__N_119CatArrayBatchedCopyINS1_10OpaqueTypeILj16EEEjLi2ELi64ELi64EEEvPT_NS1_25CatArrInputTensorMetadataIS5_T0_XT2_EXT3_EEENS1_16TensorSizeStrideIS8_Lj4EEEiS8_,"axG",@progbits,_ZN2at6native12_GLOBAL__N_119CatArrayBatchedCopyINS1_10OpaqueTypeILj16EEEjLi2ELi64ELi64EEEvPT_NS1_25CatArrInputTensorMetadataIS5_T0_XT2_EXT3_EEENS1_16TensorSizeStrideIS8_Lj4EEEiS8_,comdat
	.globl	_ZN2at6native12_GLOBAL__N_119CatArrayBatchedCopyINS1_10OpaqueTypeILj16EEEjLi2ELi64ELi64EEEvPT_NS1_25CatArrInputTensorMetadataIS5_T0_XT2_EXT3_EEENS1_16TensorSizeStrideIS8_Lj4EEEiS8_ ; -- Begin function _ZN2at6native12_GLOBAL__N_119CatArrayBatchedCopyINS1_10OpaqueTypeILj16EEEjLi2ELi64ELi64EEEvPT_NS1_25CatArrInputTensorMetadataIS5_T0_XT2_EXT3_EEENS1_16TensorSizeStrideIS8_Lj4EEEiS8_
	.p2align	8
	.type	_ZN2at6native12_GLOBAL__N_119CatArrayBatchedCopyINS1_10OpaqueTypeILj16EEEjLi2ELi64ELi64EEEvPT_NS1_25CatArrInputTensorMetadataIS5_T0_XT2_EXT3_EEENS1_16TensorSizeStrideIS8_Lj4EEEiS8_,@function
_ZN2at6native12_GLOBAL__N_119CatArrayBatchedCopyINS1_10OpaqueTypeILj16EEEjLi2ELi64ELi64EEEvPT_NS1_25CatArrInputTensorMetadataIS5_T0_XT2_EXT3_EEENS1_16TensorSizeStrideIS8_Lj4EEEiS8_: ; @_ZN2at6native12_GLOBAL__N_119CatArrayBatchedCopyINS1_10OpaqueTypeILj16EEEjLi2ELi64ELi64EEEvPT_NS1_25CatArrInputTensorMetadataIS5_T0_XT2_EXT3_EEENS1_16TensorSizeStrideIS8_Lj4EEEiS8_
; %bb.0:
	s_load_dword s4, s[0:1], 0xd7c
	s_mov_b32 s6, s3
	s_or_b32 s3, s0, 8
	s_add_u32 s10, s0, 0xd70
	s_mov_b32 s7, 0
	s_addc_u32 s11, s1, 0
	s_waitcnt lgkmcnt(0)
	s_and_b32 s15, s4, 0xffff
	s_lshl_b64 s[8:9], s[6:7], 2
	s_add_u32 s4, s3, s8
	s_addc_u32 s5, s1, s9
	s_load_dword s12, s[4:5], 0x400
	s_mul_i32 s2, s2, s15
	v_add_u32_e32 v0, s2, v0
	s_waitcnt lgkmcnt(0)
	v_cmp_gt_u32_e32 vcc, s12, v0
	s_and_saveexec_b64 s[16:17], vcc
	s_cbranch_execz .LBB189_5
; %bb.1:
	s_mul_i32 s13, s6, 28
	s_mul_hi_u32 s2, s6, 28
	s_add_u32 s16, s4, s13
	s_addc_u32 s17, s5, s2
	s_add_u32 s18, s3, s6
	s_addc_u32 s19, s1, 0
	v_mov_b32_e32 v1, 0
	global_load_ubyte v2, v1, s[18:19] offset:1280
	s_load_dwordx2 s[2:3], s[0:1], 0x0
	s_load_dwordx2 s[20:21], s[0:1], 0xd68
	;; [unrolled: 1-line block ×3, first 2 shown]
	s_load_dword s13, s[0:1], 0xd4c
	s_load_dword s22, s[10:11], 0x0
	s_mul_hi_u32 s7, s6, 7
	s_mul_i32 s6, s6, 7
	s_waitcnt lgkmcnt(0)
	s_mul_i32 s15, s22, s15
	s_waitcnt vmcnt(0)
	v_and_b32_e32 v2, 1, v2
	v_cmp_eq_u32_e32 vcc, 1, v2
	s_xor_b64 s[0:1], vcc, -1
	s_add_u32 s10, s18, s6
	s_addc_u32 s11, s19, s7
	s_sub_u32 s6, 0, s8
	s_subb_u32 s7, 0, s9
	s_add_u32 s18, s10, s6
	s_addc_u32 s19, s11, s7
	s_load_dword s14, s[18:19], 0x300
	s_load_dword s23, s[16:17], 0x544
	s_load_dwordx2 s[6:7], s[16:17], 0x550
	s_load_dwordx2 s[8:9], s[10:11], 0x0
	s_load_dword s24, s[18:19], 0x200
	s_cmp_eq_u32 s20, 1
	s_waitcnt lgkmcnt(0)
	s_cselect_b32 s13, s14, s13
	s_cselect_b32 s14, s14, s23
	v_cvt_f32_u32_e32 v2, s13
	v_cvt_f32_u32_e32 v3, s14
	s_sub_i32 s17, 0, s13
	s_sub_i32 s18, 0, s14
	v_rcp_iflag_f32_e32 v2, v2
	v_rcp_iflag_f32_e32 v3, v3
	v_cndmask_b32_e64 v6, 0, 1, s[0:1]
	s_mov_b64 s[10:11], 0
	v_mul_f32_e32 v2, 0x4f7ffffe, v2
	v_mul_f32_e32 v3, 0x4f7ffffe, v3
	v_cvt_u32_f32_e32 v2, v2
	v_cvt_u32_f32_e32 v3, v3
	s_mul_i32 s16, s24, s21
	v_cmp_ne_u32_e64 s[0:1], 1, v6
	v_mul_lo_u32 v4, s17, v2
	v_mul_lo_u32 v5, s18, v3
	v_mul_hi_u32 v4, v2, v4
	v_mul_hi_u32 v5, v3, v5
	v_add_u32_e32 v4, v2, v4
	v_add_u32_e32 v5, v3, v5
	s_branch .LBB189_3
.LBB189_2:                              ;   in Loop: Header=BB189_3 Depth=1
	v_lshl_add_u64 v[2:3], v[2:3], 4, s[8:9]
	global_load_dwordx4 v[6:9], v[2:3], off
	v_mul_hi_u32 v10, v4, v0
	v_mad_u64_u32 v[2:3], s[20:21], s17, v10, v[0:1]
	v_not_b32_e32 v11, v10
	v_add_u32_e32 v3, 1, v10
	v_cmp_le_u32_e32 vcc, s13, v2
	s_nop 1
	v_cndmask_b32_e32 v3, v10, v3, vcc
	v_mad_u64_u32 v[10:11], s[20:21], s13, v11, v[0:1]
	v_cndmask_b32_e32 v2, v2, v10, vcc
	v_add_u32_e32 v10, 1, v3
	v_cmp_le_u32_e32 vcc, s13, v2
	s_nop 1
	v_cndmask_b32_e32 v10, v3, v10, vcc
	v_mad_u64_u32 v[2:3], s[20:21], s17, v10, v[0:1]
	v_mul_lo_u32 v2, v2, s5
	v_mul_lo_u32 v3, v10, s4
	v_add_u32_e32 v0, s15, v0
	v_add3_u32 v2, v2, v3, s16
	v_mov_b32_e32 v3, v1
	v_cmp_le_u32_e32 vcc, s12, v0
	v_lshl_add_u64 v[2:3], v[2:3], 4, s[2:3]
	s_or_b64 s[10:11], vcc, s[10:11]
	s_waitcnt vmcnt(0)
	global_store_dwordx4 v[2:3], v[6:9], off
	s_andn2_b64 exec, exec, s[10:11]
	s_cbranch_execz .LBB189_5
.LBB189_3:                              ; =>This Inner Loop Header: Depth=1
	s_and_b64 vcc, exec, s[0:1]
	v_mov_b64_e32 v[2:3], v[0:1]
	s_cbranch_vccnz .LBB189_2
; %bb.4:                                ;   in Loop: Header=BB189_3 Depth=1
	v_mul_hi_u32 v6, v5, v0
	v_mad_u64_u32 v[2:3], s[20:21], s18, v6, v[0:1]
	v_not_b32_e32 v7, v6
	v_add_u32_e32 v3, 1, v6
	v_cmp_le_u32_e32 vcc, s14, v2
	s_nop 1
	v_cndmask_b32_e32 v3, v6, v3, vcc
	v_mad_u64_u32 v[6:7], s[20:21], s14, v7, v[0:1]
	v_cndmask_b32_e32 v2, v2, v6, vcc
	v_add_u32_e32 v6, 1, v3
	v_cmp_le_u32_e32 vcc, s14, v2
	s_nop 1
	v_cndmask_b32_e32 v6, v3, v6, vcc
	v_mad_u64_u32 v[2:3], s[20:21], s18, v6, v[0:1]
	v_mul_lo_u32 v6, v6, s6
	v_mad_u64_u32 v[2:3], s[20:21], v2, s7, v[6:7]
	v_mov_b32_e32 v3, v1
	s_branch .LBB189_2
.LBB189_5:
	s_endpgm
	.section	.rodata,"a",@progbits
	.p2align	6, 0x0
	.amdhsa_kernel _ZN2at6native12_GLOBAL__N_119CatArrayBatchedCopyINS1_10OpaqueTypeILj16EEEjLi2ELi64ELi64EEEvPT_NS1_25CatArrInputTensorMetadataIS5_T0_XT2_EXT3_EEENS1_16TensorSizeStrideIS8_Lj4EEEiS8_
		.amdhsa_group_segment_fixed_size 0
		.amdhsa_private_segment_fixed_size 0
		.amdhsa_kernarg_size 3696
		.amdhsa_user_sgpr_count 2
		.amdhsa_user_sgpr_dispatch_ptr 0
		.amdhsa_user_sgpr_queue_ptr 0
		.amdhsa_user_sgpr_kernarg_segment_ptr 1
		.amdhsa_user_sgpr_dispatch_id 0
		.amdhsa_user_sgpr_kernarg_preload_length 0
		.amdhsa_user_sgpr_kernarg_preload_offset 0
		.amdhsa_user_sgpr_private_segment_size 0
		.amdhsa_uses_dynamic_stack 0
		.amdhsa_enable_private_segment 0
		.amdhsa_system_sgpr_workgroup_id_x 1
		.amdhsa_system_sgpr_workgroup_id_y 1
		.amdhsa_system_sgpr_workgroup_id_z 0
		.amdhsa_system_sgpr_workgroup_info 0
		.amdhsa_system_vgpr_workitem_id 0
		.amdhsa_next_free_vgpr 12
		.amdhsa_next_free_sgpr 25
		.amdhsa_accum_offset 12
		.amdhsa_reserve_vcc 1
		.amdhsa_float_round_mode_32 0
		.amdhsa_float_round_mode_16_64 0
		.amdhsa_float_denorm_mode_32 3
		.amdhsa_float_denorm_mode_16_64 3
		.amdhsa_dx10_clamp 1
		.amdhsa_ieee_mode 1
		.amdhsa_fp16_overflow 0
		.amdhsa_tg_split 0
		.amdhsa_exception_fp_ieee_invalid_op 0
		.amdhsa_exception_fp_denorm_src 0
		.amdhsa_exception_fp_ieee_div_zero 0
		.amdhsa_exception_fp_ieee_overflow 0
		.amdhsa_exception_fp_ieee_underflow 0
		.amdhsa_exception_fp_ieee_inexact 0
		.amdhsa_exception_int_div_zero 0
	.end_amdhsa_kernel
	.section	.text._ZN2at6native12_GLOBAL__N_119CatArrayBatchedCopyINS1_10OpaqueTypeILj16EEEjLi2ELi64ELi64EEEvPT_NS1_25CatArrInputTensorMetadataIS5_T0_XT2_EXT3_EEENS1_16TensorSizeStrideIS8_Lj4EEEiS8_,"axG",@progbits,_ZN2at6native12_GLOBAL__N_119CatArrayBatchedCopyINS1_10OpaqueTypeILj16EEEjLi2ELi64ELi64EEEvPT_NS1_25CatArrInputTensorMetadataIS5_T0_XT2_EXT3_EEENS1_16TensorSizeStrideIS8_Lj4EEEiS8_,comdat
.Lfunc_end189:
	.size	_ZN2at6native12_GLOBAL__N_119CatArrayBatchedCopyINS1_10OpaqueTypeILj16EEEjLi2ELi64ELi64EEEvPT_NS1_25CatArrInputTensorMetadataIS5_T0_XT2_EXT3_EEENS1_16TensorSizeStrideIS8_Lj4EEEiS8_, .Lfunc_end189-_ZN2at6native12_GLOBAL__N_119CatArrayBatchedCopyINS1_10OpaqueTypeILj16EEEjLi2ELi64ELi64EEEvPT_NS1_25CatArrInputTensorMetadataIS5_T0_XT2_EXT3_EEENS1_16TensorSizeStrideIS8_Lj4EEEiS8_
                                        ; -- End function
	.set _ZN2at6native12_GLOBAL__N_119CatArrayBatchedCopyINS1_10OpaqueTypeILj16EEEjLi2ELi64ELi64EEEvPT_NS1_25CatArrInputTensorMetadataIS5_T0_XT2_EXT3_EEENS1_16TensorSizeStrideIS8_Lj4EEEiS8_.num_vgpr, 12
	.set _ZN2at6native12_GLOBAL__N_119CatArrayBatchedCopyINS1_10OpaqueTypeILj16EEEjLi2ELi64ELi64EEEvPT_NS1_25CatArrInputTensorMetadataIS5_T0_XT2_EXT3_EEENS1_16TensorSizeStrideIS8_Lj4EEEiS8_.num_agpr, 0
	.set _ZN2at6native12_GLOBAL__N_119CatArrayBatchedCopyINS1_10OpaqueTypeILj16EEEjLi2ELi64ELi64EEEvPT_NS1_25CatArrInputTensorMetadataIS5_T0_XT2_EXT3_EEENS1_16TensorSizeStrideIS8_Lj4EEEiS8_.numbered_sgpr, 25
	.set _ZN2at6native12_GLOBAL__N_119CatArrayBatchedCopyINS1_10OpaqueTypeILj16EEEjLi2ELi64ELi64EEEvPT_NS1_25CatArrInputTensorMetadataIS5_T0_XT2_EXT3_EEENS1_16TensorSizeStrideIS8_Lj4EEEiS8_.num_named_barrier, 0
	.set _ZN2at6native12_GLOBAL__N_119CatArrayBatchedCopyINS1_10OpaqueTypeILj16EEEjLi2ELi64ELi64EEEvPT_NS1_25CatArrInputTensorMetadataIS5_T0_XT2_EXT3_EEENS1_16TensorSizeStrideIS8_Lj4EEEiS8_.private_seg_size, 0
	.set _ZN2at6native12_GLOBAL__N_119CatArrayBatchedCopyINS1_10OpaqueTypeILj16EEEjLi2ELi64ELi64EEEvPT_NS1_25CatArrInputTensorMetadataIS5_T0_XT2_EXT3_EEENS1_16TensorSizeStrideIS8_Lj4EEEiS8_.uses_vcc, 1
	.set _ZN2at6native12_GLOBAL__N_119CatArrayBatchedCopyINS1_10OpaqueTypeILj16EEEjLi2ELi64ELi64EEEvPT_NS1_25CatArrInputTensorMetadataIS5_T0_XT2_EXT3_EEENS1_16TensorSizeStrideIS8_Lj4EEEiS8_.uses_flat_scratch, 0
	.set _ZN2at6native12_GLOBAL__N_119CatArrayBatchedCopyINS1_10OpaqueTypeILj16EEEjLi2ELi64ELi64EEEvPT_NS1_25CatArrInputTensorMetadataIS5_T0_XT2_EXT3_EEENS1_16TensorSizeStrideIS8_Lj4EEEiS8_.has_dyn_sized_stack, 0
	.set _ZN2at6native12_GLOBAL__N_119CatArrayBatchedCopyINS1_10OpaqueTypeILj16EEEjLi2ELi64ELi64EEEvPT_NS1_25CatArrInputTensorMetadataIS5_T0_XT2_EXT3_EEENS1_16TensorSizeStrideIS8_Lj4EEEiS8_.has_recursion, 0
	.set _ZN2at6native12_GLOBAL__N_119CatArrayBatchedCopyINS1_10OpaqueTypeILj16EEEjLi2ELi64ELi64EEEvPT_NS1_25CatArrInputTensorMetadataIS5_T0_XT2_EXT3_EEENS1_16TensorSizeStrideIS8_Lj4EEEiS8_.has_indirect_call, 0
	.section	.AMDGPU.csdata,"",@progbits
; Kernel info:
; codeLenInByte = 660
; TotalNumSgprs: 31
; NumVgprs: 12
; NumAgprs: 0
; TotalNumVgprs: 12
; ScratchSize: 0
; MemoryBound: 0
; FloatMode: 240
; IeeeMode: 1
; LDSByteSize: 0 bytes/workgroup (compile time only)
; SGPRBlocks: 3
; VGPRBlocks: 1
; NumSGPRsForWavesPerEU: 31
; NumVGPRsForWavesPerEU: 12
; AccumOffset: 12
; Occupancy: 8
; WaveLimiterHint : 1
; COMPUTE_PGM_RSRC2:SCRATCH_EN: 0
; COMPUTE_PGM_RSRC2:USER_SGPR: 2
; COMPUTE_PGM_RSRC2:TRAP_HANDLER: 0
; COMPUTE_PGM_RSRC2:TGID_X_EN: 1
; COMPUTE_PGM_RSRC2:TGID_Y_EN: 1
; COMPUTE_PGM_RSRC2:TGID_Z_EN: 0
; COMPUTE_PGM_RSRC2:TIDIG_COMP_CNT: 0
; COMPUTE_PGM_RSRC3_GFX90A:ACCUM_OFFSET: 2
; COMPUTE_PGM_RSRC3_GFX90A:TG_SPLIT: 0
	.section	.text._ZN2at6native12_GLOBAL__N_130CatArrayBatchedCopy_vectorizedINS1_10OpaqueTypeILj16EEEjLi3ELi64ELi64ELi16ELi1EEEvPcNS1_25CatArrInputTensorMetadataIT_T0_XT2_EXT3_EEENS1_16TensorSizeStrideIS8_Lj4EEEiS8_,"axG",@progbits,_ZN2at6native12_GLOBAL__N_130CatArrayBatchedCopy_vectorizedINS1_10OpaqueTypeILj16EEEjLi3ELi64ELi64ELi16ELi1EEEvPcNS1_25CatArrInputTensorMetadataIT_T0_XT2_EXT3_EEENS1_16TensorSizeStrideIS8_Lj4EEEiS8_,comdat
	.globl	_ZN2at6native12_GLOBAL__N_130CatArrayBatchedCopy_vectorizedINS1_10OpaqueTypeILj16EEEjLi3ELi64ELi64ELi16ELi1EEEvPcNS1_25CatArrInputTensorMetadataIT_T0_XT2_EXT3_EEENS1_16TensorSizeStrideIS8_Lj4EEEiS8_ ; -- Begin function _ZN2at6native12_GLOBAL__N_130CatArrayBatchedCopy_vectorizedINS1_10OpaqueTypeILj16EEEjLi3ELi64ELi64ELi16ELi1EEEvPcNS1_25CatArrInputTensorMetadataIT_T0_XT2_EXT3_EEENS1_16TensorSizeStrideIS8_Lj4EEEiS8_
	.p2align	8
	.type	_ZN2at6native12_GLOBAL__N_130CatArrayBatchedCopy_vectorizedINS1_10OpaqueTypeILj16EEEjLi3ELi64ELi64ELi16ELi1EEEvPcNS1_25CatArrInputTensorMetadataIT_T0_XT2_EXT3_EEENS1_16TensorSizeStrideIS8_Lj4EEEiS8_,@function
_ZN2at6native12_GLOBAL__N_130CatArrayBatchedCopy_vectorizedINS1_10OpaqueTypeILj16EEEjLi3ELi64ELi64ELi16ELi1EEEvPcNS1_25CatArrInputTensorMetadataIT_T0_XT2_EXT3_EEENS1_16TensorSizeStrideIS8_Lj4EEEiS8_: ; @_ZN2at6native12_GLOBAL__N_130CatArrayBatchedCopy_vectorizedINS1_10OpaqueTypeILj16EEEjLi3ELi64ELi64ELi16ELi1EEEvPcNS1_25CatArrInputTensorMetadataIT_T0_XT2_EXT3_EEENS1_16TensorSizeStrideIS8_Lj4EEEiS8_
; %bb.0:
	s_mov_b32 s8, s3
	s_load_dword s3, s[0:1], 0xd7c
	s_add_u32 s10, s0, 0xd70
	s_mov_b32 s9, 0
	s_addc_u32 s11, s1, 0
	s_lshl_b64 s[12:13], s[8:9], 2
	s_waitcnt lgkmcnt(0)
	s_and_b32 s15, s3, 0xffff
	s_add_u32 s4, s0, s12
	s_addc_u32 s5, s1, s13
	s_load_dword s14, s[4:5], 0x408
	s_mul_i32 s2, s2, s15
	v_add_u32_e32 v0, s2, v0
	s_add_u32 s2, s4, 8
	s_addc_u32 s3, s5, 0
	s_waitcnt lgkmcnt(0)
	v_cmp_gt_u32_e32 vcc, s14, v0
	s_and_saveexec_b64 s[4:5], vcc
	s_cbranch_execz .LBB190_3
; %bb.1:
	s_add_u32 s18, s2, s12
	s_addc_u32 s19, s3, s13
	s_load_dwordx2 s[16:17], s[0:1], 0xd68
	s_load_dwordx4 s[4:7], s[0:1], 0xd58
	s_sub_u32 s2, 0, s12
	s_subb_u32 s3, 0, s13
	s_add_u32 s12, s18, s2
	s_addc_u32 s13, s19, s3
	s_load_dwordx2 s[2:3], s[18:19], 0x0
	s_waitcnt lgkmcnt(0)
	s_load_dword s7, s[12:13], 0x200
	s_load_dword s24, s[12:13], 0x300
	s_load_dwordx2 s[20:21], s[0:1], 0x0
	s_load_dwordx2 s[22:23], s[0:1], 0xd4c
	s_load_dword s25, s[10:11], 0x0
	s_waitcnt lgkmcnt(0)
	s_mul_i32 s8, s7, s17
	s_lshl_b64 s[8:9], s[8:9], 4
	s_mul_i32 s24, s24, s17
	s_cmp_eq_u32 s16, 2
	s_cselect_b32 s7, s24, s23
	v_cvt_f32_u32_e32 v1, s7
	s_cmp_eq_u32 s16, 1
	s_cselect_b32 s11, s24, s22
	v_cvt_f32_u32_e32 v2, s11
	v_rcp_iflag_f32_e32 v1, v1
	s_add_u32 s8, s20, s8
	s_addc_u32 s9, s21, s9
	v_rcp_iflag_f32_e32 v2, v2
	v_mul_f32_e32 v1, 0x4f7ffffe, v1
	v_cvt_u32_f32_e32 v1, v1
	s_sub_i32 s12, 0, s7
	v_mul_f32_e32 v2, 0x4f7ffffe, v2
	v_cvt_u32_f32_e32 v4, v2
	v_mul_lo_u32 v3, s12, v1
	v_mul_hi_u32 v3, v1, v3
	s_sub_i32 s13, 0, s11
	v_add_u32_e32 v2, v1, v3
	v_mul_lo_u32 v3, s13, v4
	v_mul_hi_u32 v3, v4, v3
	s_mov_b64 s[0:1], 0
	s_mul_i32 s10, s25, s15
	v_mov_b32_e32 v1, 0
	v_add_u32_e32 v3, v4, v3
.LBB190_2:                              ; =>This Inner Loop Header: Depth=1
	v_lshl_add_u64 v[4:5], v[0:1], 4, s[2:3]
	global_load_dwordx4 v[4:7], v[4:5], off
	v_mul_hi_u32 v8, v2, v0
	v_mul_lo_u32 v10, s7, v8
	v_not_b32_e32 v11, v8
	v_sub_u32_e32 v13, v0, v10
	v_add_u32_e32 v12, 1, v8
	v_mad_u64_u32 v[10:11], s[16:17], s7, v11, v[0:1]
	v_cmp_le_u32_e32 vcc, s7, v13
	v_mov_b32_e32 v9, v1
	s_nop 0
	v_cndmask_b32_e32 v8, v8, v12, vcc
	v_cndmask_b32_e32 v10, v13, v10, vcc
	v_add_u32_e32 v11, 1, v8
	v_cmp_le_u32_e32 vcc, s7, v10
	s_nop 1
	v_cndmask_b32_e32 v8, v8, v11, vcc
	v_mad_u64_u32 v[10:11], s[16:17], s12, v8, v[0:1]
	v_mul_hi_u32 v11, v8, v3
	v_add_u32_e32 v0, s10, v0
	v_mul_lo_u32 v12, v11, s11
	v_cmp_le_u32_e32 vcc, s14, v0
	v_sub_u32_e32 v12, v8, v12
	v_add_u32_e32 v13, 1, v11
	s_or_b64 s[0:1], vcc, s[0:1]
	v_cmp_le_u32_e32 vcc, s11, v12
	v_mul_lo_u32 v10, v10, s6
	s_nop 0
	v_cndmask_b32_e32 v11, v11, v13, vcc
	v_subrev_u32_e32 v13, s11, v12
	v_cndmask_b32_e32 v12, v12, v13, vcc
	v_add_u32_e32 v13, 1, v11
	v_cmp_le_u32_e32 vcc, s11, v12
	s_nop 1
	v_cndmask_b32_e32 v11, v11, v13, vcc
	v_mul_lo_u32 v12, v11, s11
	v_sub_u32_e32 v8, v8, v12
	v_mul_lo_u32 v11, v11, s4
	v_mul_lo_u32 v8, v8, s5
	v_add3_u32 v8, v10, v11, v8
	v_lshl_add_u64 v[8:9], v[8:9], 4, s[8:9]
	s_waitcnt vmcnt(0)
	global_store_dwordx4 v[8:9], v[4:7], off
	s_andn2_b64 exec, exec, s[0:1]
	s_cbranch_execnz .LBB190_2
.LBB190_3:
	s_endpgm
	.section	.rodata,"a",@progbits
	.p2align	6, 0x0
	.amdhsa_kernel _ZN2at6native12_GLOBAL__N_130CatArrayBatchedCopy_vectorizedINS1_10OpaqueTypeILj16EEEjLi3ELi64ELi64ELi16ELi1EEEvPcNS1_25CatArrInputTensorMetadataIT_T0_XT2_EXT3_EEENS1_16TensorSizeStrideIS8_Lj4EEEiS8_
		.amdhsa_group_segment_fixed_size 0
		.amdhsa_private_segment_fixed_size 0
		.amdhsa_kernarg_size 3696
		.amdhsa_user_sgpr_count 2
		.amdhsa_user_sgpr_dispatch_ptr 0
		.amdhsa_user_sgpr_queue_ptr 0
		.amdhsa_user_sgpr_kernarg_segment_ptr 1
		.amdhsa_user_sgpr_dispatch_id 0
		.amdhsa_user_sgpr_kernarg_preload_length 0
		.amdhsa_user_sgpr_kernarg_preload_offset 0
		.amdhsa_user_sgpr_private_segment_size 0
		.amdhsa_uses_dynamic_stack 0
		.amdhsa_enable_private_segment 0
		.amdhsa_system_sgpr_workgroup_id_x 1
		.amdhsa_system_sgpr_workgroup_id_y 1
		.amdhsa_system_sgpr_workgroup_id_z 0
		.amdhsa_system_sgpr_workgroup_info 0
		.amdhsa_system_vgpr_workitem_id 0
		.amdhsa_next_free_vgpr 14
		.amdhsa_next_free_sgpr 26
		.amdhsa_accum_offset 16
		.amdhsa_reserve_vcc 1
		.amdhsa_float_round_mode_32 0
		.amdhsa_float_round_mode_16_64 0
		.amdhsa_float_denorm_mode_32 3
		.amdhsa_float_denorm_mode_16_64 3
		.amdhsa_dx10_clamp 1
		.amdhsa_ieee_mode 1
		.amdhsa_fp16_overflow 0
		.amdhsa_tg_split 0
		.amdhsa_exception_fp_ieee_invalid_op 0
		.amdhsa_exception_fp_denorm_src 0
		.amdhsa_exception_fp_ieee_div_zero 0
		.amdhsa_exception_fp_ieee_overflow 0
		.amdhsa_exception_fp_ieee_underflow 0
		.amdhsa_exception_fp_ieee_inexact 0
		.amdhsa_exception_int_div_zero 0
	.end_amdhsa_kernel
	.section	.text._ZN2at6native12_GLOBAL__N_130CatArrayBatchedCopy_vectorizedINS1_10OpaqueTypeILj16EEEjLi3ELi64ELi64ELi16ELi1EEEvPcNS1_25CatArrInputTensorMetadataIT_T0_XT2_EXT3_EEENS1_16TensorSizeStrideIS8_Lj4EEEiS8_,"axG",@progbits,_ZN2at6native12_GLOBAL__N_130CatArrayBatchedCopy_vectorizedINS1_10OpaqueTypeILj16EEEjLi3ELi64ELi64ELi16ELi1EEEvPcNS1_25CatArrInputTensorMetadataIT_T0_XT2_EXT3_EEENS1_16TensorSizeStrideIS8_Lj4EEEiS8_,comdat
.Lfunc_end190:
	.size	_ZN2at6native12_GLOBAL__N_130CatArrayBatchedCopy_vectorizedINS1_10OpaqueTypeILj16EEEjLi3ELi64ELi64ELi16ELi1EEEvPcNS1_25CatArrInputTensorMetadataIT_T0_XT2_EXT3_EEENS1_16TensorSizeStrideIS8_Lj4EEEiS8_, .Lfunc_end190-_ZN2at6native12_GLOBAL__N_130CatArrayBatchedCopy_vectorizedINS1_10OpaqueTypeILj16EEEjLi3ELi64ELi64ELi16ELi1EEEvPcNS1_25CatArrInputTensorMetadataIT_T0_XT2_EXT3_EEENS1_16TensorSizeStrideIS8_Lj4EEEiS8_
                                        ; -- End function
	.set _ZN2at6native12_GLOBAL__N_130CatArrayBatchedCopy_vectorizedINS1_10OpaqueTypeILj16EEEjLi3ELi64ELi64ELi16ELi1EEEvPcNS1_25CatArrInputTensorMetadataIT_T0_XT2_EXT3_EEENS1_16TensorSizeStrideIS8_Lj4EEEiS8_.num_vgpr, 14
	.set _ZN2at6native12_GLOBAL__N_130CatArrayBatchedCopy_vectorizedINS1_10OpaqueTypeILj16EEEjLi3ELi64ELi64ELi16ELi1EEEvPcNS1_25CatArrInputTensorMetadataIT_T0_XT2_EXT3_EEENS1_16TensorSizeStrideIS8_Lj4EEEiS8_.num_agpr, 0
	.set _ZN2at6native12_GLOBAL__N_130CatArrayBatchedCopy_vectorizedINS1_10OpaqueTypeILj16EEEjLi3ELi64ELi64ELi16ELi1EEEvPcNS1_25CatArrInputTensorMetadataIT_T0_XT2_EXT3_EEENS1_16TensorSizeStrideIS8_Lj4EEEiS8_.numbered_sgpr, 26
	.set _ZN2at6native12_GLOBAL__N_130CatArrayBatchedCopy_vectorizedINS1_10OpaqueTypeILj16EEEjLi3ELi64ELi64ELi16ELi1EEEvPcNS1_25CatArrInputTensorMetadataIT_T0_XT2_EXT3_EEENS1_16TensorSizeStrideIS8_Lj4EEEiS8_.num_named_barrier, 0
	.set _ZN2at6native12_GLOBAL__N_130CatArrayBatchedCopy_vectorizedINS1_10OpaqueTypeILj16EEEjLi3ELi64ELi64ELi16ELi1EEEvPcNS1_25CatArrInputTensorMetadataIT_T0_XT2_EXT3_EEENS1_16TensorSizeStrideIS8_Lj4EEEiS8_.private_seg_size, 0
	.set _ZN2at6native12_GLOBAL__N_130CatArrayBatchedCopy_vectorizedINS1_10OpaqueTypeILj16EEEjLi3ELi64ELi64ELi16ELi1EEEvPcNS1_25CatArrInputTensorMetadataIT_T0_XT2_EXT3_EEENS1_16TensorSizeStrideIS8_Lj4EEEiS8_.uses_vcc, 1
	.set _ZN2at6native12_GLOBAL__N_130CatArrayBatchedCopy_vectorizedINS1_10OpaqueTypeILj16EEEjLi3ELi64ELi64ELi16ELi1EEEvPcNS1_25CatArrInputTensorMetadataIT_T0_XT2_EXT3_EEENS1_16TensorSizeStrideIS8_Lj4EEEiS8_.uses_flat_scratch, 0
	.set _ZN2at6native12_GLOBAL__N_130CatArrayBatchedCopy_vectorizedINS1_10OpaqueTypeILj16EEEjLi3ELi64ELi64ELi16ELi1EEEvPcNS1_25CatArrInputTensorMetadataIT_T0_XT2_EXT3_EEENS1_16TensorSizeStrideIS8_Lj4EEEiS8_.has_dyn_sized_stack, 0
	.set _ZN2at6native12_GLOBAL__N_130CatArrayBatchedCopy_vectorizedINS1_10OpaqueTypeILj16EEEjLi3ELi64ELi64ELi16ELi1EEEvPcNS1_25CatArrInputTensorMetadataIT_T0_XT2_EXT3_EEENS1_16TensorSizeStrideIS8_Lj4EEEiS8_.has_recursion, 0
	.set _ZN2at6native12_GLOBAL__N_130CatArrayBatchedCopy_vectorizedINS1_10OpaqueTypeILj16EEEjLi3ELi64ELi64ELi16ELi1EEEvPcNS1_25CatArrInputTensorMetadataIT_T0_XT2_EXT3_EEENS1_16TensorSizeStrideIS8_Lj4EEEiS8_.has_indirect_call, 0
	.section	.AMDGPU.csdata,"",@progbits
; Kernel info:
; codeLenInByte = 568
; TotalNumSgprs: 32
; NumVgprs: 14
; NumAgprs: 0
; TotalNumVgprs: 14
; ScratchSize: 0
; MemoryBound: 0
; FloatMode: 240
; IeeeMode: 1
; LDSByteSize: 0 bytes/workgroup (compile time only)
; SGPRBlocks: 3
; VGPRBlocks: 1
; NumSGPRsForWavesPerEU: 32
; NumVGPRsForWavesPerEU: 14
; AccumOffset: 16
; Occupancy: 8
; WaveLimiterHint : 1
; COMPUTE_PGM_RSRC2:SCRATCH_EN: 0
; COMPUTE_PGM_RSRC2:USER_SGPR: 2
; COMPUTE_PGM_RSRC2:TRAP_HANDLER: 0
; COMPUTE_PGM_RSRC2:TGID_X_EN: 1
; COMPUTE_PGM_RSRC2:TGID_Y_EN: 1
; COMPUTE_PGM_RSRC2:TGID_Z_EN: 0
; COMPUTE_PGM_RSRC2:TIDIG_COMP_CNT: 0
; COMPUTE_PGM_RSRC3_GFX90A:ACCUM_OFFSET: 3
; COMPUTE_PGM_RSRC3_GFX90A:TG_SPLIT: 0
	.section	.text._ZN2at6native12_GLOBAL__N_135CatArrayBatchedCopy_alignedK_contigINS1_10OpaqueTypeILj16EEEjLi3ELi64ELi64ELi16EEEvPT_NS1_25CatArrInputTensorMetadataIS5_T0_XT2_EXT3_EEENS1_16TensorSizeStrideIS8_Lj4EEEiS8_,"axG",@progbits,_ZN2at6native12_GLOBAL__N_135CatArrayBatchedCopy_alignedK_contigINS1_10OpaqueTypeILj16EEEjLi3ELi64ELi64ELi16EEEvPT_NS1_25CatArrInputTensorMetadataIS5_T0_XT2_EXT3_EEENS1_16TensorSizeStrideIS8_Lj4EEEiS8_,comdat
	.globl	_ZN2at6native12_GLOBAL__N_135CatArrayBatchedCopy_alignedK_contigINS1_10OpaqueTypeILj16EEEjLi3ELi64ELi64ELi16EEEvPT_NS1_25CatArrInputTensorMetadataIS5_T0_XT2_EXT3_EEENS1_16TensorSizeStrideIS8_Lj4EEEiS8_ ; -- Begin function _ZN2at6native12_GLOBAL__N_135CatArrayBatchedCopy_alignedK_contigINS1_10OpaqueTypeILj16EEEjLi3ELi64ELi64ELi16EEEvPT_NS1_25CatArrInputTensorMetadataIS5_T0_XT2_EXT3_EEENS1_16TensorSizeStrideIS8_Lj4EEEiS8_
	.p2align	8
	.type	_ZN2at6native12_GLOBAL__N_135CatArrayBatchedCopy_alignedK_contigINS1_10OpaqueTypeILj16EEEjLi3ELi64ELi64ELi16EEEvPT_NS1_25CatArrInputTensorMetadataIS5_T0_XT2_EXT3_EEENS1_16TensorSizeStrideIS8_Lj4EEEiS8_,@function
_ZN2at6native12_GLOBAL__N_135CatArrayBatchedCopy_alignedK_contigINS1_10OpaqueTypeILj16EEEjLi3ELi64ELi64ELi16EEEvPT_NS1_25CatArrInputTensorMetadataIS5_T0_XT2_EXT3_EEENS1_16TensorSizeStrideIS8_Lj4EEEiS8_: ; @_ZN2at6native12_GLOBAL__N_135CatArrayBatchedCopy_alignedK_contigINS1_10OpaqueTypeILj16EEEjLi3ELi64ELi64ELi16EEEvPT_NS1_25CatArrInputTensorMetadataIS5_T0_XT2_EXT3_EEENS1_16TensorSizeStrideIS8_Lj4EEEiS8_
; %bb.0:
	s_mov_b32 s4, s3
	s_load_dword s3, s[0:1], 0xd7c
	s_add_u32 s12, s0, 0xd70
	s_mov_b32 s5, 0
	s_addc_u32 s13, s1, 0
	s_lshl_b64 s[14:15], s[4:5], 2
	s_waitcnt lgkmcnt(0)
	s_and_b32 s18, s3, 0xffff
	s_add_u32 s4, s0, s14
	s_addc_u32 s5, s1, s15
	s_load_dword s16, s[4:5], 0x408
	s_mul_i32 s2, s2, s18
	v_add_u32_e32 v0, s2, v0
	s_add_u32 s17, s4, 8
	s_addc_u32 s19, s5, 0
	s_waitcnt lgkmcnt(0)
	v_cmp_gt_u32_e32 vcc, s16, v0
	s_and_saveexec_b64 s[2:3], vcc
	s_cbranch_execz .LBB191_6
; %bb.1:
	s_add_u32 s20, s17, s14
	s_addc_u32 s21, s19, s15
	s_load_dwordx2 s[8:9], s[0:1], 0xd68
	s_load_dwordx4 s[4:7], s[0:1], 0xd58
	s_load_dwordx2 s[2:3], s[0:1], 0x0
	s_load_dwordx2 s[10:11], s[0:1], 0xd4c
	s_sub_u32 s0, 0, s14
	s_subb_u32 s1, 0, s15
	s_add_u32 s14, s20, s0
	s_addc_u32 s15, s21, s1
	s_load_dwordx2 s[0:1], s[20:21], 0x0
	s_waitcnt lgkmcnt(0)
	s_load_dword s7, s[14:15], 0x300
	s_load_dword s22, s[14:15], 0x200
	s_cmp_eq_u32 s8, 2
	s_load_dword s12, s[12:13], 0x0
	s_mov_b32 s14, s5
	s_waitcnt lgkmcnt(0)
	s_cselect_b32 s17, s7, s11
	s_cmp_eq_u32 s8, 1
	s_cselect_b32 s19, s7, s10
	v_cvt_f32_u32_e32 v1, s17
	v_cvt_f32_u32_e32 v2, s19
	s_sub_i32 s20, 0, s17
	s_sub_i32 s21, 0, s19
	v_rcp_iflag_f32_e32 v1, v1
	v_rcp_iflag_f32_e32 v2, v2
	s_mov_b32 s15, s6
	s_mul_i32 s18, s12, s18
	v_mul_f32_e32 v1, 0x4f7ffffe, v1
	v_mul_f32_e32 v2, 0x4f7ffffe, v2
	v_cvt_u32_f32_e32 v1, v1
	v_cvt_u32_f32_e32 v2, v2
	s_mov_b64 s[12:13], 0
	s_mul_i32 s9, s22, s9
	v_mul_lo_u32 v3, s20, v1
	v_mul_lo_u32 v4, s21, v2
	v_mul_hi_u32 v3, v1, v3
	v_mul_hi_u32 v4, v2, v4
	v_add_u32_e32 v1, v1, v3
	v_mov_b32_e32 v3, 0
	v_add_u32_e32 v5, v2, v4
	v_add_u32_e32 v4, 1, v0
.LBB191_2:                              ; =>This Inner Loop Header: Depth=1
	v_add_u32_e32 v2, -1, v4
	v_lshl_add_u64 v[6:7], v[2:3], 4, s[0:1]
	global_load_dwordx4 v[6:9], v[6:7], off
	v_mul_hi_u32 v10, v1, v0
	v_add_u32_e32 v4, s18, v4
	v_mul_lo_u32 v11, s17, v10
	v_not_b32_e32 v10, v10
	v_mul_hi_u32 v12, v2, v1
	v_cmp_lt_u32_e32 vcc, s16, v4
	v_sub_u32_e32 v13, v0, v11
	v_mad_u64_u32 v[10:11], s[22:23], s17, v10, v[0:1]
	v_add_u32_e32 v11, 1, v12
	s_or_b64 s[12:13], vcc, s[12:13]
	v_cmp_le_u32_e32 vcc, s17, v13
	v_add_u32_e32 v0, s18, v0
	s_nop 0
	v_cndmask_b32_e32 v11, v12, v11, vcc
	v_cndmask_b32_e32 v10, v13, v10, vcc
	v_add_u32_e32 v12, 1, v11
	v_cmp_le_u32_e32 vcc, s17, v10
	s_nop 1
	v_cndmask_b32_e32 v12, v11, v12, vcc
	v_mad_u64_u32 v[10:11], s[22:23], s20, v12, v[2:3]
	v_mul_hi_u32 v2, v12, v5
	v_mul_lo_u32 v11, v2, s19
	v_sub_u32_e32 v11, v12, v11
	v_add_u32_e32 v13, 1, v2
	v_cmp_le_u32_e32 vcc, s19, v11
	s_nop 1
	v_cndmask_b32_e32 v2, v2, v13, vcc
	v_subrev_u32_e32 v13, s19, v11
	v_cndmask_b32_e32 v11, v11, v13, vcc
	v_add_u32_e32 v13, 1, v2
	v_cmp_le_u32_e32 vcc, s19, v11
	s_nop 1
	v_cndmask_b32_e32 v2, v2, v13, vcc
	v_mul_lo_u32 v11, v2, s19
	v_mul_lo_u32 v2, v2, s4
	v_sub_u32_e32 v12, v12, v11
	v_mad_u64_u32 v[10:11], s[22:23], v10, s6, v[2:3]
	v_mul_lo_u32 v2, v12, s5
	v_add3_u32 v2, v10, v2, s9
	v_lshl_add_u64 v[10:11], v[2:3], 4, s[2:3]
	s_waitcnt vmcnt(0)
	global_store_dwordx4 v[10:11], v[6:9], off
	s_andn2_b64 exec, exec, s[12:13]
	s_cbranch_execnz .LBB191_2
; %bb.3:
	s_or_b64 exec, exec, s[12:13]
	v_add_u32_e32 v0, -1, v4
	v_cmp_gt_u32_e32 vcc, s16, v0
	s_and_b64 exec, exec, vcc
	s_cbranch_execz .LBB191_6
; %bb.4:
	s_cmp_eq_u32 s8, 2
	s_cselect_b32 s5, s7, s11
	v_cvt_f32_u32_e32 v1, s5
	s_cmp_eq_u32 s8, 1
	s_cselect_b32 s8, s7, s10
	v_cvt_f32_u32_e32 v2, s8
	v_rcp_iflag_f32_e32 v1, v1
	s_sub_i32 s6, 0, s5
	v_mov_b32_e32 v3, 0
	v_rcp_iflag_f32_e32 v2, v2
	v_mul_f32_e32 v1, 0x4f7ffffe, v1
	v_cvt_u32_f32_e32 v1, v1
	v_mov_b32_e32 v5, v3
	v_mul_f32_e32 v2, 0x4f7ffffe, v2
	v_cvt_u32_f32_e32 v2, v2
	v_mul_lo_u32 v4, s6, v1
	v_mul_hi_u32 v4, v1, v4
	s_sub_i32 s6, 0, s8
	v_add_u32_e32 v4, v1, v4
	v_mul_lo_u32 v1, s6, v2
	v_mul_hi_u32 v1, v2, v1
	v_add_u32_e32 v10, v2, v1
	v_mov_b32_e32 v1, v3
	v_mad_u64_u32 v[6:7], s[6:7], v4, v0, 0
	v_lshl_add_u64 v[8:9], v[0:1], 4, s[0:1]
	s_mov_b64 s[6:7], 0
.LBB191_5:                              ; =>This Inner Loop Header: Depth=1
	global_load_dwordx4 v[12:15], v[8:9], off
	v_not_b32_e32 v1, v7
	v_mul_lo_u32 v2, s5, v7
	v_mad_u64_u32 v[16:17], s[0:1], s5, v1, v[0:1]
	v_sub_u32_e32 v1, v0, v2
	v_add_u32_e32 v11, 1, v7
	v_cmp_le_u32_e32 vcc, s5, v1
	v_lshl_add_u64 v[8:9], v[8:9], 0, 16
	s_nop 0
	v_cndmask_b32_e32 v2, v7, v11, vcc
	v_cndmask_b32_e32 v1, v1, v16, vcc
	v_add_u32_e32 v11, 1, v2
	v_cmp_le_u32_e32 vcc, s5, v1
	v_lshl_add_u64 v[6:7], v[6:7], 0, v[4:5]
	s_nop 0
	v_cndmask_b32_e32 v1, v2, v11, vcc
	v_mul_hi_u32 v2, v1, v10
	v_mul_lo_u32 v16, v2, s8
	v_sub_u32_e32 v16, v1, v16
	v_mul_lo_u32 v11, v1, s5
	v_add_u32_e32 v17, 1, v2
	v_cmp_le_u32_e64 s[0:1], s8, v16
	v_sub_u32_e32 v11, v0, v11
	v_add_u32_e32 v0, 1, v0
	v_cndmask_b32_e64 v2, v2, v17, s[0:1]
	v_subrev_u32_e32 v17, s8, v16
	v_cmp_le_u32_e32 vcc, s16, v0
	v_cndmask_b32_e64 v16, v16, v17, s[0:1]
	s_or_b64 s[6:7], vcc, s[6:7]
	v_add_u32_e32 v17, 1, v2
	v_cmp_le_u32_e32 vcc, s8, v16
	v_mul_lo_u32 v11, v11, s15
	s_nop 0
	v_cndmask_b32_e32 v2, v2, v17, vcc
	v_mul_lo_u32 v16, v2, s8
	v_mul_lo_u32 v2, v2, s4
	v_sub_u32_e32 v1, v1, v16
	v_add_u32_e32 v2, s9, v2
	v_mul_lo_u32 v1, v1, s14
	v_add3_u32 v2, v2, v11, v1
	v_lshl_add_u64 v[16:17], v[2:3], 4, s[2:3]
	s_waitcnt vmcnt(0)
	global_store_dwordx4 v[16:17], v[12:15], off
	s_andn2_b64 exec, exec, s[6:7]
	s_cbranch_execnz .LBB191_5
.LBB191_6:
	s_endpgm
	.section	.rodata,"a",@progbits
	.p2align	6, 0x0
	.amdhsa_kernel _ZN2at6native12_GLOBAL__N_135CatArrayBatchedCopy_alignedK_contigINS1_10OpaqueTypeILj16EEEjLi3ELi64ELi64ELi16EEEvPT_NS1_25CatArrInputTensorMetadataIS5_T0_XT2_EXT3_EEENS1_16TensorSizeStrideIS8_Lj4EEEiS8_
		.amdhsa_group_segment_fixed_size 0
		.amdhsa_private_segment_fixed_size 0
		.amdhsa_kernarg_size 3696
		.amdhsa_user_sgpr_count 2
		.amdhsa_user_sgpr_dispatch_ptr 0
		.amdhsa_user_sgpr_queue_ptr 0
		.amdhsa_user_sgpr_kernarg_segment_ptr 1
		.amdhsa_user_sgpr_dispatch_id 0
		.amdhsa_user_sgpr_kernarg_preload_length 0
		.amdhsa_user_sgpr_kernarg_preload_offset 0
		.amdhsa_user_sgpr_private_segment_size 0
		.amdhsa_uses_dynamic_stack 0
		.amdhsa_enable_private_segment 0
		.amdhsa_system_sgpr_workgroup_id_x 1
		.amdhsa_system_sgpr_workgroup_id_y 1
		.amdhsa_system_sgpr_workgroup_id_z 0
		.amdhsa_system_sgpr_workgroup_info 0
		.amdhsa_system_vgpr_workitem_id 0
		.amdhsa_next_free_vgpr 18
		.amdhsa_next_free_sgpr 24
		.amdhsa_accum_offset 20
		.amdhsa_reserve_vcc 1
		.amdhsa_float_round_mode_32 0
		.amdhsa_float_round_mode_16_64 0
		.amdhsa_float_denorm_mode_32 3
		.amdhsa_float_denorm_mode_16_64 3
		.amdhsa_dx10_clamp 1
		.amdhsa_ieee_mode 1
		.amdhsa_fp16_overflow 0
		.amdhsa_tg_split 0
		.amdhsa_exception_fp_ieee_invalid_op 0
		.amdhsa_exception_fp_denorm_src 0
		.amdhsa_exception_fp_ieee_div_zero 0
		.amdhsa_exception_fp_ieee_overflow 0
		.amdhsa_exception_fp_ieee_underflow 0
		.amdhsa_exception_fp_ieee_inexact 0
		.amdhsa_exception_int_div_zero 0
	.end_amdhsa_kernel
	.section	.text._ZN2at6native12_GLOBAL__N_135CatArrayBatchedCopy_alignedK_contigINS1_10OpaqueTypeILj16EEEjLi3ELi64ELi64ELi16EEEvPT_NS1_25CatArrInputTensorMetadataIS5_T0_XT2_EXT3_EEENS1_16TensorSizeStrideIS8_Lj4EEEiS8_,"axG",@progbits,_ZN2at6native12_GLOBAL__N_135CatArrayBatchedCopy_alignedK_contigINS1_10OpaqueTypeILj16EEEjLi3ELi64ELi64ELi16EEEvPT_NS1_25CatArrInputTensorMetadataIS5_T0_XT2_EXT3_EEENS1_16TensorSizeStrideIS8_Lj4EEEiS8_,comdat
.Lfunc_end191:
	.size	_ZN2at6native12_GLOBAL__N_135CatArrayBatchedCopy_alignedK_contigINS1_10OpaqueTypeILj16EEEjLi3ELi64ELi64ELi16EEEvPT_NS1_25CatArrInputTensorMetadataIS5_T0_XT2_EXT3_EEENS1_16TensorSizeStrideIS8_Lj4EEEiS8_, .Lfunc_end191-_ZN2at6native12_GLOBAL__N_135CatArrayBatchedCopy_alignedK_contigINS1_10OpaqueTypeILj16EEEjLi3ELi64ELi64ELi16EEEvPT_NS1_25CatArrInputTensorMetadataIS5_T0_XT2_EXT3_EEENS1_16TensorSizeStrideIS8_Lj4EEEiS8_
                                        ; -- End function
	.set _ZN2at6native12_GLOBAL__N_135CatArrayBatchedCopy_alignedK_contigINS1_10OpaqueTypeILj16EEEjLi3ELi64ELi64ELi16EEEvPT_NS1_25CatArrInputTensorMetadataIS5_T0_XT2_EXT3_EEENS1_16TensorSizeStrideIS8_Lj4EEEiS8_.num_vgpr, 18
	.set _ZN2at6native12_GLOBAL__N_135CatArrayBatchedCopy_alignedK_contigINS1_10OpaqueTypeILj16EEEjLi3ELi64ELi64ELi16EEEvPT_NS1_25CatArrInputTensorMetadataIS5_T0_XT2_EXT3_EEENS1_16TensorSizeStrideIS8_Lj4EEEiS8_.num_agpr, 0
	.set _ZN2at6native12_GLOBAL__N_135CatArrayBatchedCopy_alignedK_contigINS1_10OpaqueTypeILj16EEEjLi3ELi64ELi64ELi16EEEvPT_NS1_25CatArrInputTensorMetadataIS5_T0_XT2_EXT3_EEENS1_16TensorSizeStrideIS8_Lj4EEEiS8_.numbered_sgpr, 24
	.set _ZN2at6native12_GLOBAL__N_135CatArrayBatchedCopy_alignedK_contigINS1_10OpaqueTypeILj16EEEjLi3ELi64ELi64ELi16EEEvPT_NS1_25CatArrInputTensorMetadataIS5_T0_XT2_EXT3_EEENS1_16TensorSizeStrideIS8_Lj4EEEiS8_.num_named_barrier, 0
	.set _ZN2at6native12_GLOBAL__N_135CatArrayBatchedCopy_alignedK_contigINS1_10OpaqueTypeILj16EEEjLi3ELi64ELi64ELi16EEEvPT_NS1_25CatArrInputTensorMetadataIS5_T0_XT2_EXT3_EEENS1_16TensorSizeStrideIS8_Lj4EEEiS8_.private_seg_size, 0
	.set _ZN2at6native12_GLOBAL__N_135CatArrayBatchedCopy_alignedK_contigINS1_10OpaqueTypeILj16EEEjLi3ELi64ELi64ELi16EEEvPT_NS1_25CatArrInputTensorMetadataIS5_T0_XT2_EXT3_EEENS1_16TensorSizeStrideIS8_Lj4EEEiS8_.uses_vcc, 1
	.set _ZN2at6native12_GLOBAL__N_135CatArrayBatchedCopy_alignedK_contigINS1_10OpaqueTypeILj16EEEjLi3ELi64ELi64ELi16EEEvPT_NS1_25CatArrInputTensorMetadataIS5_T0_XT2_EXT3_EEENS1_16TensorSizeStrideIS8_Lj4EEEiS8_.uses_flat_scratch, 0
	.set _ZN2at6native12_GLOBAL__N_135CatArrayBatchedCopy_alignedK_contigINS1_10OpaqueTypeILj16EEEjLi3ELi64ELi64ELi16EEEvPT_NS1_25CatArrInputTensorMetadataIS5_T0_XT2_EXT3_EEENS1_16TensorSizeStrideIS8_Lj4EEEiS8_.has_dyn_sized_stack, 0
	.set _ZN2at6native12_GLOBAL__N_135CatArrayBatchedCopy_alignedK_contigINS1_10OpaqueTypeILj16EEEjLi3ELi64ELi64ELi16EEEvPT_NS1_25CatArrInputTensorMetadataIS5_T0_XT2_EXT3_EEENS1_16TensorSizeStrideIS8_Lj4EEEiS8_.has_recursion, 0
	.set _ZN2at6native12_GLOBAL__N_135CatArrayBatchedCopy_alignedK_contigINS1_10OpaqueTypeILj16EEEjLi3ELi64ELi64ELi16EEEvPT_NS1_25CatArrInputTensorMetadataIS5_T0_XT2_EXT3_EEENS1_16TensorSizeStrideIS8_Lj4EEEiS8_.has_indirect_call, 0
	.section	.AMDGPU.csdata,"",@progbits
; Kernel info:
; codeLenInByte = 984
; TotalNumSgprs: 30
; NumVgprs: 18
; NumAgprs: 0
; TotalNumVgprs: 18
; ScratchSize: 0
; MemoryBound: 0
; FloatMode: 240
; IeeeMode: 1
; LDSByteSize: 0 bytes/workgroup (compile time only)
; SGPRBlocks: 3
; VGPRBlocks: 2
; NumSGPRsForWavesPerEU: 30
; NumVGPRsForWavesPerEU: 18
; AccumOffset: 20
; Occupancy: 8
; WaveLimiterHint : 1
; COMPUTE_PGM_RSRC2:SCRATCH_EN: 0
; COMPUTE_PGM_RSRC2:USER_SGPR: 2
; COMPUTE_PGM_RSRC2:TRAP_HANDLER: 0
; COMPUTE_PGM_RSRC2:TGID_X_EN: 1
; COMPUTE_PGM_RSRC2:TGID_Y_EN: 1
; COMPUTE_PGM_RSRC2:TGID_Z_EN: 0
; COMPUTE_PGM_RSRC2:TIDIG_COMP_CNT: 0
; COMPUTE_PGM_RSRC3_GFX90A:ACCUM_OFFSET: 4
; COMPUTE_PGM_RSRC3_GFX90A:TG_SPLIT: 0
	.section	.text._ZN2at6native12_GLOBAL__N_135CatArrayBatchedCopy_alignedK_contigINS1_10OpaqueTypeILj16EEEjLi3ELi64ELi64ELi8EEEvPT_NS1_25CatArrInputTensorMetadataIS5_T0_XT2_EXT3_EEENS1_16TensorSizeStrideIS8_Lj4EEEiS8_,"axG",@progbits,_ZN2at6native12_GLOBAL__N_135CatArrayBatchedCopy_alignedK_contigINS1_10OpaqueTypeILj16EEEjLi3ELi64ELi64ELi8EEEvPT_NS1_25CatArrInputTensorMetadataIS5_T0_XT2_EXT3_EEENS1_16TensorSizeStrideIS8_Lj4EEEiS8_,comdat
	.globl	_ZN2at6native12_GLOBAL__N_135CatArrayBatchedCopy_alignedK_contigINS1_10OpaqueTypeILj16EEEjLi3ELi64ELi64ELi8EEEvPT_NS1_25CatArrInputTensorMetadataIS5_T0_XT2_EXT3_EEENS1_16TensorSizeStrideIS8_Lj4EEEiS8_ ; -- Begin function _ZN2at6native12_GLOBAL__N_135CatArrayBatchedCopy_alignedK_contigINS1_10OpaqueTypeILj16EEEjLi3ELi64ELi64ELi8EEEvPT_NS1_25CatArrInputTensorMetadataIS5_T0_XT2_EXT3_EEENS1_16TensorSizeStrideIS8_Lj4EEEiS8_
	.p2align	8
	.type	_ZN2at6native12_GLOBAL__N_135CatArrayBatchedCopy_alignedK_contigINS1_10OpaqueTypeILj16EEEjLi3ELi64ELi64ELi8EEEvPT_NS1_25CatArrInputTensorMetadataIS5_T0_XT2_EXT3_EEENS1_16TensorSizeStrideIS8_Lj4EEEiS8_,@function
_ZN2at6native12_GLOBAL__N_135CatArrayBatchedCopy_alignedK_contigINS1_10OpaqueTypeILj16EEEjLi3ELi64ELi64ELi8EEEvPT_NS1_25CatArrInputTensorMetadataIS5_T0_XT2_EXT3_EEENS1_16TensorSizeStrideIS8_Lj4EEEiS8_: ; @_ZN2at6native12_GLOBAL__N_135CatArrayBatchedCopy_alignedK_contigINS1_10OpaqueTypeILj16EEEjLi3ELi64ELi64ELi8EEEvPT_NS1_25CatArrInputTensorMetadataIS5_T0_XT2_EXT3_EEENS1_16TensorSizeStrideIS8_Lj4EEEiS8_
; %bb.0:
	s_mov_b32 s4, s3
	s_load_dword s3, s[0:1], 0xd7c
	s_add_u32 s12, s0, 0xd70
	s_mov_b32 s5, 0
	s_addc_u32 s13, s1, 0
	s_lshl_b64 s[14:15], s[4:5], 2
	s_waitcnt lgkmcnt(0)
	s_and_b32 s18, s3, 0xffff
	s_add_u32 s4, s0, s14
	s_addc_u32 s5, s1, s15
	s_load_dword s16, s[4:5], 0x408
	s_mul_i32 s2, s2, s18
	v_add_u32_e32 v0, s2, v0
	s_add_u32 s17, s4, 8
	s_addc_u32 s19, s5, 0
	s_waitcnt lgkmcnt(0)
	v_cmp_gt_u32_e32 vcc, s16, v0
	s_and_saveexec_b64 s[2:3], vcc
	s_cbranch_execz .LBB192_6
; %bb.1:
	s_add_u32 s20, s17, s14
	s_addc_u32 s21, s19, s15
	s_load_dwordx2 s[8:9], s[0:1], 0xd68
	s_load_dwordx4 s[4:7], s[0:1], 0xd58
	s_load_dwordx2 s[2:3], s[0:1], 0x0
	s_load_dwordx2 s[10:11], s[0:1], 0xd4c
	s_sub_u32 s0, 0, s14
	s_subb_u32 s1, 0, s15
	s_add_u32 s14, s20, s0
	s_addc_u32 s15, s21, s1
	s_load_dwordx2 s[0:1], s[20:21], 0x0
	s_waitcnt lgkmcnt(0)
	s_load_dword s7, s[14:15], 0x300
	s_load_dword s22, s[14:15], 0x200
	s_cmp_eq_u32 s8, 2
	s_load_dword s12, s[12:13], 0x0
	s_mov_b32 s14, s5
	s_waitcnt lgkmcnt(0)
	s_cselect_b32 s17, s7, s11
	s_cmp_eq_u32 s8, 1
	s_cselect_b32 s19, s7, s10
	v_cvt_f32_u32_e32 v1, s17
	v_cvt_f32_u32_e32 v2, s19
	s_sub_i32 s20, 0, s17
	s_sub_i32 s21, 0, s19
	v_rcp_iflag_f32_e32 v1, v1
	v_rcp_iflag_f32_e32 v2, v2
	s_mov_b32 s15, s6
	s_mul_i32 s18, s12, s18
	v_mul_f32_e32 v1, 0x4f7ffffe, v1
	v_mul_f32_e32 v2, 0x4f7ffffe, v2
	v_cvt_u32_f32_e32 v1, v1
	v_cvt_u32_f32_e32 v2, v2
	s_mov_b64 s[12:13], 0
	s_mul_i32 s9, s22, s9
	v_mul_lo_u32 v3, s20, v1
	v_mul_lo_u32 v4, s21, v2
	v_mul_hi_u32 v3, v1, v3
	v_mul_hi_u32 v4, v2, v4
	v_add_u32_e32 v1, v1, v3
	v_mov_b32_e32 v3, 0
	v_add_u32_e32 v5, v2, v4
	v_add_u32_e32 v4, 1, v0
.LBB192_2:                              ; =>This Inner Loop Header: Depth=1
	v_add_u32_e32 v2, -1, v4
	v_lshl_add_u64 v[6:7], v[2:3], 4, s[0:1]
	global_load_dwordx4 v[6:9], v[6:7], off
	v_mul_hi_u32 v10, v1, v0
	v_add_u32_e32 v4, s18, v4
	v_mul_lo_u32 v11, s17, v10
	v_not_b32_e32 v10, v10
	v_mul_hi_u32 v12, v2, v1
	v_cmp_lt_u32_e32 vcc, s16, v4
	v_sub_u32_e32 v13, v0, v11
	v_mad_u64_u32 v[10:11], s[22:23], s17, v10, v[0:1]
	v_add_u32_e32 v11, 1, v12
	s_or_b64 s[12:13], vcc, s[12:13]
	v_cmp_le_u32_e32 vcc, s17, v13
	v_add_u32_e32 v0, s18, v0
	s_nop 0
	v_cndmask_b32_e32 v11, v12, v11, vcc
	v_cndmask_b32_e32 v10, v13, v10, vcc
	v_add_u32_e32 v12, 1, v11
	v_cmp_le_u32_e32 vcc, s17, v10
	s_nop 1
	v_cndmask_b32_e32 v12, v11, v12, vcc
	v_mad_u64_u32 v[10:11], s[22:23], s20, v12, v[2:3]
	v_mul_hi_u32 v2, v12, v5
	v_mul_lo_u32 v11, v2, s19
	v_sub_u32_e32 v11, v12, v11
	v_add_u32_e32 v13, 1, v2
	v_cmp_le_u32_e32 vcc, s19, v11
	s_nop 1
	v_cndmask_b32_e32 v2, v2, v13, vcc
	v_subrev_u32_e32 v13, s19, v11
	v_cndmask_b32_e32 v11, v11, v13, vcc
	v_add_u32_e32 v13, 1, v2
	v_cmp_le_u32_e32 vcc, s19, v11
	s_nop 1
	v_cndmask_b32_e32 v2, v2, v13, vcc
	v_mul_lo_u32 v11, v2, s19
	v_mul_lo_u32 v2, v2, s4
	v_sub_u32_e32 v12, v12, v11
	v_mad_u64_u32 v[10:11], s[22:23], v10, s6, v[2:3]
	v_mul_lo_u32 v2, v12, s5
	v_add3_u32 v2, v10, v2, s9
	v_lshl_add_u64 v[10:11], v[2:3], 4, s[2:3]
	s_waitcnt vmcnt(0)
	global_store_dwordx4 v[10:11], v[6:9], off
	s_andn2_b64 exec, exec, s[12:13]
	s_cbranch_execnz .LBB192_2
; %bb.3:
	s_or_b64 exec, exec, s[12:13]
	v_add_u32_e32 v0, -1, v4
	v_cmp_gt_u32_e32 vcc, s16, v0
	s_and_b64 exec, exec, vcc
	s_cbranch_execz .LBB192_6
; %bb.4:
	s_cmp_eq_u32 s8, 2
	s_cselect_b32 s5, s7, s11
	v_cvt_f32_u32_e32 v1, s5
	s_cmp_eq_u32 s8, 1
	s_cselect_b32 s8, s7, s10
	v_cvt_f32_u32_e32 v2, s8
	v_rcp_iflag_f32_e32 v1, v1
	s_sub_i32 s6, 0, s5
	v_mov_b32_e32 v3, 0
	v_rcp_iflag_f32_e32 v2, v2
	v_mul_f32_e32 v1, 0x4f7ffffe, v1
	v_cvt_u32_f32_e32 v1, v1
	v_mov_b32_e32 v5, v3
	v_mul_f32_e32 v2, 0x4f7ffffe, v2
	v_cvt_u32_f32_e32 v2, v2
	v_mul_lo_u32 v4, s6, v1
	v_mul_hi_u32 v4, v1, v4
	s_sub_i32 s6, 0, s8
	v_add_u32_e32 v4, v1, v4
	v_mul_lo_u32 v1, s6, v2
	v_mul_hi_u32 v1, v2, v1
	v_add_u32_e32 v10, v2, v1
	v_mov_b32_e32 v1, v3
	v_mad_u64_u32 v[6:7], s[6:7], v4, v0, 0
	v_lshl_add_u64 v[8:9], v[0:1], 4, s[0:1]
	s_mov_b64 s[6:7], 0
.LBB192_5:                              ; =>This Inner Loop Header: Depth=1
	global_load_dwordx4 v[12:15], v[8:9], off
	v_not_b32_e32 v1, v7
	v_mul_lo_u32 v2, s5, v7
	v_mad_u64_u32 v[16:17], s[0:1], s5, v1, v[0:1]
	v_sub_u32_e32 v1, v0, v2
	v_add_u32_e32 v11, 1, v7
	v_cmp_le_u32_e32 vcc, s5, v1
	v_lshl_add_u64 v[8:9], v[8:9], 0, 16
	s_nop 0
	v_cndmask_b32_e32 v2, v7, v11, vcc
	v_cndmask_b32_e32 v1, v1, v16, vcc
	v_add_u32_e32 v11, 1, v2
	v_cmp_le_u32_e32 vcc, s5, v1
	v_lshl_add_u64 v[6:7], v[6:7], 0, v[4:5]
	s_nop 0
	v_cndmask_b32_e32 v1, v2, v11, vcc
	v_mul_hi_u32 v2, v1, v10
	v_mul_lo_u32 v16, v2, s8
	v_sub_u32_e32 v16, v1, v16
	v_mul_lo_u32 v11, v1, s5
	v_add_u32_e32 v17, 1, v2
	v_cmp_le_u32_e64 s[0:1], s8, v16
	v_sub_u32_e32 v11, v0, v11
	v_add_u32_e32 v0, 1, v0
	v_cndmask_b32_e64 v2, v2, v17, s[0:1]
	v_subrev_u32_e32 v17, s8, v16
	v_cmp_le_u32_e32 vcc, s16, v0
	v_cndmask_b32_e64 v16, v16, v17, s[0:1]
	s_or_b64 s[6:7], vcc, s[6:7]
	v_add_u32_e32 v17, 1, v2
	v_cmp_le_u32_e32 vcc, s8, v16
	v_mul_lo_u32 v11, v11, s15
	s_nop 0
	v_cndmask_b32_e32 v2, v2, v17, vcc
	v_mul_lo_u32 v16, v2, s8
	v_mul_lo_u32 v2, v2, s4
	v_sub_u32_e32 v1, v1, v16
	v_add_u32_e32 v2, s9, v2
	v_mul_lo_u32 v1, v1, s14
	v_add3_u32 v2, v2, v11, v1
	v_lshl_add_u64 v[16:17], v[2:3], 4, s[2:3]
	s_waitcnt vmcnt(0)
	global_store_dwordx4 v[16:17], v[12:15], off
	s_andn2_b64 exec, exec, s[6:7]
	s_cbranch_execnz .LBB192_5
.LBB192_6:
	s_endpgm
	.section	.rodata,"a",@progbits
	.p2align	6, 0x0
	.amdhsa_kernel _ZN2at6native12_GLOBAL__N_135CatArrayBatchedCopy_alignedK_contigINS1_10OpaqueTypeILj16EEEjLi3ELi64ELi64ELi8EEEvPT_NS1_25CatArrInputTensorMetadataIS5_T0_XT2_EXT3_EEENS1_16TensorSizeStrideIS8_Lj4EEEiS8_
		.amdhsa_group_segment_fixed_size 0
		.amdhsa_private_segment_fixed_size 0
		.amdhsa_kernarg_size 3696
		.amdhsa_user_sgpr_count 2
		.amdhsa_user_sgpr_dispatch_ptr 0
		.amdhsa_user_sgpr_queue_ptr 0
		.amdhsa_user_sgpr_kernarg_segment_ptr 1
		.amdhsa_user_sgpr_dispatch_id 0
		.amdhsa_user_sgpr_kernarg_preload_length 0
		.amdhsa_user_sgpr_kernarg_preload_offset 0
		.amdhsa_user_sgpr_private_segment_size 0
		.amdhsa_uses_dynamic_stack 0
		.amdhsa_enable_private_segment 0
		.amdhsa_system_sgpr_workgroup_id_x 1
		.amdhsa_system_sgpr_workgroup_id_y 1
		.amdhsa_system_sgpr_workgroup_id_z 0
		.amdhsa_system_sgpr_workgroup_info 0
		.amdhsa_system_vgpr_workitem_id 0
		.amdhsa_next_free_vgpr 18
		.amdhsa_next_free_sgpr 24
		.amdhsa_accum_offset 20
		.amdhsa_reserve_vcc 1
		.amdhsa_float_round_mode_32 0
		.amdhsa_float_round_mode_16_64 0
		.amdhsa_float_denorm_mode_32 3
		.amdhsa_float_denorm_mode_16_64 3
		.amdhsa_dx10_clamp 1
		.amdhsa_ieee_mode 1
		.amdhsa_fp16_overflow 0
		.amdhsa_tg_split 0
		.amdhsa_exception_fp_ieee_invalid_op 0
		.amdhsa_exception_fp_denorm_src 0
		.amdhsa_exception_fp_ieee_div_zero 0
		.amdhsa_exception_fp_ieee_overflow 0
		.amdhsa_exception_fp_ieee_underflow 0
		.amdhsa_exception_fp_ieee_inexact 0
		.amdhsa_exception_int_div_zero 0
	.end_amdhsa_kernel
	.section	.text._ZN2at6native12_GLOBAL__N_135CatArrayBatchedCopy_alignedK_contigINS1_10OpaqueTypeILj16EEEjLi3ELi64ELi64ELi8EEEvPT_NS1_25CatArrInputTensorMetadataIS5_T0_XT2_EXT3_EEENS1_16TensorSizeStrideIS8_Lj4EEEiS8_,"axG",@progbits,_ZN2at6native12_GLOBAL__N_135CatArrayBatchedCopy_alignedK_contigINS1_10OpaqueTypeILj16EEEjLi3ELi64ELi64ELi8EEEvPT_NS1_25CatArrInputTensorMetadataIS5_T0_XT2_EXT3_EEENS1_16TensorSizeStrideIS8_Lj4EEEiS8_,comdat
.Lfunc_end192:
	.size	_ZN2at6native12_GLOBAL__N_135CatArrayBatchedCopy_alignedK_contigINS1_10OpaqueTypeILj16EEEjLi3ELi64ELi64ELi8EEEvPT_NS1_25CatArrInputTensorMetadataIS5_T0_XT2_EXT3_EEENS1_16TensorSizeStrideIS8_Lj4EEEiS8_, .Lfunc_end192-_ZN2at6native12_GLOBAL__N_135CatArrayBatchedCopy_alignedK_contigINS1_10OpaqueTypeILj16EEEjLi3ELi64ELi64ELi8EEEvPT_NS1_25CatArrInputTensorMetadataIS5_T0_XT2_EXT3_EEENS1_16TensorSizeStrideIS8_Lj4EEEiS8_
                                        ; -- End function
	.set _ZN2at6native12_GLOBAL__N_135CatArrayBatchedCopy_alignedK_contigINS1_10OpaqueTypeILj16EEEjLi3ELi64ELi64ELi8EEEvPT_NS1_25CatArrInputTensorMetadataIS5_T0_XT2_EXT3_EEENS1_16TensorSizeStrideIS8_Lj4EEEiS8_.num_vgpr, 18
	.set _ZN2at6native12_GLOBAL__N_135CatArrayBatchedCopy_alignedK_contigINS1_10OpaqueTypeILj16EEEjLi3ELi64ELi64ELi8EEEvPT_NS1_25CatArrInputTensorMetadataIS5_T0_XT2_EXT3_EEENS1_16TensorSizeStrideIS8_Lj4EEEiS8_.num_agpr, 0
	.set _ZN2at6native12_GLOBAL__N_135CatArrayBatchedCopy_alignedK_contigINS1_10OpaqueTypeILj16EEEjLi3ELi64ELi64ELi8EEEvPT_NS1_25CatArrInputTensorMetadataIS5_T0_XT2_EXT3_EEENS1_16TensorSizeStrideIS8_Lj4EEEiS8_.numbered_sgpr, 24
	.set _ZN2at6native12_GLOBAL__N_135CatArrayBatchedCopy_alignedK_contigINS1_10OpaqueTypeILj16EEEjLi3ELi64ELi64ELi8EEEvPT_NS1_25CatArrInputTensorMetadataIS5_T0_XT2_EXT3_EEENS1_16TensorSizeStrideIS8_Lj4EEEiS8_.num_named_barrier, 0
	.set _ZN2at6native12_GLOBAL__N_135CatArrayBatchedCopy_alignedK_contigINS1_10OpaqueTypeILj16EEEjLi3ELi64ELi64ELi8EEEvPT_NS1_25CatArrInputTensorMetadataIS5_T0_XT2_EXT3_EEENS1_16TensorSizeStrideIS8_Lj4EEEiS8_.private_seg_size, 0
	.set _ZN2at6native12_GLOBAL__N_135CatArrayBatchedCopy_alignedK_contigINS1_10OpaqueTypeILj16EEEjLi3ELi64ELi64ELi8EEEvPT_NS1_25CatArrInputTensorMetadataIS5_T0_XT2_EXT3_EEENS1_16TensorSizeStrideIS8_Lj4EEEiS8_.uses_vcc, 1
	.set _ZN2at6native12_GLOBAL__N_135CatArrayBatchedCopy_alignedK_contigINS1_10OpaqueTypeILj16EEEjLi3ELi64ELi64ELi8EEEvPT_NS1_25CatArrInputTensorMetadataIS5_T0_XT2_EXT3_EEENS1_16TensorSizeStrideIS8_Lj4EEEiS8_.uses_flat_scratch, 0
	.set _ZN2at6native12_GLOBAL__N_135CatArrayBatchedCopy_alignedK_contigINS1_10OpaqueTypeILj16EEEjLi3ELi64ELi64ELi8EEEvPT_NS1_25CatArrInputTensorMetadataIS5_T0_XT2_EXT3_EEENS1_16TensorSizeStrideIS8_Lj4EEEiS8_.has_dyn_sized_stack, 0
	.set _ZN2at6native12_GLOBAL__N_135CatArrayBatchedCopy_alignedK_contigINS1_10OpaqueTypeILj16EEEjLi3ELi64ELi64ELi8EEEvPT_NS1_25CatArrInputTensorMetadataIS5_T0_XT2_EXT3_EEENS1_16TensorSizeStrideIS8_Lj4EEEiS8_.has_recursion, 0
	.set _ZN2at6native12_GLOBAL__N_135CatArrayBatchedCopy_alignedK_contigINS1_10OpaqueTypeILj16EEEjLi3ELi64ELi64ELi8EEEvPT_NS1_25CatArrInputTensorMetadataIS5_T0_XT2_EXT3_EEENS1_16TensorSizeStrideIS8_Lj4EEEiS8_.has_indirect_call, 0
	.section	.AMDGPU.csdata,"",@progbits
; Kernel info:
; codeLenInByte = 984
; TotalNumSgprs: 30
; NumVgprs: 18
; NumAgprs: 0
; TotalNumVgprs: 18
; ScratchSize: 0
; MemoryBound: 0
; FloatMode: 240
; IeeeMode: 1
; LDSByteSize: 0 bytes/workgroup (compile time only)
; SGPRBlocks: 3
; VGPRBlocks: 2
; NumSGPRsForWavesPerEU: 30
; NumVGPRsForWavesPerEU: 18
; AccumOffset: 20
; Occupancy: 8
; WaveLimiterHint : 1
; COMPUTE_PGM_RSRC2:SCRATCH_EN: 0
; COMPUTE_PGM_RSRC2:USER_SGPR: 2
; COMPUTE_PGM_RSRC2:TRAP_HANDLER: 0
; COMPUTE_PGM_RSRC2:TGID_X_EN: 1
; COMPUTE_PGM_RSRC2:TGID_Y_EN: 1
; COMPUTE_PGM_RSRC2:TGID_Z_EN: 0
; COMPUTE_PGM_RSRC2:TIDIG_COMP_CNT: 0
; COMPUTE_PGM_RSRC3_GFX90A:ACCUM_OFFSET: 4
; COMPUTE_PGM_RSRC3_GFX90A:TG_SPLIT: 0
	.section	.text._ZN2at6native12_GLOBAL__N_126CatArrayBatchedCopy_contigINS1_10OpaqueTypeILj16EEEjLi3ELi64ELi64EEEvPT_NS1_25CatArrInputTensorMetadataIS5_T0_XT2_EXT3_EEENS1_16TensorSizeStrideIS8_Lj4EEEiS8_,"axG",@progbits,_ZN2at6native12_GLOBAL__N_126CatArrayBatchedCopy_contigINS1_10OpaqueTypeILj16EEEjLi3ELi64ELi64EEEvPT_NS1_25CatArrInputTensorMetadataIS5_T0_XT2_EXT3_EEENS1_16TensorSizeStrideIS8_Lj4EEEiS8_,comdat
	.globl	_ZN2at6native12_GLOBAL__N_126CatArrayBatchedCopy_contigINS1_10OpaqueTypeILj16EEEjLi3ELi64ELi64EEEvPT_NS1_25CatArrInputTensorMetadataIS5_T0_XT2_EXT3_EEENS1_16TensorSizeStrideIS8_Lj4EEEiS8_ ; -- Begin function _ZN2at6native12_GLOBAL__N_126CatArrayBatchedCopy_contigINS1_10OpaqueTypeILj16EEEjLi3ELi64ELi64EEEvPT_NS1_25CatArrInputTensorMetadataIS5_T0_XT2_EXT3_EEENS1_16TensorSizeStrideIS8_Lj4EEEiS8_
	.p2align	8
	.type	_ZN2at6native12_GLOBAL__N_126CatArrayBatchedCopy_contigINS1_10OpaqueTypeILj16EEEjLi3ELi64ELi64EEEvPT_NS1_25CatArrInputTensorMetadataIS5_T0_XT2_EXT3_EEENS1_16TensorSizeStrideIS8_Lj4EEEiS8_,@function
_ZN2at6native12_GLOBAL__N_126CatArrayBatchedCopy_contigINS1_10OpaqueTypeILj16EEEjLi3ELi64ELi64EEEvPT_NS1_25CatArrInputTensorMetadataIS5_T0_XT2_EXT3_EEENS1_16TensorSizeStrideIS8_Lj4EEEiS8_: ; @_ZN2at6native12_GLOBAL__N_126CatArrayBatchedCopy_contigINS1_10OpaqueTypeILj16EEEjLi3ELi64ELi64EEEvPT_NS1_25CatArrInputTensorMetadataIS5_T0_XT2_EXT3_EEENS1_16TensorSizeStrideIS8_Lj4EEEiS8_
; %bb.0:
	s_mov_b32 s4, s3
	s_load_dword s3, s[0:1], 0xd7c
	s_add_u32 s10, s0, 0xd70
	s_mov_b32 s5, 0
	s_addc_u32 s11, s1, 0
	s_lshl_b64 s[8:9], s[4:5], 2
	s_waitcnt lgkmcnt(0)
	s_and_b32 s15, s3, 0xffff
	s_add_u32 s4, s0, s8
	s_addc_u32 s5, s1, s9
	s_load_dword s12, s[4:5], 0x408
	s_mul_i32 s2, s2, s15
	v_add_u32_e32 v0, s2, v0
	s_add_u32 s13, s4, 8
	s_addc_u32 s14, s5, 0
	s_waitcnt lgkmcnt(0)
	v_cmp_gt_u32_e32 vcc, s12, v0
	s_and_saveexec_b64 s[2:3], vcc
	s_cbranch_execz .LBB193_3
; %bb.1:
	s_load_dwordx2 s[16:17], s[0:1], 0xd68
	s_load_dwordx4 s[4:7], s[0:1], 0xd58
	s_load_dwordx2 s[2:3], s[0:1], 0x0
	s_load_dwordx2 s[18:19], s[0:1], 0xd4c
	s_add_u32 s0, s13, s8
	s_addc_u32 s1, s14, s9
	s_waitcnt lgkmcnt(0)
	s_sub_u32 s7, 0, s8
	s_subb_u32 s8, 0, s9
	s_add_u32 s20, s0, s7
	s_addc_u32 s21, s1, s8
	s_load_dwordx2 s[8:9], s[0:1], 0x0
	s_load_dword s22, s[20:21], 0x300
	s_load_dword s23, s[20:21], 0x200
	s_cmp_eq_u32 s16, 2
	s_load_dword s0, s[10:11], 0x0
	s_mov_b32 s13, s6
	s_waitcnt lgkmcnt(0)
	s_cselect_b32 s14, s22, s19
	v_cvt_f32_u32_e32 v1, s14
	s_cmp_eq_u32 s16, 1
	s_cselect_b32 s11, s22, s18
	v_cvt_f32_u32_e32 v2, s11
	v_rcp_iflag_f32_e32 v1, v1
	s_mul_i32 s15, s0, s15
	s_sub_i32 s0, 0, s14
	v_rcp_iflag_f32_e32 v2, v2
	v_mul_f32_e32 v1, 0x4f7ffffe, v1
	v_cvt_u32_f32_e32 v1, v1
	s_mov_b64 s[6:7], 0
	v_mul_f32_e32 v2, 0x4f7ffffe, v2
	v_cvt_u32_f32_e32 v4, v2
	v_mul_lo_u32 v3, s0, v1
	v_mul_hi_u32 v3, v1, v3
	s_sub_i32 s0, 0, s11
	v_add_u32_e32 v2, v1, v3
	v_mul_lo_u32 v3, s0, v4
	v_mul_hi_u32 v3, v4, v3
	s_mul_i32 s10, s23, s17
	v_mov_b32_e32 v1, 0
	v_add_u32_e32 v3, v4, v3
.LBB193_2:                              ; =>This Inner Loop Header: Depth=1
	v_lshl_add_u64 v[4:5], v[0:1], 4, s[8:9]
	global_load_dwordx4 v[4:7], v[4:5], off
	v_mul_hi_u32 v8, v2, v0
	v_mul_lo_u32 v10, s14, v8
	v_not_b32_e32 v11, v8
	v_sub_u32_e32 v13, v0, v10
	v_add_u32_e32 v12, 1, v8
	v_mad_u64_u32 v[10:11], s[0:1], s14, v11, v[0:1]
	v_cmp_le_u32_e32 vcc, s14, v13
	v_mov_b32_e32 v9, v1
	s_nop 0
	v_cndmask_b32_e32 v8, v8, v12, vcc
	v_cndmask_b32_e32 v10, v13, v10, vcc
	v_add_u32_e32 v11, 1, v8
	v_cmp_le_u32_e32 vcc, s14, v10
	s_nop 1
	v_cndmask_b32_e32 v8, v8, v11, vcc
	v_mul_hi_u32 v10, v8, v3
	v_mul_lo_u32 v12, v10, s11
	v_sub_u32_e32 v12, v8, v12
	v_mul_lo_u32 v11, v8, s14
	v_add_u32_e32 v13, 1, v10
	v_cmp_le_u32_e64 s[0:1], s11, v12
	v_sub_u32_e32 v11, v0, v11
	v_add_u32_e32 v0, s15, v0
	v_cndmask_b32_e64 v10, v10, v13, s[0:1]
	v_subrev_u32_e32 v13, s11, v12
	v_cmp_le_u32_e32 vcc, s12, v0
	v_cndmask_b32_e64 v12, v12, v13, s[0:1]
	s_or_b64 s[6:7], vcc, s[6:7]
	v_add_u32_e32 v13, 1, v10
	v_cmp_le_u32_e32 vcc, s11, v12
	v_mul_lo_u32 v11, v11, s13
	s_nop 0
	v_cndmask_b32_e32 v10, v10, v13, vcc
	v_mul_lo_u32 v12, v10, s11
	v_mul_lo_u32 v10, v10, s4
	v_sub_u32_e32 v8, v8, v12
	v_add_u32_e32 v10, s10, v10
	v_mul_lo_u32 v8, v8, s5
	v_add3_u32 v8, v10, v11, v8
	v_lshl_add_u64 v[8:9], v[8:9], 4, s[2:3]
	s_waitcnt vmcnt(0)
	global_store_dwordx4 v[8:9], v[4:7], off
	s_andn2_b64 exec, exec, s[6:7]
	s_cbranch_execnz .LBB193_2
.LBB193_3:
	s_endpgm
	.section	.rodata,"a",@progbits
	.p2align	6, 0x0
	.amdhsa_kernel _ZN2at6native12_GLOBAL__N_126CatArrayBatchedCopy_contigINS1_10OpaqueTypeILj16EEEjLi3ELi64ELi64EEEvPT_NS1_25CatArrInputTensorMetadataIS5_T0_XT2_EXT3_EEENS1_16TensorSizeStrideIS8_Lj4EEEiS8_
		.amdhsa_group_segment_fixed_size 0
		.amdhsa_private_segment_fixed_size 0
		.amdhsa_kernarg_size 3696
		.amdhsa_user_sgpr_count 2
		.amdhsa_user_sgpr_dispatch_ptr 0
		.amdhsa_user_sgpr_queue_ptr 0
		.amdhsa_user_sgpr_kernarg_segment_ptr 1
		.amdhsa_user_sgpr_dispatch_id 0
		.amdhsa_user_sgpr_kernarg_preload_length 0
		.amdhsa_user_sgpr_kernarg_preload_offset 0
		.amdhsa_user_sgpr_private_segment_size 0
		.amdhsa_uses_dynamic_stack 0
		.amdhsa_enable_private_segment 0
		.amdhsa_system_sgpr_workgroup_id_x 1
		.amdhsa_system_sgpr_workgroup_id_y 1
		.amdhsa_system_sgpr_workgroup_id_z 0
		.amdhsa_system_sgpr_workgroup_info 0
		.amdhsa_system_vgpr_workitem_id 0
		.amdhsa_next_free_vgpr 14
		.amdhsa_next_free_sgpr 24
		.amdhsa_accum_offset 16
		.amdhsa_reserve_vcc 1
		.amdhsa_float_round_mode_32 0
		.amdhsa_float_round_mode_16_64 0
		.amdhsa_float_denorm_mode_32 3
		.amdhsa_float_denorm_mode_16_64 3
		.amdhsa_dx10_clamp 1
		.amdhsa_ieee_mode 1
		.amdhsa_fp16_overflow 0
		.amdhsa_tg_split 0
		.amdhsa_exception_fp_ieee_invalid_op 0
		.amdhsa_exception_fp_denorm_src 0
		.amdhsa_exception_fp_ieee_div_zero 0
		.amdhsa_exception_fp_ieee_overflow 0
		.amdhsa_exception_fp_ieee_underflow 0
		.amdhsa_exception_fp_ieee_inexact 0
		.amdhsa_exception_int_div_zero 0
	.end_amdhsa_kernel
	.section	.text._ZN2at6native12_GLOBAL__N_126CatArrayBatchedCopy_contigINS1_10OpaqueTypeILj16EEEjLi3ELi64ELi64EEEvPT_NS1_25CatArrInputTensorMetadataIS5_T0_XT2_EXT3_EEENS1_16TensorSizeStrideIS8_Lj4EEEiS8_,"axG",@progbits,_ZN2at6native12_GLOBAL__N_126CatArrayBatchedCopy_contigINS1_10OpaqueTypeILj16EEEjLi3ELi64ELi64EEEvPT_NS1_25CatArrInputTensorMetadataIS5_T0_XT2_EXT3_EEENS1_16TensorSizeStrideIS8_Lj4EEEiS8_,comdat
.Lfunc_end193:
	.size	_ZN2at6native12_GLOBAL__N_126CatArrayBatchedCopy_contigINS1_10OpaqueTypeILj16EEEjLi3ELi64ELi64EEEvPT_NS1_25CatArrInputTensorMetadataIS5_T0_XT2_EXT3_EEENS1_16TensorSizeStrideIS8_Lj4EEEiS8_, .Lfunc_end193-_ZN2at6native12_GLOBAL__N_126CatArrayBatchedCopy_contigINS1_10OpaqueTypeILj16EEEjLi3ELi64ELi64EEEvPT_NS1_25CatArrInputTensorMetadataIS5_T0_XT2_EXT3_EEENS1_16TensorSizeStrideIS8_Lj4EEEiS8_
                                        ; -- End function
	.set _ZN2at6native12_GLOBAL__N_126CatArrayBatchedCopy_contigINS1_10OpaqueTypeILj16EEEjLi3ELi64ELi64EEEvPT_NS1_25CatArrInputTensorMetadataIS5_T0_XT2_EXT3_EEENS1_16TensorSizeStrideIS8_Lj4EEEiS8_.num_vgpr, 14
	.set _ZN2at6native12_GLOBAL__N_126CatArrayBatchedCopy_contigINS1_10OpaqueTypeILj16EEEjLi3ELi64ELi64EEEvPT_NS1_25CatArrInputTensorMetadataIS5_T0_XT2_EXT3_EEENS1_16TensorSizeStrideIS8_Lj4EEEiS8_.num_agpr, 0
	.set _ZN2at6native12_GLOBAL__N_126CatArrayBatchedCopy_contigINS1_10OpaqueTypeILj16EEEjLi3ELi64ELi64EEEvPT_NS1_25CatArrInputTensorMetadataIS5_T0_XT2_EXT3_EEENS1_16TensorSizeStrideIS8_Lj4EEEiS8_.numbered_sgpr, 24
	.set _ZN2at6native12_GLOBAL__N_126CatArrayBatchedCopy_contigINS1_10OpaqueTypeILj16EEEjLi3ELi64ELi64EEEvPT_NS1_25CatArrInputTensorMetadataIS5_T0_XT2_EXT3_EEENS1_16TensorSizeStrideIS8_Lj4EEEiS8_.num_named_barrier, 0
	.set _ZN2at6native12_GLOBAL__N_126CatArrayBatchedCopy_contigINS1_10OpaqueTypeILj16EEEjLi3ELi64ELi64EEEvPT_NS1_25CatArrInputTensorMetadataIS5_T0_XT2_EXT3_EEENS1_16TensorSizeStrideIS8_Lj4EEEiS8_.private_seg_size, 0
	.set _ZN2at6native12_GLOBAL__N_126CatArrayBatchedCopy_contigINS1_10OpaqueTypeILj16EEEjLi3ELi64ELi64EEEvPT_NS1_25CatArrInputTensorMetadataIS5_T0_XT2_EXT3_EEENS1_16TensorSizeStrideIS8_Lj4EEEiS8_.uses_vcc, 1
	.set _ZN2at6native12_GLOBAL__N_126CatArrayBatchedCopy_contigINS1_10OpaqueTypeILj16EEEjLi3ELi64ELi64EEEvPT_NS1_25CatArrInputTensorMetadataIS5_T0_XT2_EXT3_EEENS1_16TensorSizeStrideIS8_Lj4EEEiS8_.uses_flat_scratch, 0
	.set _ZN2at6native12_GLOBAL__N_126CatArrayBatchedCopy_contigINS1_10OpaqueTypeILj16EEEjLi3ELi64ELi64EEEvPT_NS1_25CatArrInputTensorMetadataIS5_T0_XT2_EXT3_EEENS1_16TensorSizeStrideIS8_Lj4EEEiS8_.has_dyn_sized_stack, 0
	.set _ZN2at6native12_GLOBAL__N_126CatArrayBatchedCopy_contigINS1_10OpaqueTypeILj16EEEjLi3ELi64ELi64EEEvPT_NS1_25CatArrInputTensorMetadataIS5_T0_XT2_EXT3_EEENS1_16TensorSizeStrideIS8_Lj4EEEiS8_.has_recursion, 0
	.set _ZN2at6native12_GLOBAL__N_126CatArrayBatchedCopy_contigINS1_10OpaqueTypeILj16EEEjLi3ELi64ELi64EEEvPT_NS1_25CatArrInputTensorMetadataIS5_T0_XT2_EXT3_EEENS1_16TensorSizeStrideIS8_Lj4EEEiS8_.has_indirect_call, 0
	.section	.AMDGPU.csdata,"",@progbits
; Kernel info:
; codeLenInByte = 572
; TotalNumSgprs: 30
; NumVgprs: 14
; NumAgprs: 0
; TotalNumVgprs: 14
; ScratchSize: 0
; MemoryBound: 0
; FloatMode: 240
; IeeeMode: 1
; LDSByteSize: 0 bytes/workgroup (compile time only)
; SGPRBlocks: 3
; VGPRBlocks: 1
; NumSGPRsForWavesPerEU: 30
; NumVGPRsForWavesPerEU: 14
; AccumOffset: 16
; Occupancy: 8
; WaveLimiterHint : 1
; COMPUTE_PGM_RSRC2:SCRATCH_EN: 0
; COMPUTE_PGM_RSRC2:USER_SGPR: 2
; COMPUTE_PGM_RSRC2:TRAP_HANDLER: 0
; COMPUTE_PGM_RSRC2:TGID_X_EN: 1
; COMPUTE_PGM_RSRC2:TGID_Y_EN: 1
; COMPUTE_PGM_RSRC2:TGID_Z_EN: 0
; COMPUTE_PGM_RSRC2:TIDIG_COMP_CNT: 0
; COMPUTE_PGM_RSRC3_GFX90A:ACCUM_OFFSET: 3
; COMPUTE_PGM_RSRC3_GFX90A:TG_SPLIT: 0
	.section	.text._ZN2at6native12_GLOBAL__N_119CatArrayBatchedCopyINS1_10OpaqueTypeILj16EEEjLi3ELi64ELi64EEEvPT_NS1_25CatArrInputTensorMetadataIS5_T0_XT2_EXT3_EEENS1_16TensorSizeStrideIS8_Lj4EEEiS8_,"axG",@progbits,_ZN2at6native12_GLOBAL__N_119CatArrayBatchedCopyINS1_10OpaqueTypeILj16EEEjLi3ELi64ELi64EEEvPT_NS1_25CatArrInputTensorMetadataIS5_T0_XT2_EXT3_EEENS1_16TensorSizeStrideIS8_Lj4EEEiS8_,comdat
	.globl	_ZN2at6native12_GLOBAL__N_119CatArrayBatchedCopyINS1_10OpaqueTypeILj16EEEjLi3ELi64ELi64EEEvPT_NS1_25CatArrInputTensorMetadataIS5_T0_XT2_EXT3_EEENS1_16TensorSizeStrideIS8_Lj4EEEiS8_ ; -- Begin function _ZN2at6native12_GLOBAL__N_119CatArrayBatchedCopyINS1_10OpaqueTypeILj16EEEjLi3ELi64ELi64EEEvPT_NS1_25CatArrInputTensorMetadataIS5_T0_XT2_EXT3_EEENS1_16TensorSizeStrideIS8_Lj4EEEiS8_
	.p2align	8
	.type	_ZN2at6native12_GLOBAL__N_119CatArrayBatchedCopyINS1_10OpaqueTypeILj16EEEjLi3ELi64ELi64EEEvPT_NS1_25CatArrInputTensorMetadataIS5_T0_XT2_EXT3_EEENS1_16TensorSizeStrideIS8_Lj4EEEiS8_,@function
_ZN2at6native12_GLOBAL__N_119CatArrayBatchedCopyINS1_10OpaqueTypeILj16EEEjLi3ELi64ELi64EEEvPT_NS1_25CatArrInputTensorMetadataIS5_T0_XT2_EXT3_EEENS1_16TensorSizeStrideIS8_Lj4EEEiS8_: ; @_ZN2at6native12_GLOBAL__N_119CatArrayBatchedCopyINS1_10OpaqueTypeILj16EEEjLi3ELi64ELi64EEEvPT_NS1_25CatArrInputTensorMetadataIS5_T0_XT2_EXT3_EEENS1_16TensorSizeStrideIS8_Lj4EEEiS8_
; %bb.0:
	s_load_dword s4, s[0:1], 0xd7c
	s_mov_b32 s8, s3
	s_or_b32 s3, s0, 8
	s_add_u32 s10, s0, 0xd70
	s_mov_b32 s9, 0
	s_addc_u32 s11, s1, 0
	s_waitcnt lgkmcnt(0)
	s_and_b32 s17, s4, 0xffff
	s_lshl_b64 s[14:15], s[8:9], 2
	s_add_u32 s4, s3, s14
	s_addc_u32 s5, s1, s15
	s_load_dword s16, s[4:5], 0x400
	s_mul_i32 s2, s2, s17
	v_add_u32_e32 v0, s2, v0
	s_waitcnt lgkmcnt(0)
	v_cmp_gt_u32_e32 vcc, s16, v0
	s_and_saveexec_b64 s[12:13], vcc
	s_cbranch_execz .LBB194_5
; %bb.1:
	s_mul_i32 s7, s8, 28
	s_mul_hi_u32 s2, s8, 28
	s_add_u32 s18, s4, s7
	s_addc_u32 s19, s5, s2
	s_add_u32 s20, s3, s8
	s_addc_u32 s21, s1, 0
	v_mov_b32_e32 v1, 0
	global_load_ubyte v2, v1, s[20:21] offset:1280
	s_load_dwordx2 s[22:23], s[0:1], 0xd68
	s_load_dwordx4 s[4:7], s[0:1], 0xd58
	s_load_dwordx2 s[2:3], s[0:1], 0x0
	s_load_dwordx2 s[24:25], s[0:1], 0xd4c
	s_waitcnt lgkmcnt(0)
	s_load_dword s7, s[10:11], 0x0
                                        ; kill: killed $sgpr0 killed $sgpr1
                                        ; kill: killed $sgpr10 killed $sgpr11
	s_mul_hi_u32 s26, s8, 7
	s_mul_i32 s27, s8, 7
	s_load_dwordx2 s[0:1], s[18:19], 0x544
	s_load_dwordx4 s[8:11], s[18:19], 0x550
	s_mov_b64 s[12:13], 0
	s_waitcnt lgkmcnt(0)
	s_mul_i32 s7, s7, s17
	s_waitcnt vmcnt(0)
	v_and_b32_e32 v2, 1, v2
	v_cmp_eq_u32_e32 vcc, 1, v2
	s_xor_b64 s[18:19], vcc, -1
	s_add_u32 s20, s20, s27
	s_addc_u32 s21, s21, s26
	s_sub_u32 s11, 0, s14
	s_subb_u32 s14, 0, s15
	s_add_u32 s26, s20, s11
	s_addc_u32 s27, s21, s14
	s_load_dwordx2 s[14:15], s[20:21], 0x0
	s_load_dword s11, s[26:27], 0x200
	s_load_dword s28, s[26:27], 0x300
	s_cmp_eq_u32 s22, 2
	v_cndmask_b32_e64 v2, 0, 1, s[18:19]
	s_waitcnt lgkmcnt(0)
	s_mul_i32 s11, s11, s23
	s_cselect_b32 s17, s28, s25
	s_cselect_b32 s18, s28, s1
	s_cmp_eq_u32 s22, 1
	s_cselect_b32 s19, s28, s24
	s_cselect_b32 s20, s28, s0
	v_cvt_f32_u32_e32 v3, s17
	v_cvt_f32_u32_e32 v4, s18
	v_cvt_f32_u32_e32 v5, s19
	v_cvt_f32_u32_e32 v6, s20
	v_rcp_iflag_f32_e32 v3, v3
	v_rcp_iflag_f32_e32 v4, v4
	;; [unrolled: 1-line block ×4, first 2 shown]
	v_mul_f32_e32 v3, 0x4f7ffffe, v3
	v_mul_f32_e32 v4, 0x4f7ffffe, v4
	v_cvt_u32_f32_e32 v3, v3
	v_mul_f32_e32 v5, 0x4f7ffffe, v5
	v_cvt_u32_f32_e32 v7, v4
	;; [unrolled: 2-line block ×3, first 2 shown]
	v_cvt_u32_f32_e32 v8, v4
	s_sub_i32 s21, 0, s17
	s_sub_i32 s22, 0, s18
	;; [unrolled: 1-line block ×4, first 2 shown]
	v_mul_lo_u32 v4, s21, v3
	v_mul_lo_u32 v5, s22, v7
	v_mul_hi_u32 v4, v3, v4
	v_mul_lo_u32 v9, s0, v6
	v_mul_hi_u32 v5, v7, v5
	v_mul_lo_u32 v10, s1, v8
	v_add_u32_e32 v4, v3, v4
	v_mul_hi_u32 v3, v6, v9
	v_add_u32_e32 v5, v7, v5
	v_mul_hi_u32 v7, v8, v10
	v_add_u32_e32 v6, v6, v3
	v_add_u32_e32 v7, v8, v7
	v_cmp_ne_u32_e64 s[0:1], 1, v2
	s_branch .LBB194_3
.LBB194_2:                              ;   in Loop: Header=BB194_3 Depth=1
	v_lshl_add_u64 v[2:3], v[2:3], 4, s[14:15]
	global_load_dwordx4 v[8:11], v[2:3], off
	v_mul_hi_u32 v12, v4, v0
	v_mad_u64_u32 v[2:3], s[24:25], s21, v12, v[0:1]
	v_not_b32_e32 v13, v12
	v_add_u32_e32 v3, 1, v12
	v_cmp_le_u32_e32 vcc, s17, v2
	s_nop 1
	v_cndmask_b32_e32 v3, v12, v3, vcc
	v_mad_u64_u32 v[12:13], s[24:25], s17, v13, v[0:1]
	v_cndmask_b32_e32 v2, v2, v12, vcc
	v_add_u32_e32 v12, 1, v3
	v_cmp_le_u32_e32 vcc, s17, v2
	s_nop 1
	v_cndmask_b32_e32 v12, v3, v12, vcc
	v_mad_u64_u32 v[2:3], s[24:25], s21, v12, v[0:1]
	v_mul_hi_u32 v3, v12, v6
	v_mul_lo_u32 v13, v3, s19
	v_sub_u32_e32 v13, v12, v13
	v_add_u32_e32 v14, 1, v3
	v_cmp_le_u32_e32 vcc, s19, v13
	v_add_u32_e32 v0, s7, v0
	s_nop 0
	v_cndmask_b32_e32 v3, v3, v14, vcc
	v_subrev_u32_e32 v14, s19, v13
	v_cndmask_b32_e32 v13, v13, v14, vcc
	v_add_u32_e32 v14, 1, v3
	v_cmp_le_u32_e32 vcc, s19, v13
	s_nop 1
	v_cndmask_b32_e32 v3, v3, v14, vcc
	v_mul_lo_u32 v13, v3, s19
	v_sub_u32_e32 v12, v12, v13
	v_mul_lo_u32 v13, v12, s5
	v_mul_lo_u32 v12, v3, s4
	v_mad_u64_u32 v[2:3], s[24:25], v2, s6, v[12:13]
	v_add3_u32 v2, v2, v13, s11
	v_mov_b32_e32 v3, v1
	v_cmp_le_u32_e32 vcc, s16, v0
	v_lshl_add_u64 v[2:3], v[2:3], 4, s[2:3]
	s_or_b64 s[12:13], vcc, s[12:13]
	s_waitcnt vmcnt(0)
	global_store_dwordx4 v[2:3], v[8:11], off
	s_andn2_b64 exec, exec, s[12:13]
	s_cbranch_execz .LBB194_5
.LBB194_3:                              ; =>This Inner Loop Header: Depth=1
	s_and_b64 vcc, exec, s[0:1]
	v_mov_b64_e32 v[2:3], v[0:1]
	s_cbranch_vccnz .LBB194_2
; %bb.4:                                ;   in Loop: Header=BB194_3 Depth=1
	v_mul_hi_u32 v8, v5, v0
	v_mad_u64_u32 v[2:3], s[24:25], s22, v8, v[0:1]
	v_not_b32_e32 v9, v8
	v_add_u32_e32 v3, 1, v8
	v_cmp_le_u32_e32 vcc, s18, v2
	s_nop 1
	v_cndmask_b32_e32 v3, v8, v3, vcc
	v_mad_u64_u32 v[8:9], s[24:25], s18, v9, v[0:1]
	v_cndmask_b32_e32 v2, v2, v8, vcc
	v_add_u32_e32 v8, 1, v3
	v_cmp_le_u32_e32 vcc, s18, v2
	s_nop 1
	v_cndmask_b32_e32 v8, v3, v8, vcc
	v_mad_u64_u32 v[2:3], s[24:25], s22, v8, v[0:1]
	v_mul_hi_u32 v3, v8, v7
	v_mul_lo_u32 v9, v3, s20
	v_sub_u32_e32 v9, v8, v9
	v_add_u32_e32 v10, 1, v3
	v_cmp_le_u32_e32 vcc, s20, v9
	v_mul_lo_u32 v2, v2, s10
	s_nop 0
	v_cndmask_b32_e32 v3, v3, v10, vcc
	v_subrev_u32_e32 v10, s20, v9
	v_cndmask_b32_e32 v9, v9, v10, vcc
	v_add_u32_e32 v10, 1, v3
	v_cmp_le_u32_e32 vcc, s20, v9
	s_nop 1
	v_cndmask_b32_e32 v3, v3, v10, vcc
	v_mul_lo_u32 v9, v3, s20
	v_sub_u32_e32 v8, v8, v9
	v_mul_lo_u32 v8, v8, s9
	v_mul_lo_u32 v3, v3, s8
	v_add3_u32 v2, v2, v3, v8
	v_mov_b32_e32 v3, v1
	s_branch .LBB194_2
.LBB194_5:
	s_endpgm
	.section	.rodata,"a",@progbits
	.p2align	6, 0x0
	.amdhsa_kernel _ZN2at6native12_GLOBAL__N_119CatArrayBatchedCopyINS1_10OpaqueTypeILj16EEEjLi3ELi64ELi64EEEvPT_NS1_25CatArrInputTensorMetadataIS5_T0_XT2_EXT3_EEENS1_16TensorSizeStrideIS8_Lj4EEEiS8_
		.amdhsa_group_segment_fixed_size 0
		.amdhsa_private_segment_fixed_size 0
		.amdhsa_kernarg_size 3696
		.amdhsa_user_sgpr_count 2
		.amdhsa_user_sgpr_dispatch_ptr 0
		.amdhsa_user_sgpr_queue_ptr 0
		.amdhsa_user_sgpr_kernarg_segment_ptr 1
		.amdhsa_user_sgpr_dispatch_id 0
		.amdhsa_user_sgpr_kernarg_preload_length 0
		.amdhsa_user_sgpr_kernarg_preload_offset 0
		.amdhsa_user_sgpr_private_segment_size 0
		.amdhsa_uses_dynamic_stack 0
		.amdhsa_enable_private_segment 0
		.amdhsa_system_sgpr_workgroup_id_x 1
		.amdhsa_system_sgpr_workgroup_id_y 1
		.amdhsa_system_sgpr_workgroup_id_z 0
		.amdhsa_system_sgpr_workgroup_info 0
		.amdhsa_system_vgpr_workitem_id 0
		.amdhsa_next_free_vgpr 15
		.amdhsa_next_free_sgpr 29
		.amdhsa_accum_offset 16
		.amdhsa_reserve_vcc 1
		.amdhsa_float_round_mode_32 0
		.amdhsa_float_round_mode_16_64 0
		.amdhsa_float_denorm_mode_32 3
		.amdhsa_float_denorm_mode_16_64 3
		.amdhsa_dx10_clamp 1
		.amdhsa_ieee_mode 1
		.amdhsa_fp16_overflow 0
		.amdhsa_tg_split 0
		.amdhsa_exception_fp_ieee_invalid_op 0
		.amdhsa_exception_fp_denorm_src 0
		.amdhsa_exception_fp_ieee_div_zero 0
		.amdhsa_exception_fp_ieee_overflow 0
		.amdhsa_exception_fp_ieee_underflow 0
		.amdhsa_exception_fp_ieee_inexact 0
		.amdhsa_exception_int_div_zero 0
	.end_amdhsa_kernel
	.section	.text._ZN2at6native12_GLOBAL__N_119CatArrayBatchedCopyINS1_10OpaqueTypeILj16EEEjLi3ELi64ELi64EEEvPT_NS1_25CatArrInputTensorMetadataIS5_T0_XT2_EXT3_EEENS1_16TensorSizeStrideIS8_Lj4EEEiS8_,"axG",@progbits,_ZN2at6native12_GLOBAL__N_119CatArrayBatchedCopyINS1_10OpaqueTypeILj16EEEjLi3ELi64ELi64EEEvPT_NS1_25CatArrInputTensorMetadataIS5_T0_XT2_EXT3_EEENS1_16TensorSizeStrideIS8_Lj4EEEiS8_,comdat
.Lfunc_end194:
	.size	_ZN2at6native12_GLOBAL__N_119CatArrayBatchedCopyINS1_10OpaqueTypeILj16EEEjLi3ELi64ELi64EEEvPT_NS1_25CatArrInputTensorMetadataIS5_T0_XT2_EXT3_EEENS1_16TensorSizeStrideIS8_Lj4EEEiS8_, .Lfunc_end194-_ZN2at6native12_GLOBAL__N_119CatArrayBatchedCopyINS1_10OpaqueTypeILj16EEEjLi3ELi64ELi64EEEvPT_NS1_25CatArrInputTensorMetadataIS5_T0_XT2_EXT3_EEENS1_16TensorSizeStrideIS8_Lj4EEEiS8_
                                        ; -- End function
	.set _ZN2at6native12_GLOBAL__N_119CatArrayBatchedCopyINS1_10OpaqueTypeILj16EEEjLi3ELi64ELi64EEEvPT_NS1_25CatArrInputTensorMetadataIS5_T0_XT2_EXT3_EEENS1_16TensorSizeStrideIS8_Lj4EEEiS8_.num_vgpr, 15
	.set _ZN2at6native12_GLOBAL__N_119CatArrayBatchedCopyINS1_10OpaqueTypeILj16EEEjLi3ELi64ELi64EEEvPT_NS1_25CatArrInputTensorMetadataIS5_T0_XT2_EXT3_EEENS1_16TensorSizeStrideIS8_Lj4EEEiS8_.num_agpr, 0
	.set _ZN2at6native12_GLOBAL__N_119CatArrayBatchedCopyINS1_10OpaqueTypeILj16EEEjLi3ELi64ELi64EEEvPT_NS1_25CatArrInputTensorMetadataIS5_T0_XT2_EXT3_EEENS1_16TensorSizeStrideIS8_Lj4EEEiS8_.numbered_sgpr, 29
	.set _ZN2at6native12_GLOBAL__N_119CatArrayBatchedCopyINS1_10OpaqueTypeILj16EEEjLi3ELi64ELi64EEEvPT_NS1_25CatArrInputTensorMetadataIS5_T0_XT2_EXT3_EEENS1_16TensorSizeStrideIS8_Lj4EEEiS8_.num_named_barrier, 0
	.set _ZN2at6native12_GLOBAL__N_119CatArrayBatchedCopyINS1_10OpaqueTypeILj16EEEjLi3ELi64ELi64EEEvPT_NS1_25CatArrInputTensorMetadataIS5_T0_XT2_EXT3_EEENS1_16TensorSizeStrideIS8_Lj4EEEiS8_.private_seg_size, 0
	.set _ZN2at6native12_GLOBAL__N_119CatArrayBatchedCopyINS1_10OpaqueTypeILj16EEEjLi3ELi64ELi64EEEvPT_NS1_25CatArrInputTensorMetadataIS5_T0_XT2_EXT3_EEENS1_16TensorSizeStrideIS8_Lj4EEEiS8_.uses_vcc, 1
	.set _ZN2at6native12_GLOBAL__N_119CatArrayBatchedCopyINS1_10OpaqueTypeILj16EEEjLi3ELi64ELi64EEEvPT_NS1_25CatArrInputTensorMetadataIS5_T0_XT2_EXT3_EEENS1_16TensorSizeStrideIS8_Lj4EEEiS8_.uses_flat_scratch, 0
	.set _ZN2at6native12_GLOBAL__N_119CatArrayBatchedCopyINS1_10OpaqueTypeILj16EEEjLi3ELi64ELi64EEEvPT_NS1_25CatArrInputTensorMetadataIS5_T0_XT2_EXT3_EEENS1_16TensorSizeStrideIS8_Lj4EEEiS8_.has_dyn_sized_stack, 0
	.set _ZN2at6native12_GLOBAL__N_119CatArrayBatchedCopyINS1_10OpaqueTypeILj16EEEjLi3ELi64ELi64EEEvPT_NS1_25CatArrInputTensorMetadataIS5_T0_XT2_EXT3_EEENS1_16TensorSizeStrideIS8_Lj4EEEiS8_.has_recursion, 0
	.set _ZN2at6native12_GLOBAL__N_119CatArrayBatchedCopyINS1_10OpaqueTypeILj16EEEjLi3ELi64ELi64EEEvPT_NS1_25CatArrInputTensorMetadataIS5_T0_XT2_EXT3_EEENS1_16TensorSizeStrideIS8_Lj4EEEiS8_.has_indirect_call, 0
	.section	.AMDGPU.csdata,"",@progbits
; Kernel info:
; codeLenInByte = 932
; TotalNumSgprs: 35
; NumVgprs: 15
; NumAgprs: 0
; TotalNumVgprs: 15
; ScratchSize: 0
; MemoryBound: 0
; FloatMode: 240
; IeeeMode: 1
; LDSByteSize: 0 bytes/workgroup (compile time only)
; SGPRBlocks: 4
; VGPRBlocks: 1
; NumSGPRsForWavesPerEU: 35
; NumVGPRsForWavesPerEU: 15
; AccumOffset: 16
; Occupancy: 8
; WaveLimiterHint : 1
; COMPUTE_PGM_RSRC2:SCRATCH_EN: 0
; COMPUTE_PGM_RSRC2:USER_SGPR: 2
; COMPUTE_PGM_RSRC2:TRAP_HANDLER: 0
; COMPUTE_PGM_RSRC2:TGID_X_EN: 1
; COMPUTE_PGM_RSRC2:TGID_Y_EN: 1
; COMPUTE_PGM_RSRC2:TGID_Z_EN: 0
; COMPUTE_PGM_RSRC2:TIDIG_COMP_CNT: 0
; COMPUTE_PGM_RSRC3_GFX90A:ACCUM_OFFSET: 3
; COMPUTE_PGM_RSRC3_GFX90A:TG_SPLIT: 0
	.section	.text._ZN2at6native12_GLOBAL__N_130CatArrayBatchedCopy_vectorizedINS1_10OpaqueTypeILj16EEEjLi4ELi64ELi64ELi16ELi1EEEvPcNS1_25CatArrInputTensorMetadataIT_T0_XT2_EXT3_EEENS1_16TensorSizeStrideIS8_Lj4EEEiS8_,"axG",@progbits,_ZN2at6native12_GLOBAL__N_130CatArrayBatchedCopy_vectorizedINS1_10OpaqueTypeILj16EEEjLi4ELi64ELi64ELi16ELi1EEEvPcNS1_25CatArrInputTensorMetadataIT_T0_XT2_EXT3_EEENS1_16TensorSizeStrideIS8_Lj4EEEiS8_,comdat
	.globl	_ZN2at6native12_GLOBAL__N_130CatArrayBatchedCopy_vectorizedINS1_10OpaqueTypeILj16EEEjLi4ELi64ELi64ELi16ELi1EEEvPcNS1_25CatArrInputTensorMetadataIT_T0_XT2_EXT3_EEENS1_16TensorSizeStrideIS8_Lj4EEEiS8_ ; -- Begin function _ZN2at6native12_GLOBAL__N_130CatArrayBatchedCopy_vectorizedINS1_10OpaqueTypeILj16EEEjLi4ELi64ELi64ELi16ELi1EEEvPcNS1_25CatArrInputTensorMetadataIT_T0_XT2_EXT3_EEENS1_16TensorSizeStrideIS8_Lj4EEEiS8_
	.p2align	8
	.type	_ZN2at6native12_GLOBAL__N_130CatArrayBatchedCopy_vectorizedINS1_10OpaqueTypeILj16EEEjLi4ELi64ELi64ELi16ELi1EEEvPcNS1_25CatArrInputTensorMetadataIT_T0_XT2_EXT3_EEENS1_16TensorSizeStrideIS8_Lj4EEEiS8_,@function
_ZN2at6native12_GLOBAL__N_130CatArrayBatchedCopy_vectorizedINS1_10OpaqueTypeILj16EEEjLi4ELi64ELi64ELi16ELi1EEEvPcNS1_25CatArrInputTensorMetadataIT_T0_XT2_EXT3_EEENS1_16TensorSizeStrideIS8_Lj4EEEiS8_: ; @_ZN2at6native12_GLOBAL__N_130CatArrayBatchedCopy_vectorizedINS1_10OpaqueTypeILj16EEEjLi4ELi64ELi64ELi16ELi1EEEvPcNS1_25CatArrInputTensorMetadataIT_T0_XT2_EXT3_EEENS1_16TensorSizeStrideIS8_Lj4EEEiS8_
; %bb.0:
	s_mov_b32 s8, s3
	s_load_dword s3, s[0:1], 0xd7c
	s_add_u32 s10, s0, 0xd70
	s_mov_b32 s9, 0
	s_addc_u32 s11, s1, 0
	s_lshl_b64 s[12:13], s[8:9], 2
	s_waitcnt lgkmcnt(0)
	s_and_b32 s15, s3, 0xffff
	s_add_u32 s4, s0, s12
	s_addc_u32 s5, s1, s13
	s_load_dword s14, s[4:5], 0x408
	s_mul_i32 s2, s2, s15
	v_add_u32_e32 v0, s2, v0
	s_add_u32 s2, s4, 8
	s_addc_u32 s3, s5, 0
	s_waitcnt lgkmcnt(0)
	v_cmp_gt_u32_e32 vcc, s14, v0
	s_and_saveexec_b64 s[4:5], vcc
	s_cbranch_execz .LBB195_3
; %bb.1:
	s_add_u32 s22, s2, s12
	s_addc_u32 s23, s3, s13
	s_load_dwordx4 s[4:7], s[0:1], 0xd58
	s_load_dwordx2 s[20:21], s[0:1], 0xd68
	s_sub_u32 s2, 0, s12
	s_subb_u32 s3, 0, s13
	s_add_u32 s12, s22, s2
	s_addc_u32 s13, s23, s3
	s_load_dwordx2 s[2:3], s[22:23], 0x0
	s_load_dword s8, s[12:13], 0x200
	s_load_dword s26, s[12:13], 0x300
	s_load_dwordx2 s[24:25], s[0:1], 0x0
	s_load_dwordx4 s[16:19], s[0:1], 0xd4c
	s_waitcnt lgkmcnt(0)
	s_load_dword s19, s[10:11], 0x0
	s_mul_i32 s8, s8, s21
	s_lshl_b64 s[8:9], s[8:9], 4
	s_mul_i32 s26, s26, s21
	s_cmp_eq_u32 s20, 3
                                        ; kill: killed $sgpr10 killed $sgpr11
	s_cselect_b32 s10, s26, s18
	v_cvt_f32_u32_e32 v1, s10
	s_cmp_eq_u32 s20, 2
                                        ; kill: killed $sgpr12 killed $sgpr13
	s_cselect_b32 s12, s26, s17
	s_cmp_eq_u32 s20, 1
	v_rcp_iflag_f32_e32 v1, v1
	v_cvt_f32_u32_e32 v2, s12
	s_cselect_b32 s13, s26, s16
	s_add_u32 s8, s24, s8
	v_mul_f32_e32 v1, 0x4f7ffffe, v1
	v_cvt_u32_f32_e32 v1, v1
	s_waitcnt lgkmcnt(0)
	s_mul_i32 s11, s19, s15
	s_addc_u32 s9, s25, s9
	s_sub_i32 s15, 0, s10
	v_mul_lo_u32 v3, s15, v1
	v_rcp_iflag_f32_e32 v4, v2
	v_mul_hi_u32 v2, v1, v3
	v_cvt_f32_u32_e32 v3, s13
	v_add_u32_e32 v2, v1, v2
	v_mul_f32_e32 v1, 0x4f7ffffe, v4
	v_cvt_u32_f32_e32 v4, v1
	v_rcp_iflag_f32_e32 v3, v3
	s_sub_i32 s16, 0, s12
                                        ; kill: killed $sgpr0 killed $sgpr1
	s_mov_b64 s[0:1], 0
	v_mul_lo_u32 v5, s16, v4
	v_mul_f32_e32 v3, 0x4f7ffffe, v3
	v_cvt_u32_f32_e32 v6, v3
	v_mul_hi_u32 v3, v4, v5
	s_sub_i32 s16, 0, s13
	v_add_u32_e32 v3, v4, v3
	v_mul_lo_u32 v4, s16, v6
	v_mul_hi_u32 v4, v6, v4
	v_mov_b32_e32 v1, 0
	v_add_u32_e32 v4, v6, v4
                                        ; kill: killed $sgpr22 killed $sgpr23
.LBB195_2:                              ; =>This Inner Loop Header: Depth=1
	v_lshl_add_u64 v[6:7], v[0:1], 4, s[2:3]
	global_load_dwordx4 v[6:9], v[6:7], off
	v_mul_hi_u32 v5, v2, v0
	v_mul_lo_u32 v10, s10, v5
	v_not_b32_e32 v12, v5
	v_sub_u32_e32 v10, v0, v10
	v_add_u32_e32 v14, 1, v5
	v_mad_u64_u32 v[12:13], s[16:17], s10, v12, v[0:1]
	v_cmp_le_u32_e32 vcc, s10, v10
	v_mov_b32_e32 v11, v1
	s_nop 0
	v_cndmask_b32_e32 v5, v5, v14, vcc
	v_cndmask_b32_e32 v10, v10, v12, vcc
	v_add_u32_e32 v12, 1, v5
	v_cmp_le_u32_e32 vcc, s10, v10
	s_nop 1
	v_cndmask_b32_e32 v5, v5, v12, vcc
	v_mul_hi_u32 v14, v5, v3
	v_mad_u64_u32 v[12:13], s[16:17], s15, v5, v[0:1]
	v_add_u32_e32 v0, s11, v0
	v_mul_lo_u32 v13, v14, s12
	v_mul_lo_u32 v10, v12, s7
	v_cmp_le_u32_e32 vcc, s14, v0
	v_sub_u32_e32 v12, v5, v13
	v_add_u32_e32 v15, 1, v14
	s_or_b64 s[0:1], vcc, s[0:1]
	v_cmp_le_u32_e32 vcc, s12, v12
	s_nop 1
	v_cndmask_b32_e32 v13, v14, v15, vcc
	v_subrev_u32_e32 v14, s12, v12
	v_cndmask_b32_e32 v12, v12, v14, vcc
	v_add_u32_e32 v14, 1, v13
	v_cmp_le_u32_e32 vcc, s12, v12
	s_nop 1
	v_cndmask_b32_e32 v14, v13, v14, vcc
	v_mul_lo_u32 v12, v14, s12
	v_mul_hi_u32 v13, v14, v4
	v_sub_u32_e32 v5, v5, v12
	v_mul_lo_u32 v12, v13, s13
	v_sub_u32_e32 v12, v14, v12
	v_add_u32_e32 v15, 1, v13
	v_cmp_le_u32_e32 vcc, s13, v12
	v_mul_lo_u32 v5, v5, s6
	s_nop 0
	v_cndmask_b32_e32 v13, v13, v15, vcc
	v_subrev_u32_e32 v15, s13, v12
	v_cndmask_b32_e32 v12, v12, v15, vcc
	v_add_u32_e32 v15, 1, v13
	v_cmp_le_u32_e32 vcc, s13, v12
	s_nop 1
	v_cndmask_b32_e32 v12, v13, v15, vcc
	v_mul_lo_u32 v15, v12, s13
	v_mad_u64_u32 v[12:13], s[16:17], v12, s4, v[10:11]
	v_sub_u32_e32 v10, v14, v15
	v_mul_lo_u32 v10, v10, s5
	v_add3_u32 v10, v12, v5, v10
	v_lshl_add_u64 v[10:11], v[10:11], 4, s[8:9]
	s_waitcnt vmcnt(0)
	global_store_dwordx4 v[10:11], v[6:9], off
	s_andn2_b64 exec, exec, s[0:1]
	s_cbranch_execnz .LBB195_2
.LBB195_3:
	s_endpgm
	.section	.rodata,"a",@progbits
	.p2align	6, 0x0
	.amdhsa_kernel _ZN2at6native12_GLOBAL__N_130CatArrayBatchedCopy_vectorizedINS1_10OpaqueTypeILj16EEEjLi4ELi64ELi64ELi16ELi1EEEvPcNS1_25CatArrInputTensorMetadataIT_T0_XT2_EXT3_EEENS1_16TensorSizeStrideIS8_Lj4EEEiS8_
		.amdhsa_group_segment_fixed_size 0
		.amdhsa_private_segment_fixed_size 0
		.amdhsa_kernarg_size 3696
		.amdhsa_user_sgpr_count 2
		.amdhsa_user_sgpr_dispatch_ptr 0
		.amdhsa_user_sgpr_queue_ptr 0
		.amdhsa_user_sgpr_kernarg_segment_ptr 1
		.amdhsa_user_sgpr_dispatch_id 0
		.amdhsa_user_sgpr_kernarg_preload_length 0
		.amdhsa_user_sgpr_kernarg_preload_offset 0
		.amdhsa_user_sgpr_private_segment_size 0
		.amdhsa_uses_dynamic_stack 0
		.amdhsa_enable_private_segment 0
		.amdhsa_system_sgpr_workgroup_id_x 1
		.amdhsa_system_sgpr_workgroup_id_y 1
		.amdhsa_system_sgpr_workgroup_id_z 0
		.amdhsa_system_sgpr_workgroup_info 0
		.amdhsa_system_vgpr_workitem_id 0
		.amdhsa_next_free_vgpr 16
		.amdhsa_next_free_sgpr 27
		.amdhsa_accum_offset 16
		.amdhsa_reserve_vcc 1
		.amdhsa_float_round_mode_32 0
		.amdhsa_float_round_mode_16_64 0
		.amdhsa_float_denorm_mode_32 3
		.amdhsa_float_denorm_mode_16_64 3
		.amdhsa_dx10_clamp 1
		.amdhsa_ieee_mode 1
		.amdhsa_fp16_overflow 0
		.amdhsa_tg_split 0
		.amdhsa_exception_fp_ieee_invalid_op 0
		.amdhsa_exception_fp_denorm_src 0
		.amdhsa_exception_fp_ieee_div_zero 0
		.amdhsa_exception_fp_ieee_overflow 0
		.amdhsa_exception_fp_ieee_underflow 0
		.amdhsa_exception_fp_ieee_inexact 0
		.amdhsa_exception_int_div_zero 0
	.end_amdhsa_kernel
	.section	.text._ZN2at6native12_GLOBAL__N_130CatArrayBatchedCopy_vectorizedINS1_10OpaqueTypeILj16EEEjLi4ELi64ELi64ELi16ELi1EEEvPcNS1_25CatArrInputTensorMetadataIT_T0_XT2_EXT3_EEENS1_16TensorSizeStrideIS8_Lj4EEEiS8_,"axG",@progbits,_ZN2at6native12_GLOBAL__N_130CatArrayBatchedCopy_vectorizedINS1_10OpaqueTypeILj16EEEjLi4ELi64ELi64ELi16ELi1EEEvPcNS1_25CatArrInputTensorMetadataIT_T0_XT2_EXT3_EEENS1_16TensorSizeStrideIS8_Lj4EEEiS8_,comdat
.Lfunc_end195:
	.size	_ZN2at6native12_GLOBAL__N_130CatArrayBatchedCopy_vectorizedINS1_10OpaqueTypeILj16EEEjLi4ELi64ELi64ELi16ELi1EEEvPcNS1_25CatArrInputTensorMetadataIT_T0_XT2_EXT3_EEENS1_16TensorSizeStrideIS8_Lj4EEEiS8_, .Lfunc_end195-_ZN2at6native12_GLOBAL__N_130CatArrayBatchedCopy_vectorizedINS1_10OpaqueTypeILj16EEEjLi4ELi64ELi64ELi16ELi1EEEvPcNS1_25CatArrInputTensorMetadataIT_T0_XT2_EXT3_EEENS1_16TensorSizeStrideIS8_Lj4EEEiS8_
                                        ; -- End function
	.set _ZN2at6native12_GLOBAL__N_130CatArrayBatchedCopy_vectorizedINS1_10OpaqueTypeILj16EEEjLi4ELi64ELi64ELi16ELi1EEEvPcNS1_25CatArrInputTensorMetadataIT_T0_XT2_EXT3_EEENS1_16TensorSizeStrideIS8_Lj4EEEiS8_.num_vgpr, 16
	.set _ZN2at6native12_GLOBAL__N_130CatArrayBatchedCopy_vectorizedINS1_10OpaqueTypeILj16EEEjLi4ELi64ELi64ELi16ELi1EEEvPcNS1_25CatArrInputTensorMetadataIT_T0_XT2_EXT3_EEENS1_16TensorSizeStrideIS8_Lj4EEEiS8_.num_agpr, 0
	.set _ZN2at6native12_GLOBAL__N_130CatArrayBatchedCopy_vectorizedINS1_10OpaqueTypeILj16EEEjLi4ELi64ELi64ELi16ELi1EEEvPcNS1_25CatArrInputTensorMetadataIT_T0_XT2_EXT3_EEENS1_16TensorSizeStrideIS8_Lj4EEEiS8_.numbered_sgpr, 27
	.set _ZN2at6native12_GLOBAL__N_130CatArrayBatchedCopy_vectorizedINS1_10OpaqueTypeILj16EEEjLi4ELi64ELi64ELi16ELi1EEEvPcNS1_25CatArrInputTensorMetadataIT_T0_XT2_EXT3_EEENS1_16TensorSizeStrideIS8_Lj4EEEiS8_.num_named_barrier, 0
	.set _ZN2at6native12_GLOBAL__N_130CatArrayBatchedCopy_vectorizedINS1_10OpaqueTypeILj16EEEjLi4ELi64ELi64ELi16ELi1EEEvPcNS1_25CatArrInputTensorMetadataIT_T0_XT2_EXT3_EEENS1_16TensorSizeStrideIS8_Lj4EEEiS8_.private_seg_size, 0
	.set _ZN2at6native12_GLOBAL__N_130CatArrayBatchedCopy_vectorizedINS1_10OpaqueTypeILj16EEEjLi4ELi64ELi64ELi16ELi1EEEvPcNS1_25CatArrInputTensorMetadataIT_T0_XT2_EXT3_EEENS1_16TensorSizeStrideIS8_Lj4EEEiS8_.uses_vcc, 1
	.set _ZN2at6native12_GLOBAL__N_130CatArrayBatchedCopy_vectorizedINS1_10OpaqueTypeILj16EEEjLi4ELi64ELi64ELi16ELi1EEEvPcNS1_25CatArrInputTensorMetadataIT_T0_XT2_EXT3_EEENS1_16TensorSizeStrideIS8_Lj4EEEiS8_.uses_flat_scratch, 0
	.set _ZN2at6native12_GLOBAL__N_130CatArrayBatchedCopy_vectorizedINS1_10OpaqueTypeILj16EEEjLi4ELi64ELi64ELi16ELi1EEEvPcNS1_25CatArrInputTensorMetadataIT_T0_XT2_EXT3_EEENS1_16TensorSizeStrideIS8_Lj4EEEiS8_.has_dyn_sized_stack, 0
	.set _ZN2at6native12_GLOBAL__N_130CatArrayBatchedCopy_vectorizedINS1_10OpaqueTypeILj16EEEjLi4ELi64ELi64ELi16ELi1EEEvPcNS1_25CatArrInputTensorMetadataIT_T0_XT2_EXT3_EEENS1_16TensorSizeStrideIS8_Lj4EEEiS8_.has_recursion, 0
	.set _ZN2at6native12_GLOBAL__N_130CatArrayBatchedCopy_vectorizedINS1_10OpaqueTypeILj16EEEjLi4ELi64ELi64ELi16ELi1EEEvPcNS1_25CatArrInputTensorMetadataIT_T0_XT2_EXT3_EEENS1_16TensorSizeStrideIS8_Lj4EEEiS8_.has_indirect_call, 0
	.section	.AMDGPU.csdata,"",@progbits
; Kernel info:
; codeLenInByte = 700
; TotalNumSgprs: 33
; NumVgprs: 16
; NumAgprs: 0
; TotalNumVgprs: 16
; ScratchSize: 0
; MemoryBound: 0
; FloatMode: 240
; IeeeMode: 1
; LDSByteSize: 0 bytes/workgroup (compile time only)
; SGPRBlocks: 4
; VGPRBlocks: 1
; NumSGPRsForWavesPerEU: 33
; NumVGPRsForWavesPerEU: 16
; AccumOffset: 16
; Occupancy: 8
; WaveLimiterHint : 1
; COMPUTE_PGM_RSRC2:SCRATCH_EN: 0
; COMPUTE_PGM_RSRC2:USER_SGPR: 2
; COMPUTE_PGM_RSRC2:TRAP_HANDLER: 0
; COMPUTE_PGM_RSRC2:TGID_X_EN: 1
; COMPUTE_PGM_RSRC2:TGID_Y_EN: 1
; COMPUTE_PGM_RSRC2:TGID_Z_EN: 0
; COMPUTE_PGM_RSRC2:TIDIG_COMP_CNT: 0
; COMPUTE_PGM_RSRC3_GFX90A:ACCUM_OFFSET: 3
; COMPUTE_PGM_RSRC3_GFX90A:TG_SPLIT: 0
	.section	.text._ZN2at6native12_GLOBAL__N_135CatArrayBatchedCopy_alignedK_contigINS1_10OpaqueTypeILj16EEEjLi4ELi64ELi64ELi16EEEvPT_NS1_25CatArrInputTensorMetadataIS5_T0_XT2_EXT3_EEENS1_16TensorSizeStrideIS8_Lj4EEEiS8_,"axG",@progbits,_ZN2at6native12_GLOBAL__N_135CatArrayBatchedCopy_alignedK_contigINS1_10OpaqueTypeILj16EEEjLi4ELi64ELi64ELi16EEEvPT_NS1_25CatArrInputTensorMetadataIS5_T0_XT2_EXT3_EEENS1_16TensorSizeStrideIS8_Lj4EEEiS8_,comdat
	.globl	_ZN2at6native12_GLOBAL__N_135CatArrayBatchedCopy_alignedK_contigINS1_10OpaqueTypeILj16EEEjLi4ELi64ELi64ELi16EEEvPT_NS1_25CatArrInputTensorMetadataIS5_T0_XT2_EXT3_EEENS1_16TensorSizeStrideIS8_Lj4EEEiS8_ ; -- Begin function _ZN2at6native12_GLOBAL__N_135CatArrayBatchedCopy_alignedK_contigINS1_10OpaqueTypeILj16EEEjLi4ELi64ELi64ELi16EEEvPT_NS1_25CatArrInputTensorMetadataIS5_T0_XT2_EXT3_EEENS1_16TensorSizeStrideIS8_Lj4EEEiS8_
	.p2align	8
	.type	_ZN2at6native12_GLOBAL__N_135CatArrayBatchedCopy_alignedK_contigINS1_10OpaqueTypeILj16EEEjLi4ELi64ELi64ELi16EEEvPT_NS1_25CatArrInputTensorMetadataIS5_T0_XT2_EXT3_EEENS1_16TensorSizeStrideIS8_Lj4EEEiS8_,@function
_ZN2at6native12_GLOBAL__N_135CatArrayBatchedCopy_alignedK_contigINS1_10OpaqueTypeILj16EEEjLi4ELi64ELi64ELi16EEEvPT_NS1_25CatArrInputTensorMetadataIS5_T0_XT2_EXT3_EEENS1_16TensorSizeStrideIS8_Lj4EEEiS8_: ; @_ZN2at6native12_GLOBAL__N_135CatArrayBatchedCopy_alignedK_contigINS1_10OpaqueTypeILj16EEEjLi4ELi64ELi64ELi16EEEvPT_NS1_25CatArrInputTensorMetadataIS5_T0_XT2_EXT3_EEENS1_16TensorSizeStrideIS8_Lj4EEEiS8_
; %bb.0:
	s_mov_b32 s4, s3
	s_load_dword s3, s[0:1], 0xd7c
	s_add_u32 s14, s0, 0xd70
	s_mov_b32 s5, 0
	s_addc_u32 s15, s1, 0
	s_lshl_b64 s[12:13], s[4:5], 2
	s_waitcnt lgkmcnt(0)
	s_and_b32 s18, s3, 0xffff
	s_add_u32 s4, s0, s12
	s_addc_u32 s5, s1, s13
	s_load_dword s16, s[4:5], 0x408
	s_mul_i32 s2, s2, s18
	v_add_u32_e32 v2, s2, v0
	s_add_u32 s2, s4, 8
	s_addc_u32 s3, s5, 0
	s_waitcnt lgkmcnt(0)
	v_cmp_gt_u32_e32 vcc, s16, v2
	s_and_saveexec_b64 s[4:5], vcc
	s_cbranch_execz .LBB196_6
; %bb.1:
	s_add_u32 s20, s2, s12
	s_load_dwordx8 s[4:11], s[0:1], 0xd4c
	s_addc_u32 s21, s3, s13
	s_sub_u32 s2, 0, s12
	s_subb_u32 s3, 0, s13
	s_add_u32 s22, s20, s2
	s_addc_u32 s23, s21, s3
	s_load_dword s19, s[0:1], 0xd6c
	s_load_dwordx2 s[12:13], s[20:21], 0x0
	s_load_dword s17, s[22:23], 0x300
	s_load_dword s24, s[22:23], 0x200
	;; [unrolled: 1-line block ×3, first 2 shown]
	s_load_dwordx2 s[2:3], s[0:1], 0x0
	s_waitcnt lgkmcnt(0)
	s_cmp_eq_u32 s11, 3
	s_cselect_b32 s6, s17, s6
	v_cvt_f32_u32_e32 v0, s6
	s_cmp_eq_u32 s11, 2
	s_mul_i32 s14, s24, s19
	s_cselect_b32 s19, s17, s5
	v_rcp_iflag_f32_e32 v0, v0
	s_cmp_eq_u32 s11, 1
	s_cselect_b32 s20, s17, s4
	s_sub_i32 s15, 0, s6
	v_mul_f32_e32 v0, 0x4f7ffffe, v0
	v_cvt_u32_f32_e32 v0, v0
	v_cvt_f32_u32_e32 v1, s19
	s_sub_i32 s21, 0, s19
	v_mov_b32_e32 v5, 0
	v_mul_lo_u32 v3, s15, v0
	v_mul_hi_u32 v3, v0, v3
	v_add_u32_e32 v0, v0, v3
	v_cvt_f32_u32_e32 v3, s20
	v_rcp_iflag_f32_e32 v1, v1
	s_mul_i32 s18, s25, s18
	s_mov_b64 s[0:1], 0
	v_rcp_iflag_f32_e32 v3, v3
	v_mul_f32_e32 v1, 0x4f7ffffe, v1
	v_cvt_u32_f32_e32 v4, v1
	v_mov_b32_e32 v1, v5
	v_mul_f32_e32 v3, 0x4f7ffffe, v3
	v_cvt_u32_f32_e32 v7, v3
	v_mul_lo_u32 v6, s21, v4
	v_mul_hi_u32 v3, v4, v6
	s_sub_i32 s21, 0, s20
	v_add_u32_e32 v3, v4, v3
	v_mul_lo_u32 v4, s21, v7
	v_mul_hi_u32 v4, v7, v4
	v_add_u32_e32 v7, v7, v4
	v_add_u32_e32 v6, 1, v2
.LBB196_2:                              ; =>This Inner Loop Header: Depth=1
	v_add_u32_e32 v4, -1, v6
	v_lshl_add_u64 v[8:9], v[4:5], 4, s[12:13]
	global_load_dwordx4 v[8:11], v[8:9], off
	v_mul_hi_u32 v12, v0, v2
	v_add_u32_e32 v6, s18, v6
	v_mul_lo_u32 v13, s6, v12
	v_not_b32_e32 v12, v12
	v_mul_hi_u32 v14, v4, v0
	v_cmp_lt_u32_e32 vcc, s16, v6
	v_sub_u32_e32 v15, v2, v13
	v_mad_u64_u32 v[12:13], s[22:23], s6, v12, v[2:3]
	v_add_u32_e32 v13, 1, v14
	s_or_b64 s[0:1], vcc, s[0:1]
	v_cmp_le_u32_e32 vcc, s6, v15
	v_add_u32_e32 v2, s18, v2
	s_nop 0
	v_cndmask_b32_e32 v13, v14, v13, vcc
	v_cndmask_b32_e32 v12, v15, v12, vcc
	v_add_u32_e32 v14, 1, v13
	v_cmp_le_u32_e32 vcc, s6, v12
	s_nop 1
	v_cndmask_b32_e32 v14, v13, v14, vcc
	v_mul_hi_u32 v15, v14, v3
	v_mad_u64_u32 v[12:13], s[22:23], s15, v14, v[4:5]
	v_mul_lo_u32 v4, v15, s19
	v_sub_u32_e32 v4, v14, v4
	v_add_u32_e32 v13, 1, v15
	v_cmp_le_u32_e32 vcc, s19, v4
	v_mul_lo_u32 v12, v12, s10
	s_nop 0
	v_cndmask_b32_e32 v13, v15, v13, vcc
	v_subrev_u32_e32 v15, s19, v4
	v_cndmask_b32_e32 v4, v4, v15, vcc
	v_add_u32_e32 v15, 1, v13
	v_cmp_le_u32_e32 vcc, s19, v4
	s_nop 1
	v_cndmask_b32_e32 v4, v13, v15, vcc
	v_mul_lo_u32 v13, v4, s19
	v_mul_hi_u32 v15, v4, v7
	v_sub_u32_e32 v13, v14, v13
	v_mul_lo_u32 v14, v15, s20
	v_sub_u32_e32 v14, v4, v14
	v_add_u32_e32 v16, 1, v15
	v_cmp_le_u32_e32 vcc, s20, v14
	v_mul_lo_u32 v13, v13, s9
	s_nop 0
	v_cndmask_b32_e32 v15, v15, v16, vcc
	v_subrev_u32_e32 v16, s20, v14
	v_cndmask_b32_e32 v14, v14, v16, vcc
	v_add_u32_e32 v16, 1, v15
	v_cmp_le_u32_e32 vcc, s20, v14
	s_nop 1
	v_cndmask_b32_e32 v14, v15, v16, vcc
	v_mul_lo_u32 v15, v14, s20
	v_mul_lo_u32 v14, v14, s7
	v_sub_u32_e32 v4, v4, v15
	v_add3_u32 v12, v14, v12, v13
	v_mul_lo_u32 v4, v4, s8
	v_add3_u32 v4, v12, v4, s14
	v_lshl_add_u64 v[12:13], v[4:5], 4, s[2:3]
	s_waitcnt vmcnt(0)
	global_store_dwordx4 v[12:13], v[8:11], off
	s_andn2_b64 exec, exec, s[0:1]
	s_cbranch_execnz .LBB196_2
; %bb.3:
	s_or_b64 exec, exec, s[0:1]
	v_add_u32_e32 v2, -1, v6
	v_cmp_gt_u32_e32 vcc, s16, v2
	s_and_b64 exec, exec, vcc
	s_cbranch_execz .LBB196_6
; %bb.4:
	s_cmp_eq_u32 s11, 2
	s_cselect_b32 s5, s17, s5
	v_cvt_f32_u32_e32 v3, s5
	s_cmp_eq_u32 s11, 1
	s_cselect_b32 s4, s17, s4
	v_cvt_f32_u32_e32 v4, s4
	v_rcp_iflag_f32_e32 v3, v3
	s_sub_i32 s0, 0, s5
	s_sub_i32 s1, 0, s4
	v_rcp_iflag_f32_e32 v4, v4
	v_mul_f32_e32 v3, 0x4f7ffffe, v3
	v_cvt_u32_f32_e32 v3, v3
	v_mov_b32_e32 v5, 0
	v_mul_f32_e32 v4, 0x4f7ffffe, v4
	v_cvt_u32_f32_e32 v4, v4
	v_mul_lo_u32 v6, s0, v3
	v_mul_hi_u32 v6, v3, v6
	v_add_u32_e32 v10, v3, v6
	v_mul_lo_u32 v3, s1, v4
	v_mul_hi_u32 v3, v4, v3
	v_add_u32_e32 v11, v4, v3
	v_mov_b32_e32 v3, v5
	v_mad_u64_u32 v[6:7], s[0:1], v0, v2, 0
	v_lshl_add_u64 v[8:9], v[2:3], 4, s[12:13]
	s_mov_b64 s[0:1], 0
.LBB196_5:                              ; =>This Inner Loop Header: Depth=1
	global_load_dwordx4 v[12:15], v[8:9], off
	v_not_b32_e32 v3, v7
	v_mul_lo_u32 v4, s6, v7
	v_mad_u64_u32 v[16:17], s[12:13], s6, v3, v[2:3]
	v_sub_u32_e32 v3, v2, v4
	v_add_u32_e32 v18, 1, v7
	v_cmp_le_u32_e32 vcc, s6, v3
	v_lshl_add_u64 v[8:9], v[8:9], 0, 16
	s_nop 0
	v_cndmask_b32_e32 v4, v7, v18, vcc
	v_cndmask_b32_e32 v3, v3, v16, vcc
	v_add_u32_e32 v16, 1, v4
	v_cmp_le_u32_e32 vcc, s6, v3
	v_lshl_add_u64 v[6:7], v[6:7], 0, v[0:1]
	s_nop 0
	v_cndmask_b32_e32 v3, v4, v16, vcc
	v_mul_hi_u32 v4, v3, v10
	v_mad_u64_u32 v[16:17], s[12:13], s15, v3, v[2:3]
	v_add_u32_e32 v2, 1, v2
	v_mul_lo_u32 v17, v4, s5
	v_cmp_le_u32_e32 vcc, s16, v2
	v_sub_u32_e32 v17, v3, v17
	v_add_u32_e32 v18, 1, v4
	s_or_b64 s[0:1], vcc, s[0:1]
	v_cmp_le_u32_e32 vcc, s5, v17
	v_mul_lo_u32 v16, v16, s10
	s_nop 0
	v_cndmask_b32_e32 v4, v4, v18, vcc
	v_subrev_u32_e32 v18, s5, v17
	v_cndmask_b32_e32 v17, v17, v18, vcc
	v_add_u32_e32 v18, 1, v4
	v_cmp_le_u32_e32 vcc, s5, v17
	s_nop 1
	v_cndmask_b32_e32 v4, v4, v18, vcc
	v_mul_hi_u32 v17, v4, v11
	v_mul_lo_u32 v18, v4, s5
	v_mul_lo_u32 v19, v17, s4
	v_sub_u32_e32 v3, v3, v18
	v_sub_u32_e32 v18, v4, v19
	v_add_u32_e32 v20, 1, v17
	v_cmp_le_u32_e32 vcc, s4, v18
	v_subrev_u32_e32 v19, s4, v18
	v_mul_lo_u32 v3, v3, s9
	v_cndmask_b32_e32 v17, v17, v20, vcc
	v_cndmask_b32_e32 v18, v18, v19, vcc
	v_add_u32_e32 v19, 1, v17
	v_cmp_le_u32_e32 vcc, s4, v18
	s_nop 1
	v_cndmask_b32_e32 v17, v17, v19, vcc
	v_mul_lo_u32 v18, v17, s4
	v_mul_lo_u32 v17, v17, s7
	v_sub_u32_e32 v4, v4, v18
	v_add3_u32 v16, v16, s14, v17
	v_mul_lo_u32 v4, v4, s8
	v_add3_u32 v4, v16, v3, v4
	v_lshl_add_u64 v[16:17], v[4:5], 4, s[2:3]
	s_waitcnt vmcnt(0)
	global_store_dwordx4 v[16:17], v[12:15], off
	s_andn2_b64 exec, exec, s[0:1]
	s_cbranch_execnz .LBB196_5
.LBB196_6:
	s_endpgm
	.section	.rodata,"a",@progbits
	.p2align	6, 0x0
	.amdhsa_kernel _ZN2at6native12_GLOBAL__N_135CatArrayBatchedCopy_alignedK_contigINS1_10OpaqueTypeILj16EEEjLi4ELi64ELi64ELi16EEEvPT_NS1_25CatArrInputTensorMetadataIS5_T0_XT2_EXT3_EEENS1_16TensorSizeStrideIS8_Lj4EEEiS8_
		.amdhsa_group_segment_fixed_size 0
		.amdhsa_private_segment_fixed_size 0
		.amdhsa_kernarg_size 3696
		.amdhsa_user_sgpr_count 2
		.amdhsa_user_sgpr_dispatch_ptr 0
		.amdhsa_user_sgpr_queue_ptr 0
		.amdhsa_user_sgpr_kernarg_segment_ptr 1
		.amdhsa_user_sgpr_dispatch_id 0
		.amdhsa_user_sgpr_kernarg_preload_length 0
		.amdhsa_user_sgpr_kernarg_preload_offset 0
		.amdhsa_user_sgpr_private_segment_size 0
		.amdhsa_uses_dynamic_stack 0
		.amdhsa_enable_private_segment 0
		.amdhsa_system_sgpr_workgroup_id_x 1
		.amdhsa_system_sgpr_workgroup_id_y 1
		.amdhsa_system_sgpr_workgroup_id_z 0
		.amdhsa_system_sgpr_workgroup_info 0
		.amdhsa_system_vgpr_workitem_id 0
		.amdhsa_next_free_vgpr 21
		.amdhsa_next_free_sgpr 26
		.amdhsa_accum_offset 24
		.amdhsa_reserve_vcc 1
		.amdhsa_float_round_mode_32 0
		.amdhsa_float_round_mode_16_64 0
		.amdhsa_float_denorm_mode_32 3
		.amdhsa_float_denorm_mode_16_64 3
		.amdhsa_dx10_clamp 1
		.amdhsa_ieee_mode 1
		.amdhsa_fp16_overflow 0
		.amdhsa_tg_split 0
		.amdhsa_exception_fp_ieee_invalid_op 0
		.amdhsa_exception_fp_denorm_src 0
		.amdhsa_exception_fp_ieee_div_zero 0
		.amdhsa_exception_fp_ieee_overflow 0
		.amdhsa_exception_fp_ieee_underflow 0
		.amdhsa_exception_fp_ieee_inexact 0
		.amdhsa_exception_int_div_zero 0
	.end_amdhsa_kernel
	.section	.text._ZN2at6native12_GLOBAL__N_135CatArrayBatchedCopy_alignedK_contigINS1_10OpaqueTypeILj16EEEjLi4ELi64ELi64ELi16EEEvPT_NS1_25CatArrInputTensorMetadataIS5_T0_XT2_EXT3_EEENS1_16TensorSizeStrideIS8_Lj4EEEiS8_,"axG",@progbits,_ZN2at6native12_GLOBAL__N_135CatArrayBatchedCopy_alignedK_contigINS1_10OpaqueTypeILj16EEEjLi4ELi64ELi64ELi16EEEvPT_NS1_25CatArrInputTensorMetadataIS5_T0_XT2_EXT3_EEENS1_16TensorSizeStrideIS8_Lj4EEEiS8_,comdat
.Lfunc_end196:
	.size	_ZN2at6native12_GLOBAL__N_135CatArrayBatchedCopy_alignedK_contigINS1_10OpaqueTypeILj16EEEjLi4ELi64ELi64ELi16EEEvPT_NS1_25CatArrInputTensorMetadataIS5_T0_XT2_EXT3_EEENS1_16TensorSizeStrideIS8_Lj4EEEiS8_, .Lfunc_end196-_ZN2at6native12_GLOBAL__N_135CatArrayBatchedCopy_alignedK_contigINS1_10OpaqueTypeILj16EEEjLi4ELi64ELi64ELi16EEEvPT_NS1_25CatArrInputTensorMetadataIS5_T0_XT2_EXT3_EEENS1_16TensorSizeStrideIS8_Lj4EEEiS8_
                                        ; -- End function
	.set _ZN2at6native12_GLOBAL__N_135CatArrayBatchedCopy_alignedK_contigINS1_10OpaqueTypeILj16EEEjLi4ELi64ELi64ELi16EEEvPT_NS1_25CatArrInputTensorMetadataIS5_T0_XT2_EXT3_EEENS1_16TensorSizeStrideIS8_Lj4EEEiS8_.num_vgpr, 21
	.set _ZN2at6native12_GLOBAL__N_135CatArrayBatchedCopy_alignedK_contigINS1_10OpaqueTypeILj16EEEjLi4ELi64ELi64ELi16EEEvPT_NS1_25CatArrInputTensorMetadataIS5_T0_XT2_EXT3_EEENS1_16TensorSizeStrideIS8_Lj4EEEiS8_.num_agpr, 0
	.set _ZN2at6native12_GLOBAL__N_135CatArrayBatchedCopy_alignedK_contigINS1_10OpaqueTypeILj16EEEjLi4ELi64ELi64ELi16EEEvPT_NS1_25CatArrInputTensorMetadataIS5_T0_XT2_EXT3_EEENS1_16TensorSizeStrideIS8_Lj4EEEiS8_.numbered_sgpr, 26
	.set _ZN2at6native12_GLOBAL__N_135CatArrayBatchedCopy_alignedK_contigINS1_10OpaqueTypeILj16EEEjLi4ELi64ELi64ELi16EEEvPT_NS1_25CatArrInputTensorMetadataIS5_T0_XT2_EXT3_EEENS1_16TensorSizeStrideIS8_Lj4EEEiS8_.num_named_barrier, 0
	.set _ZN2at6native12_GLOBAL__N_135CatArrayBatchedCopy_alignedK_contigINS1_10OpaqueTypeILj16EEEjLi4ELi64ELi64ELi16EEEvPT_NS1_25CatArrInputTensorMetadataIS5_T0_XT2_EXT3_EEENS1_16TensorSizeStrideIS8_Lj4EEEiS8_.private_seg_size, 0
	.set _ZN2at6native12_GLOBAL__N_135CatArrayBatchedCopy_alignedK_contigINS1_10OpaqueTypeILj16EEEjLi4ELi64ELi64ELi16EEEvPT_NS1_25CatArrInputTensorMetadataIS5_T0_XT2_EXT3_EEENS1_16TensorSizeStrideIS8_Lj4EEEiS8_.uses_vcc, 1
	.set _ZN2at6native12_GLOBAL__N_135CatArrayBatchedCopy_alignedK_contigINS1_10OpaqueTypeILj16EEEjLi4ELi64ELi64ELi16EEEvPT_NS1_25CatArrInputTensorMetadataIS5_T0_XT2_EXT3_EEENS1_16TensorSizeStrideIS8_Lj4EEEiS8_.uses_flat_scratch, 0
	.set _ZN2at6native12_GLOBAL__N_135CatArrayBatchedCopy_alignedK_contigINS1_10OpaqueTypeILj16EEEjLi4ELi64ELi64ELi16EEEvPT_NS1_25CatArrInputTensorMetadataIS5_T0_XT2_EXT3_EEENS1_16TensorSizeStrideIS8_Lj4EEEiS8_.has_dyn_sized_stack, 0
	.set _ZN2at6native12_GLOBAL__N_135CatArrayBatchedCopy_alignedK_contigINS1_10OpaqueTypeILj16EEEjLi4ELi64ELi64ELi16EEEvPT_NS1_25CatArrInputTensorMetadataIS5_T0_XT2_EXT3_EEENS1_16TensorSizeStrideIS8_Lj4EEEiS8_.has_recursion, 0
	.set _ZN2at6native12_GLOBAL__N_135CatArrayBatchedCopy_alignedK_contigINS1_10OpaqueTypeILj16EEEjLi4ELi64ELi64ELi16EEEvPT_NS1_25CatArrInputTensorMetadataIS5_T0_XT2_EXT3_EEENS1_16TensorSizeStrideIS8_Lj4EEEiS8_.has_indirect_call, 0
	.section	.AMDGPU.csdata,"",@progbits
; Kernel info:
; codeLenInByte = 1172
; TotalNumSgprs: 32
; NumVgprs: 21
; NumAgprs: 0
; TotalNumVgprs: 21
; ScratchSize: 0
; MemoryBound: 0
; FloatMode: 240
; IeeeMode: 1
; LDSByteSize: 0 bytes/workgroup (compile time only)
; SGPRBlocks: 3
; VGPRBlocks: 2
; NumSGPRsForWavesPerEU: 32
; NumVGPRsForWavesPerEU: 21
; AccumOffset: 24
; Occupancy: 8
; WaveLimiterHint : 1
; COMPUTE_PGM_RSRC2:SCRATCH_EN: 0
; COMPUTE_PGM_RSRC2:USER_SGPR: 2
; COMPUTE_PGM_RSRC2:TRAP_HANDLER: 0
; COMPUTE_PGM_RSRC2:TGID_X_EN: 1
; COMPUTE_PGM_RSRC2:TGID_Y_EN: 1
; COMPUTE_PGM_RSRC2:TGID_Z_EN: 0
; COMPUTE_PGM_RSRC2:TIDIG_COMP_CNT: 0
; COMPUTE_PGM_RSRC3_GFX90A:ACCUM_OFFSET: 5
; COMPUTE_PGM_RSRC3_GFX90A:TG_SPLIT: 0
	.section	.text._ZN2at6native12_GLOBAL__N_135CatArrayBatchedCopy_alignedK_contigINS1_10OpaqueTypeILj16EEEjLi4ELi64ELi64ELi8EEEvPT_NS1_25CatArrInputTensorMetadataIS5_T0_XT2_EXT3_EEENS1_16TensorSizeStrideIS8_Lj4EEEiS8_,"axG",@progbits,_ZN2at6native12_GLOBAL__N_135CatArrayBatchedCopy_alignedK_contigINS1_10OpaqueTypeILj16EEEjLi4ELi64ELi64ELi8EEEvPT_NS1_25CatArrInputTensorMetadataIS5_T0_XT2_EXT3_EEENS1_16TensorSizeStrideIS8_Lj4EEEiS8_,comdat
	.globl	_ZN2at6native12_GLOBAL__N_135CatArrayBatchedCopy_alignedK_contigINS1_10OpaqueTypeILj16EEEjLi4ELi64ELi64ELi8EEEvPT_NS1_25CatArrInputTensorMetadataIS5_T0_XT2_EXT3_EEENS1_16TensorSizeStrideIS8_Lj4EEEiS8_ ; -- Begin function _ZN2at6native12_GLOBAL__N_135CatArrayBatchedCopy_alignedK_contigINS1_10OpaqueTypeILj16EEEjLi4ELi64ELi64ELi8EEEvPT_NS1_25CatArrInputTensorMetadataIS5_T0_XT2_EXT3_EEENS1_16TensorSizeStrideIS8_Lj4EEEiS8_
	.p2align	8
	.type	_ZN2at6native12_GLOBAL__N_135CatArrayBatchedCopy_alignedK_contigINS1_10OpaqueTypeILj16EEEjLi4ELi64ELi64ELi8EEEvPT_NS1_25CatArrInputTensorMetadataIS5_T0_XT2_EXT3_EEENS1_16TensorSizeStrideIS8_Lj4EEEiS8_,@function
_ZN2at6native12_GLOBAL__N_135CatArrayBatchedCopy_alignedK_contigINS1_10OpaqueTypeILj16EEEjLi4ELi64ELi64ELi8EEEvPT_NS1_25CatArrInputTensorMetadataIS5_T0_XT2_EXT3_EEENS1_16TensorSizeStrideIS8_Lj4EEEiS8_: ; @_ZN2at6native12_GLOBAL__N_135CatArrayBatchedCopy_alignedK_contigINS1_10OpaqueTypeILj16EEEjLi4ELi64ELi64ELi8EEEvPT_NS1_25CatArrInputTensorMetadataIS5_T0_XT2_EXT3_EEENS1_16TensorSizeStrideIS8_Lj4EEEiS8_
; %bb.0:
	s_mov_b32 s4, s3
	s_load_dword s3, s[0:1], 0xd7c
	s_add_u32 s14, s0, 0xd70
	s_mov_b32 s5, 0
	s_addc_u32 s15, s1, 0
	s_lshl_b64 s[12:13], s[4:5], 2
	s_waitcnt lgkmcnt(0)
	s_and_b32 s18, s3, 0xffff
	s_add_u32 s4, s0, s12
	s_addc_u32 s5, s1, s13
	s_load_dword s16, s[4:5], 0x408
	s_mul_i32 s2, s2, s18
	v_add_u32_e32 v2, s2, v0
	s_add_u32 s2, s4, 8
	s_addc_u32 s3, s5, 0
	s_waitcnt lgkmcnt(0)
	v_cmp_gt_u32_e32 vcc, s16, v2
	s_and_saveexec_b64 s[4:5], vcc
	s_cbranch_execz .LBB197_6
; %bb.1:
	s_add_u32 s20, s2, s12
	s_load_dwordx8 s[4:11], s[0:1], 0xd4c
	s_addc_u32 s21, s3, s13
	s_sub_u32 s2, 0, s12
	s_subb_u32 s3, 0, s13
	s_add_u32 s22, s20, s2
	s_addc_u32 s23, s21, s3
	s_load_dword s19, s[0:1], 0xd6c
	s_load_dwordx2 s[12:13], s[20:21], 0x0
	s_load_dword s17, s[22:23], 0x300
	s_load_dword s24, s[22:23], 0x200
	;; [unrolled: 1-line block ×3, first 2 shown]
	s_load_dwordx2 s[2:3], s[0:1], 0x0
	s_waitcnt lgkmcnt(0)
	s_cmp_eq_u32 s11, 3
	s_cselect_b32 s6, s17, s6
	v_cvt_f32_u32_e32 v0, s6
	s_cmp_eq_u32 s11, 2
	s_mul_i32 s14, s24, s19
	s_cselect_b32 s19, s17, s5
	v_rcp_iflag_f32_e32 v0, v0
	s_cmp_eq_u32 s11, 1
	s_cselect_b32 s20, s17, s4
	s_sub_i32 s15, 0, s6
	v_mul_f32_e32 v0, 0x4f7ffffe, v0
	v_cvt_u32_f32_e32 v0, v0
	v_cvt_f32_u32_e32 v1, s19
	s_sub_i32 s21, 0, s19
	v_mov_b32_e32 v5, 0
	v_mul_lo_u32 v3, s15, v0
	v_mul_hi_u32 v3, v0, v3
	v_add_u32_e32 v0, v0, v3
	v_cvt_f32_u32_e32 v3, s20
	v_rcp_iflag_f32_e32 v1, v1
	s_mul_i32 s18, s25, s18
	s_mov_b64 s[0:1], 0
	v_rcp_iflag_f32_e32 v3, v3
	v_mul_f32_e32 v1, 0x4f7ffffe, v1
	v_cvt_u32_f32_e32 v4, v1
	v_mov_b32_e32 v1, v5
	v_mul_f32_e32 v3, 0x4f7ffffe, v3
	v_cvt_u32_f32_e32 v7, v3
	v_mul_lo_u32 v6, s21, v4
	v_mul_hi_u32 v3, v4, v6
	s_sub_i32 s21, 0, s20
	v_add_u32_e32 v3, v4, v3
	v_mul_lo_u32 v4, s21, v7
	v_mul_hi_u32 v4, v7, v4
	v_add_u32_e32 v7, v7, v4
	v_add_u32_e32 v6, 1, v2
.LBB197_2:                              ; =>This Inner Loop Header: Depth=1
	v_add_u32_e32 v4, -1, v6
	v_lshl_add_u64 v[8:9], v[4:5], 4, s[12:13]
	global_load_dwordx4 v[8:11], v[8:9], off
	v_mul_hi_u32 v12, v0, v2
	v_add_u32_e32 v6, s18, v6
	v_mul_lo_u32 v13, s6, v12
	v_not_b32_e32 v12, v12
	v_mul_hi_u32 v14, v4, v0
	v_cmp_lt_u32_e32 vcc, s16, v6
	v_sub_u32_e32 v15, v2, v13
	v_mad_u64_u32 v[12:13], s[22:23], s6, v12, v[2:3]
	v_add_u32_e32 v13, 1, v14
	s_or_b64 s[0:1], vcc, s[0:1]
	v_cmp_le_u32_e32 vcc, s6, v15
	v_add_u32_e32 v2, s18, v2
	s_nop 0
	v_cndmask_b32_e32 v13, v14, v13, vcc
	v_cndmask_b32_e32 v12, v15, v12, vcc
	v_add_u32_e32 v14, 1, v13
	v_cmp_le_u32_e32 vcc, s6, v12
	s_nop 1
	v_cndmask_b32_e32 v14, v13, v14, vcc
	v_mul_hi_u32 v15, v14, v3
	v_mad_u64_u32 v[12:13], s[22:23], s15, v14, v[4:5]
	v_mul_lo_u32 v4, v15, s19
	v_sub_u32_e32 v4, v14, v4
	v_add_u32_e32 v13, 1, v15
	v_cmp_le_u32_e32 vcc, s19, v4
	v_mul_lo_u32 v12, v12, s10
	s_nop 0
	v_cndmask_b32_e32 v13, v15, v13, vcc
	v_subrev_u32_e32 v15, s19, v4
	v_cndmask_b32_e32 v4, v4, v15, vcc
	v_add_u32_e32 v15, 1, v13
	v_cmp_le_u32_e32 vcc, s19, v4
	s_nop 1
	v_cndmask_b32_e32 v4, v13, v15, vcc
	v_mul_lo_u32 v13, v4, s19
	v_mul_hi_u32 v15, v4, v7
	v_sub_u32_e32 v13, v14, v13
	v_mul_lo_u32 v14, v15, s20
	v_sub_u32_e32 v14, v4, v14
	v_add_u32_e32 v16, 1, v15
	v_cmp_le_u32_e32 vcc, s20, v14
	v_mul_lo_u32 v13, v13, s9
	s_nop 0
	v_cndmask_b32_e32 v15, v15, v16, vcc
	v_subrev_u32_e32 v16, s20, v14
	v_cndmask_b32_e32 v14, v14, v16, vcc
	v_add_u32_e32 v16, 1, v15
	v_cmp_le_u32_e32 vcc, s20, v14
	s_nop 1
	v_cndmask_b32_e32 v14, v15, v16, vcc
	v_mul_lo_u32 v15, v14, s20
	v_mul_lo_u32 v14, v14, s7
	v_sub_u32_e32 v4, v4, v15
	v_add3_u32 v12, v14, v12, v13
	v_mul_lo_u32 v4, v4, s8
	v_add3_u32 v4, v12, v4, s14
	v_lshl_add_u64 v[12:13], v[4:5], 4, s[2:3]
	s_waitcnt vmcnt(0)
	global_store_dwordx4 v[12:13], v[8:11], off
	s_andn2_b64 exec, exec, s[0:1]
	s_cbranch_execnz .LBB197_2
; %bb.3:
	s_or_b64 exec, exec, s[0:1]
	v_add_u32_e32 v2, -1, v6
	v_cmp_gt_u32_e32 vcc, s16, v2
	s_and_b64 exec, exec, vcc
	s_cbranch_execz .LBB197_6
; %bb.4:
	s_cmp_eq_u32 s11, 2
	s_cselect_b32 s5, s17, s5
	v_cvt_f32_u32_e32 v3, s5
	s_cmp_eq_u32 s11, 1
	s_cselect_b32 s4, s17, s4
	v_cvt_f32_u32_e32 v4, s4
	v_rcp_iflag_f32_e32 v3, v3
	s_sub_i32 s0, 0, s5
	s_sub_i32 s1, 0, s4
	v_rcp_iflag_f32_e32 v4, v4
	v_mul_f32_e32 v3, 0x4f7ffffe, v3
	v_cvt_u32_f32_e32 v3, v3
	v_mov_b32_e32 v5, 0
	v_mul_f32_e32 v4, 0x4f7ffffe, v4
	v_cvt_u32_f32_e32 v4, v4
	v_mul_lo_u32 v6, s0, v3
	v_mul_hi_u32 v6, v3, v6
	v_add_u32_e32 v10, v3, v6
	v_mul_lo_u32 v3, s1, v4
	v_mul_hi_u32 v3, v4, v3
	v_add_u32_e32 v11, v4, v3
	v_mov_b32_e32 v3, v5
	v_mad_u64_u32 v[6:7], s[0:1], v0, v2, 0
	v_lshl_add_u64 v[8:9], v[2:3], 4, s[12:13]
	s_mov_b64 s[0:1], 0
.LBB197_5:                              ; =>This Inner Loop Header: Depth=1
	global_load_dwordx4 v[12:15], v[8:9], off
	v_not_b32_e32 v3, v7
	v_mul_lo_u32 v4, s6, v7
	v_mad_u64_u32 v[16:17], s[12:13], s6, v3, v[2:3]
	v_sub_u32_e32 v3, v2, v4
	v_add_u32_e32 v18, 1, v7
	v_cmp_le_u32_e32 vcc, s6, v3
	v_lshl_add_u64 v[8:9], v[8:9], 0, 16
	s_nop 0
	v_cndmask_b32_e32 v4, v7, v18, vcc
	v_cndmask_b32_e32 v3, v3, v16, vcc
	v_add_u32_e32 v16, 1, v4
	v_cmp_le_u32_e32 vcc, s6, v3
	v_lshl_add_u64 v[6:7], v[6:7], 0, v[0:1]
	s_nop 0
	v_cndmask_b32_e32 v3, v4, v16, vcc
	v_mul_hi_u32 v4, v3, v10
	v_mad_u64_u32 v[16:17], s[12:13], s15, v3, v[2:3]
	v_add_u32_e32 v2, 1, v2
	v_mul_lo_u32 v17, v4, s5
	v_cmp_le_u32_e32 vcc, s16, v2
	v_sub_u32_e32 v17, v3, v17
	v_add_u32_e32 v18, 1, v4
	s_or_b64 s[0:1], vcc, s[0:1]
	v_cmp_le_u32_e32 vcc, s5, v17
	v_mul_lo_u32 v16, v16, s10
	s_nop 0
	v_cndmask_b32_e32 v4, v4, v18, vcc
	v_subrev_u32_e32 v18, s5, v17
	v_cndmask_b32_e32 v17, v17, v18, vcc
	v_add_u32_e32 v18, 1, v4
	v_cmp_le_u32_e32 vcc, s5, v17
	s_nop 1
	v_cndmask_b32_e32 v4, v4, v18, vcc
	v_mul_hi_u32 v17, v4, v11
	v_mul_lo_u32 v18, v4, s5
	v_mul_lo_u32 v19, v17, s4
	v_sub_u32_e32 v3, v3, v18
	v_sub_u32_e32 v18, v4, v19
	v_add_u32_e32 v20, 1, v17
	v_cmp_le_u32_e32 vcc, s4, v18
	v_subrev_u32_e32 v19, s4, v18
	v_mul_lo_u32 v3, v3, s9
	v_cndmask_b32_e32 v17, v17, v20, vcc
	v_cndmask_b32_e32 v18, v18, v19, vcc
	v_add_u32_e32 v19, 1, v17
	v_cmp_le_u32_e32 vcc, s4, v18
	s_nop 1
	v_cndmask_b32_e32 v17, v17, v19, vcc
	v_mul_lo_u32 v18, v17, s4
	v_mul_lo_u32 v17, v17, s7
	v_sub_u32_e32 v4, v4, v18
	v_add3_u32 v16, v16, s14, v17
	v_mul_lo_u32 v4, v4, s8
	v_add3_u32 v4, v16, v3, v4
	v_lshl_add_u64 v[16:17], v[4:5], 4, s[2:3]
	s_waitcnt vmcnt(0)
	global_store_dwordx4 v[16:17], v[12:15], off
	s_andn2_b64 exec, exec, s[0:1]
	s_cbranch_execnz .LBB197_5
.LBB197_6:
	s_endpgm
	.section	.rodata,"a",@progbits
	.p2align	6, 0x0
	.amdhsa_kernel _ZN2at6native12_GLOBAL__N_135CatArrayBatchedCopy_alignedK_contigINS1_10OpaqueTypeILj16EEEjLi4ELi64ELi64ELi8EEEvPT_NS1_25CatArrInputTensorMetadataIS5_T0_XT2_EXT3_EEENS1_16TensorSizeStrideIS8_Lj4EEEiS8_
		.amdhsa_group_segment_fixed_size 0
		.amdhsa_private_segment_fixed_size 0
		.amdhsa_kernarg_size 3696
		.amdhsa_user_sgpr_count 2
		.amdhsa_user_sgpr_dispatch_ptr 0
		.amdhsa_user_sgpr_queue_ptr 0
		.amdhsa_user_sgpr_kernarg_segment_ptr 1
		.amdhsa_user_sgpr_dispatch_id 0
		.amdhsa_user_sgpr_kernarg_preload_length 0
		.amdhsa_user_sgpr_kernarg_preload_offset 0
		.amdhsa_user_sgpr_private_segment_size 0
		.amdhsa_uses_dynamic_stack 0
		.amdhsa_enable_private_segment 0
		.amdhsa_system_sgpr_workgroup_id_x 1
		.amdhsa_system_sgpr_workgroup_id_y 1
		.amdhsa_system_sgpr_workgroup_id_z 0
		.amdhsa_system_sgpr_workgroup_info 0
		.amdhsa_system_vgpr_workitem_id 0
		.amdhsa_next_free_vgpr 21
		.amdhsa_next_free_sgpr 26
		.amdhsa_accum_offset 24
		.amdhsa_reserve_vcc 1
		.amdhsa_float_round_mode_32 0
		.amdhsa_float_round_mode_16_64 0
		.amdhsa_float_denorm_mode_32 3
		.amdhsa_float_denorm_mode_16_64 3
		.amdhsa_dx10_clamp 1
		.amdhsa_ieee_mode 1
		.amdhsa_fp16_overflow 0
		.amdhsa_tg_split 0
		.amdhsa_exception_fp_ieee_invalid_op 0
		.amdhsa_exception_fp_denorm_src 0
		.amdhsa_exception_fp_ieee_div_zero 0
		.amdhsa_exception_fp_ieee_overflow 0
		.amdhsa_exception_fp_ieee_underflow 0
		.amdhsa_exception_fp_ieee_inexact 0
		.amdhsa_exception_int_div_zero 0
	.end_amdhsa_kernel
	.section	.text._ZN2at6native12_GLOBAL__N_135CatArrayBatchedCopy_alignedK_contigINS1_10OpaqueTypeILj16EEEjLi4ELi64ELi64ELi8EEEvPT_NS1_25CatArrInputTensorMetadataIS5_T0_XT2_EXT3_EEENS1_16TensorSizeStrideIS8_Lj4EEEiS8_,"axG",@progbits,_ZN2at6native12_GLOBAL__N_135CatArrayBatchedCopy_alignedK_contigINS1_10OpaqueTypeILj16EEEjLi4ELi64ELi64ELi8EEEvPT_NS1_25CatArrInputTensorMetadataIS5_T0_XT2_EXT3_EEENS1_16TensorSizeStrideIS8_Lj4EEEiS8_,comdat
.Lfunc_end197:
	.size	_ZN2at6native12_GLOBAL__N_135CatArrayBatchedCopy_alignedK_contigINS1_10OpaqueTypeILj16EEEjLi4ELi64ELi64ELi8EEEvPT_NS1_25CatArrInputTensorMetadataIS5_T0_XT2_EXT3_EEENS1_16TensorSizeStrideIS8_Lj4EEEiS8_, .Lfunc_end197-_ZN2at6native12_GLOBAL__N_135CatArrayBatchedCopy_alignedK_contigINS1_10OpaqueTypeILj16EEEjLi4ELi64ELi64ELi8EEEvPT_NS1_25CatArrInputTensorMetadataIS5_T0_XT2_EXT3_EEENS1_16TensorSizeStrideIS8_Lj4EEEiS8_
                                        ; -- End function
	.set _ZN2at6native12_GLOBAL__N_135CatArrayBatchedCopy_alignedK_contigINS1_10OpaqueTypeILj16EEEjLi4ELi64ELi64ELi8EEEvPT_NS1_25CatArrInputTensorMetadataIS5_T0_XT2_EXT3_EEENS1_16TensorSizeStrideIS8_Lj4EEEiS8_.num_vgpr, 21
	.set _ZN2at6native12_GLOBAL__N_135CatArrayBatchedCopy_alignedK_contigINS1_10OpaqueTypeILj16EEEjLi4ELi64ELi64ELi8EEEvPT_NS1_25CatArrInputTensorMetadataIS5_T0_XT2_EXT3_EEENS1_16TensorSizeStrideIS8_Lj4EEEiS8_.num_agpr, 0
	.set _ZN2at6native12_GLOBAL__N_135CatArrayBatchedCopy_alignedK_contigINS1_10OpaqueTypeILj16EEEjLi4ELi64ELi64ELi8EEEvPT_NS1_25CatArrInputTensorMetadataIS5_T0_XT2_EXT3_EEENS1_16TensorSizeStrideIS8_Lj4EEEiS8_.numbered_sgpr, 26
	.set _ZN2at6native12_GLOBAL__N_135CatArrayBatchedCopy_alignedK_contigINS1_10OpaqueTypeILj16EEEjLi4ELi64ELi64ELi8EEEvPT_NS1_25CatArrInputTensorMetadataIS5_T0_XT2_EXT3_EEENS1_16TensorSizeStrideIS8_Lj4EEEiS8_.num_named_barrier, 0
	.set _ZN2at6native12_GLOBAL__N_135CatArrayBatchedCopy_alignedK_contigINS1_10OpaqueTypeILj16EEEjLi4ELi64ELi64ELi8EEEvPT_NS1_25CatArrInputTensorMetadataIS5_T0_XT2_EXT3_EEENS1_16TensorSizeStrideIS8_Lj4EEEiS8_.private_seg_size, 0
	.set _ZN2at6native12_GLOBAL__N_135CatArrayBatchedCopy_alignedK_contigINS1_10OpaqueTypeILj16EEEjLi4ELi64ELi64ELi8EEEvPT_NS1_25CatArrInputTensorMetadataIS5_T0_XT2_EXT3_EEENS1_16TensorSizeStrideIS8_Lj4EEEiS8_.uses_vcc, 1
	.set _ZN2at6native12_GLOBAL__N_135CatArrayBatchedCopy_alignedK_contigINS1_10OpaqueTypeILj16EEEjLi4ELi64ELi64ELi8EEEvPT_NS1_25CatArrInputTensorMetadataIS5_T0_XT2_EXT3_EEENS1_16TensorSizeStrideIS8_Lj4EEEiS8_.uses_flat_scratch, 0
	.set _ZN2at6native12_GLOBAL__N_135CatArrayBatchedCopy_alignedK_contigINS1_10OpaqueTypeILj16EEEjLi4ELi64ELi64ELi8EEEvPT_NS1_25CatArrInputTensorMetadataIS5_T0_XT2_EXT3_EEENS1_16TensorSizeStrideIS8_Lj4EEEiS8_.has_dyn_sized_stack, 0
	.set _ZN2at6native12_GLOBAL__N_135CatArrayBatchedCopy_alignedK_contigINS1_10OpaqueTypeILj16EEEjLi4ELi64ELi64ELi8EEEvPT_NS1_25CatArrInputTensorMetadataIS5_T0_XT2_EXT3_EEENS1_16TensorSizeStrideIS8_Lj4EEEiS8_.has_recursion, 0
	.set _ZN2at6native12_GLOBAL__N_135CatArrayBatchedCopy_alignedK_contigINS1_10OpaqueTypeILj16EEEjLi4ELi64ELi64ELi8EEEvPT_NS1_25CatArrInputTensorMetadataIS5_T0_XT2_EXT3_EEENS1_16TensorSizeStrideIS8_Lj4EEEiS8_.has_indirect_call, 0
	.section	.AMDGPU.csdata,"",@progbits
; Kernel info:
; codeLenInByte = 1172
; TotalNumSgprs: 32
; NumVgprs: 21
; NumAgprs: 0
; TotalNumVgprs: 21
; ScratchSize: 0
; MemoryBound: 0
; FloatMode: 240
; IeeeMode: 1
; LDSByteSize: 0 bytes/workgroup (compile time only)
; SGPRBlocks: 3
; VGPRBlocks: 2
; NumSGPRsForWavesPerEU: 32
; NumVGPRsForWavesPerEU: 21
; AccumOffset: 24
; Occupancy: 8
; WaveLimiterHint : 1
; COMPUTE_PGM_RSRC2:SCRATCH_EN: 0
; COMPUTE_PGM_RSRC2:USER_SGPR: 2
; COMPUTE_PGM_RSRC2:TRAP_HANDLER: 0
; COMPUTE_PGM_RSRC2:TGID_X_EN: 1
; COMPUTE_PGM_RSRC2:TGID_Y_EN: 1
; COMPUTE_PGM_RSRC2:TGID_Z_EN: 0
; COMPUTE_PGM_RSRC2:TIDIG_COMP_CNT: 0
; COMPUTE_PGM_RSRC3_GFX90A:ACCUM_OFFSET: 5
; COMPUTE_PGM_RSRC3_GFX90A:TG_SPLIT: 0
	.section	.text._ZN2at6native12_GLOBAL__N_126CatArrayBatchedCopy_contigINS1_10OpaqueTypeILj16EEEjLi4ELi64ELi64EEEvPT_NS1_25CatArrInputTensorMetadataIS5_T0_XT2_EXT3_EEENS1_16TensorSizeStrideIS8_Lj4EEEiS8_,"axG",@progbits,_ZN2at6native12_GLOBAL__N_126CatArrayBatchedCopy_contigINS1_10OpaqueTypeILj16EEEjLi4ELi64ELi64EEEvPT_NS1_25CatArrInputTensorMetadataIS5_T0_XT2_EXT3_EEENS1_16TensorSizeStrideIS8_Lj4EEEiS8_,comdat
	.globl	_ZN2at6native12_GLOBAL__N_126CatArrayBatchedCopy_contigINS1_10OpaqueTypeILj16EEEjLi4ELi64ELi64EEEvPT_NS1_25CatArrInputTensorMetadataIS5_T0_XT2_EXT3_EEENS1_16TensorSizeStrideIS8_Lj4EEEiS8_ ; -- Begin function _ZN2at6native12_GLOBAL__N_126CatArrayBatchedCopy_contigINS1_10OpaqueTypeILj16EEEjLi4ELi64ELi64EEEvPT_NS1_25CatArrInputTensorMetadataIS5_T0_XT2_EXT3_EEENS1_16TensorSizeStrideIS8_Lj4EEEiS8_
	.p2align	8
	.type	_ZN2at6native12_GLOBAL__N_126CatArrayBatchedCopy_contigINS1_10OpaqueTypeILj16EEEjLi4ELi64ELi64EEEvPT_NS1_25CatArrInputTensorMetadataIS5_T0_XT2_EXT3_EEENS1_16TensorSizeStrideIS8_Lj4EEEiS8_,@function
_ZN2at6native12_GLOBAL__N_126CatArrayBatchedCopy_contigINS1_10OpaqueTypeILj16EEEjLi4ELi64ELi64EEEvPT_NS1_25CatArrInputTensorMetadataIS5_T0_XT2_EXT3_EEENS1_16TensorSizeStrideIS8_Lj4EEEiS8_: ; @_ZN2at6native12_GLOBAL__N_126CatArrayBatchedCopy_contigINS1_10OpaqueTypeILj16EEEjLi4ELi64ELi64EEEvPT_NS1_25CatArrInputTensorMetadataIS5_T0_XT2_EXT3_EEENS1_16TensorSizeStrideIS8_Lj4EEEiS8_
; %bb.0:
	s_mov_b32 s4, s3
	s_load_dword s3, s[0:1], 0xd7c
	s_add_u32 s16, s0, 0xd70
	s_mov_b32 s5, 0
	s_addc_u32 s17, s1, 0
	s_lshl_b64 s[14:15], s[4:5], 2
	s_waitcnt lgkmcnt(0)
	s_and_b32 s19, s3, 0xffff
	s_add_u32 s4, s0, s14
	s_addc_u32 s5, s1, s15
	s_load_dword s18, s[4:5], 0x408
	s_mul_i32 s2, s2, s19
	v_add_u32_e32 v0, s2, v0
	s_add_u32 s20, s4, 8
	s_addc_u32 s21, s5, 0
	s_waitcnt lgkmcnt(0)
	v_cmp_gt_u32_e32 vcc, s18, v0
	s_and_saveexec_b64 s[2:3], vcc
	s_cbranch_execz .LBB198_3
; %bb.1:
	s_add_u32 s20, s20, s14
	s_load_dwordx2 s[2:3], s[0:1], 0xd5c
	s_load_dwordx4 s[4:7], s[0:1], 0xd58
	s_load_dwordx2 s[12:13], s[0:1], 0x0
	s_load_dwordx4 s[8:11], s[0:1], 0xd4c
	s_addc_u32 s21, s21, s15
	s_waitcnt lgkmcnt(0)
	s_sub_u32 s5, 0, s14
	s_subb_u32 s6, 0, s15
	s_add_u32 s22, s20, s5
	s_addc_u32 s23, s21, s6
	s_load_dwordx2 s[24:25], s[0:1], 0xd68
	s_load_dwordx2 s[14:15], s[20:21], 0x0
	s_load_dword s11, s[22:23], 0x300
	s_load_dword s26, s[22:23], 0x200
	s_mov_b32 s5, s7
	s_waitcnt lgkmcnt(0)
	s_cmp_eq_u32 s24, 3
	s_load_dword s16, s[16:17], 0x0
	s_cselect_b32 s6, s11, s10
	v_cvt_f32_u32_e32 v1, s6
	s_cmp_eq_u32 s24, 2
	s_cselect_b32 s9, s11, s9
	v_cvt_f32_u32_e32 v2, s9
	v_rcp_iflag_f32_e32 v1, v1
	s_cmp_eq_u32 s24, 1
	s_cselect_b32 s8, s11, s8
	s_sub_i32 s11, 0, s6
	v_mul_f32_e32 v1, 0x4f7ffffe, v1
	v_cvt_u32_f32_e32 v1, v1
	v_rcp_iflag_f32_e32 v4, v2
	s_waitcnt lgkmcnt(0)
	s_mul_i32 s10, s16, s19
	s_sub_i32 s16, 0, s9
	v_mul_lo_u32 v3, s11, v1
	v_mul_hi_u32 v2, v1, v3
	v_cvt_f32_u32_e32 v3, s8
	v_add_u32_e32 v2, v1, v2
	v_mul_f32_e32 v1, 0x4f7ffffe, v4
	v_cvt_u32_f32_e32 v4, v1
	v_rcp_iflag_f32_e32 v3, v3
	s_mov_b64 s[0:1], 0
	s_mul_i32 s7, s26, s25
	v_mul_lo_u32 v5, s16, v4
	v_mul_f32_e32 v3, 0x4f7ffffe, v3
	v_cvt_u32_f32_e32 v6, v3
	v_mul_hi_u32 v3, v4, v5
	s_sub_i32 s16, 0, s8
	v_add_u32_e32 v3, v4, v3
	v_mul_lo_u32 v4, s16, v6
	v_mul_hi_u32 v4, v6, v4
	v_mov_b32_e32 v1, 0
	v_add_u32_e32 v4, v6, v4
.LBB198_2:                              ; =>This Inner Loop Header: Depth=1
	v_lshl_add_u64 v[6:7], v[0:1], 4, s[14:15]
	global_load_dwordx4 v[6:9], v[6:7], off
	v_mul_hi_u32 v5, v2, v0
	v_mul_lo_u32 v10, s6, v5
	v_not_b32_e32 v12, v5
	v_sub_u32_e32 v10, v0, v10
	v_add_u32_e32 v14, 1, v5
	v_mad_u64_u32 v[12:13], s[16:17], s6, v12, v[0:1]
	v_cmp_le_u32_e32 vcc, s6, v10
	v_mov_b32_e32 v11, v1
	s_nop 0
	v_cndmask_b32_e32 v5, v5, v14, vcc
	v_cndmask_b32_e32 v10, v10, v12, vcc
	v_add_u32_e32 v12, 1, v5
	v_cmp_le_u32_e32 vcc, s6, v10
	s_nop 1
	v_cndmask_b32_e32 v5, v5, v12, vcc
	v_mul_hi_u32 v10, v5, v3
	v_mad_u64_u32 v[12:13], s[16:17], s11, v5, v[0:1]
	v_add_u32_e32 v0, s10, v0
	v_mul_lo_u32 v13, v10, s9
	v_cmp_le_u32_e32 vcc, s18, v0
	v_sub_u32_e32 v13, v5, v13
	v_add_u32_e32 v14, 1, v10
	s_or_b64 s[0:1], vcc, s[0:1]
	v_cmp_le_u32_e32 vcc, s9, v13
	v_mul_lo_u32 v12, v12, s5
	s_nop 0
	v_cndmask_b32_e32 v10, v10, v14, vcc
	v_subrev_u32_e32 v14, s9, v13
	v_cndmask_b32_e32 v13, v13, v14, vcc
	v_add_u32_e32 v14, 1, v10
	v_cmp_le_u32_e32 vcc, s9, v13
	s_nop 1
	v_cndmask_b32_e32 v10, v10, v14, vcc
	v_mul_hi_u32 v13, v10, v4
	v_mul_lo_u32 v14, v10, s9
	v_mul_lo_u32 v15, v13, s8
	v_sub_u32_e32 v5, v5, v14
	v_sub_u32_e32 v14, v10, v15
	v_add_u32_e32 v16, 1, v13
	v_cmp_le_u32_e32 vcc, s8, v14
	v_subrev_u32_e32 v15, s8, v14
	v_mul_lo_u32 v5, v5, s3
	v_cndmask_b32_e32 v13, v13, v16, vcc
	v_cndmask_b32_e32 v14, v14, v15, vcc
	v_add_u32_e32 v15, 1, v13
	v_cmp_le_u32_e32 vcc, s8, v14
	s_nop 1
	v_cndmask_b32_e32 v13, v13, v15, vcc
	v_mul_lo_u32 v14, v13, s8
	v_mul_lo_u32 v13, v13, s4
	v_sub_u32_e32 v10, v10, v14
	v_add3_u32 v12, v12, s7, v13
	v_mul_lo_u32 v10, v10, s2
	v_add3_u32 v10, v12, v5, v10
	v_lshl_add_u64 v[10:11], v[10:11], 4, s[12:13]
	s_waitcnt vmcnt(0)
	global_store_dwordx4 v[10:11], v[6:9], off
	s_andn2_b64 exec, exec, s[0:1]
	s_cbranch_execnz .LBB198_2
.LBB198_3:
	s_endpgm
	.section	.rodata,"a",@progbits
	.p2align	6, 0x0
	.amdhsa_kernel _ZN2at6native12_GLOBAL__N_126CatArrayBatchedCopy_contigINS1_10OpaqueTypeILj16EEEjLi4ELi64ELi64EEEvPT_NS1_25CatArrInputTensorMetadataIS5_T0_XT2_EXT3_EEENS1_16TensorSizeStrideIS8_Lj4EEEiS8_
		.amdhsa_group_segment_fixed_size 0
		.amdhsa_private_segment_fixed_size 0
		.amdhsa_kernarg_size 3696
		.amdhsa_user_sgpr_count 2
		.amdhsa_user_sgpr_dispatch_ptr 0
		.amdhsa_user_sgpr_queue_ptr 0
		.amdhsa_user_sgpr_kernarg_segment_ptr 1
		.amdhsa_user_sgpr_dispatch_id 0
		.amdhsa_user_sgpr_kernarg_preload_length 0
		.amdhsa_user_sgpr_kernarg_preload_offset 0
		.amdhsa_user_sgpr_private_segment_size 0
		.amdhsa_uses_dynamic_stack 0
		.amdhsa_enable_private_segment 0
		.amdhsa_system_sgpr_workgroup_id_x 1
		.amdhsa_system_sgpr_workgroup_id_y 1
		.amdhsa_system_sgpr_workgroup_id_z 0
		.amdhsa_system_sgpr_workgroup_info 0
		.amdhsa_system_vgpr_workitem_id 0
		.amdhsa_next_free_vgpr 17
		.amdhsa_next_free_sgpr 27
		.amdhsa_accum_offset 20
		.amdhsa_reserve_vcc 1
		.amdhsa_float_round_mode_32 0
		.amdhsa_float_round_mode_16_64 0
		.amdhsa_float_denorm_mode_32 3
		.amdhsa_float_denorm_mode_16_64 3
		.amdhsa_dx10_clamp 1
		.amdhsa_ieee_mode 1
		.amdhsa_fp16_overflow 0
		.amdhsa_tg_split 0
		.amdhsa_exception_fp_ieee_invalid_op 0
		.amdhsa_exception_fp_denorm_src 0
		.amdhsa_exception_fp_ieee_div_zero 0
		.amdhsa_exception_fp_ieee_overflow 0
		.amdhsa_exception_fp_ieee_underflow 0
		.amdhsa_exception_fp_ieee_inexact 0
		.amdhsa_exception_int_div_zero 0
	.end_amdhsa_kernel
	.section	.text._ZN2at6native12_GLOBAL__N_126CatArrayBatchedCopy_contigINS1_10OpaqueTypeILj16EEEjLi4ELi64ELi64EEEvPT_NS1_25CatArrInputTensorMetadataIS5_T0_XT2_EXT3_EEENS1_16TensorSizeStrideIS8_Lj4EEEiS8_,"axG",@progbits,_ZN2at6native12_GLOBAL__N_126CatArrayBatchedCopy_contigINS1_10OpaqueTypeILj16EEEjLi4ELi64ELi64EEEvPT_NS1_25CatArrInputTensorMetadataIS5_T0_XT2_EXT3_EEENS1_16TensorSizeStrideIS8_Lj4EEEiS8_,comdat
.Lfunc_end198:
	.size	_ZN2at6native12_GLOBAL__N_126CatArrayBatchedCopy_contigINS1_10OpaqueTypeILj16EEEjLi4ELi64ELi64EEEvPT_NS1_25CatArrInputTensorMetadataIS5_T0_XT2_EXT3_EEENS1_16TensorSizeStrideIS8_Lj4EEEiS8_, .Lfunc_end198-_ZN2at6native12_GLOBAL__N_126CatArrayBatchedCopy_contigINS1_10OpaqueTypeILj16EEEjLi4ELi64ELi64EEEvPT_NS1_25CatArrInputTensorMetadataIS5_T0_XT2_EXT3_EEENS1_16TensorSizeStrideIS8_Lj4EEEiS8_
                                        ; -- End function
	.set _ZN2at6native12_GLOBAL__N_126CatArrayBatchedCopy_contigINS1_10OpaqueTypeILj16EEEjLi4ELi64ELi64EEEvPT_NS1_25CatArrInputTensorMetadataIS5_T0_XT2_EXT3_EEENS1_16TensorSizeStrideIS8_Lj4EEEiS8_.num_vgpr, 17
	.set _ZN2at6native12_GLOBAL__N_126CatArrayBatchedCopy_contigINS1_10OpaqueTypeILj16EEEjLi4ELi64ELi64EEEvPT_NS1_25CatArrInputTensorMetadataIS5_T0_XT2_EXT3_EEENS1_16TensorSizeStrideIS8_Lj4EEEiS8_.num_agpr, 0
	.set _ZN2at6native12_GLOBAL__N_126CatArrayBatchedCopy_contigINS1_10OpaqueTypeILj16EEEjLi4ELi64ELi64EEEvPT_NS1_25CatArrInputTensorMetadataIS5_T0_XT2_EXT3_EEENS1_16TensorSizeStrideIS8_Lj4EEEiS8_.numbered_sgpr, 27
	.set _ZN2at6native12_GLOBAL__N_126CatArrayBatchedCopy_contigINS1_10OpaqueTypeILj16EEEjLi4ELi64ELi64EEEvPT_NS1_25CatArrInputTensorMetadataIS5_T0_XT2_EXT3_EEENS1_16TensorSizeStrideIS8_Lj4EEEiS8_.num_named_barrier, 0
	.set _ZN2at6native12_GLOBAL__N_126CatArrayBatchedCopy_contigINS1_10OpaqueTypeILj16EEEjLi4ELi64ELi64EEEvPT_NS1_25CatArrInputTensorMetadataIS5_T0_XT2_EXT3_EEENS1_16TensorSizeStrideIS8_Lj4EEEiS8_.private_seg_size, 0
	.set _ZN2at6native12_GLOBAL__N_126CatArrayBatchedCopy_contigINS1_10OpaqueTypeILj16EEEjLi4ELi64ELi64EEEvPT_NS1_25CatArrInputTensorMetadataIS5_T0_XT2_EXT3_EEENS1_16TensorSizeStrideIS8_Lj4EEEiS8_.uses_vcc, 1
	.set _ZN2at6native12_GLOBAL__N_126CatArrayBatchedCopy_contigINS1_10OpaqueTypeILj16EEEjLi4ELi64ELi64EEEvPT_NS1_25CatArrInputTensorMetadataIS5_T0_XT2_EXT3_EEENS1_16TensorSizeStrideIS8_Lj4EEEiS8_.uses_flat_scratch, 0
	.set _ZN2at6native12_GLOBAL__N_126CatArrayBatchedCopy_contigINS1_10OpaqueTypeILj16EEEjLi4ELi64ELi64EEEvPT_NS1_25CatArrInputTensorMetadataIS5_T0_XT2_EXT3_EEENS1_16TensorSizeStrideIS8_Lj4EEEiS8_.has_dyn_sized_stack, 0
	.set _ZN2at6native12_GLOBAL__N_126CatArrayBatchedCopy_contigINS1_10OpaqueTypeILj16EEEjLi4ELi64ELi64EEEvPT_NS1_25CatArrInputTensorMetadataIS5_T0_XT2_EXT3_EEENS1_16TensorSizeStrideIS8_Lj4EEEiS8_.has_recursion, 0
	.set _ZN2at6native12_GLOBAL__N_126CatArrayBatchedCopy_contigINS1_10OpaqueTypeILj16EEEjLi4ELi64ELi64EEEvPT_NS1_25CatArrInputTensorMetadataIS5_T0_XT2_EXT3_EEENS1_16TensorSizeStrideIS8_Lj4EEEiS8_.has_indirect_call, 0
	.section	.AMDGPU.csdata,"",@progbits
; Kernel info:
; codeLenInByte = 704
; TotalNumSgprs: 33
; NumVgprs: 17
; NumAgprs: 0
; TotalNumVgprs: 17
; ScratchSize: 0
; MemoryBound: 0
; FloatMode: 240
; IeeeMode: 1
; LDSByteSize: 0 bytes/workgroup (compile time only)
; SGPRBlocks: 4
; VGPRBlocks: 2
; NumSGPRsForWavesPerEU: 33
; NumVGPRsForWavesPerEU: 17
; AccumOffset: 20
; Occupancy: 8
; WaveLimiterHint : 1
; COMPUTE_PGM_RSRC2:SCRATCH_EN: 0
; COMPUTE_PGM_RSRC2:USER_SGPR: 2
; COMPUTE_PGM_RSRC2:TRAP_HANDLER: 0
; COMPUTE_PGM_RSRC2:TGID_X_EN: 1
; COMPUTE_PGM_RSRC2:TGID_Y_EN: 1
; COMPUTE_PGM_RSRC2:TGID_Z_EN: 0
; COMPUTE_PGM_RSRC2:TIDIG_COMP_CNT: 0
; COMPUTE_PGM_RSRC3_GFX90A:ACCUM_OFFSET: 4
; COMPUTE_PGM_RSRC3_GFX90A:TG_SPLIT: 0
	.section	.text._ZN2at6native12_GLOBAL__N_119CatArrayBatchedCopyINS1_10OpaqueTypeILj16EEEjLi4ELi64ELi64EEEvPT_NS1_25CatArrInputTensorMetadataIS5_T0_XT2_EXT3_EEENS1_16TensorSizeStrideIS8_Lj4EEEiS8_,"axG",@progbits,_ZN2at6native12_GLOBAL__N_119CatArrayBatchedCopyINS1_10OpaqueTypeILj16EEEjLi4ELi64ELi64EEEvPT_NS1_25CatArrInputTensorMetadataIS5_T0_XT2_EXT3_EEENS1_16TensorSizeStrideIS8_Lj4EEEiS8_,comdat
	.globl	_ZN2at6native12_GLOBAL__N_119CatArrayBatchedCopyINS1_10OpaqueTypeILj16EEEjLi4ELi64ELi64EEEvPT_NS1_25CatArrInputTensorMetadataIS5_T0_XT2_EXT3_EEENS1_16TensorSizeStrideIS8_Lj4EEEiS8_ ; -- Begin function _ZN2at6native12_GLOBAL__N_119CatArrayBatchedCopyINS1_10OpaqueTypeILj16EEEjLi4ELi64ELi64EEEvPT_NS1_25CatArrInputTensorMetadataIS5_T0_XT2_EXT3_EEENS1_16TensorSizeStrideIS8_Lj4EEEiS8_
	.p2align	8
	.type	_ZN2at6native12_GLOBAL__N_119CatArrayBatchedCopyINS1_10OpaqueTypeILj16EEEjLi4ELi64ELi64EEEvPT_NS1_25CatArrInputTensorMetadataIS5_T0_XT2_EXT3_EEENS1_16TensorSizeStrideIS8_Lj4EEEiS8_,@function
_ZN2at6native12_GLOBAL__N_119CatArrayBatchedCopyINS1_10OpaqueTypeILj16EEEjLi4ELi64ELi64EEEvPT_NS1_25CatArrInputTensorMetadataIS5_T0_XT2_EXT3_EEENS1_16TensorSizeStrideIS8_Lj4EEEiS8_: ; @_ZN2at6native12_GLOBAL__N_119CatArrayBatchedCopyINS1_10OpaqueTypeILj16EEEjLi4ELi64ELi64EEEvPT_NS1_25CatArrInputTensorMetadataIS5_T0_XT2_EXT3_EEENS1_16TensorSizeStrideIS8_Lj4EEEiS8_
; %bb.0:
	s_load_dword s4, s[0:1], 0xd7c
	s_mov_b32 s10, s3
	s_or_b32 s3, s0, 8
	s_add_u32 s16, s0, 0xd70
	s_mov_b32 s11, 0
	s_addc_u32 s17, s1, 0
	s_waitcnt lgkmcnt(0)
	s_and_b32 s18, s4, 0xffff
	s_lshl_b64 s[8:9], s[10:11], 2
	s_add_u32 s4, s3, s8
	s_addc_u32 s5, s1, s9
	s_load_dword s24, s[4:5], 0x400
	s_mul_i32 s2, s2, s18
	v_add_u32_e32 v0, s2, v0
	s_waitcnt lgkmcnt(0)
	v_cmp_gt_u32_e32 vcc, s24, v0
	s_and_saveexec_b64 s[12:13], vcc
	s_cbranch_execz .LBB199_5
; %bb.1:
	s_mul_i32 s7, s10, 28
	s_mul_hi_u32 s2, s10, 28
	s_add_u32 s20, s4, s7
	s_addc_u32 s21, s5, s2
	s_add_u32 s26, s3, s10
	s_addc_u32 s27, s1, 0
	v_mov_b32_e32 v1, 0
	global_load_ubyte v2, v1, s[26:27] offset:1280
	s_mul_hi_u32 s19, s10, 7
	s_mul_i32 s25, s10, 7
	s_load_dwordx4 s[4:7], s[0:1], 0xd58
	s_load_dwordx2 s[22:23], s[0:1], 0xd68
	s_load_dwordx2 s[2:3], s[0:1], 0x0
	s_load_dwordx4 s[12:15], s[0:1], 0xd4c
	s_waitcnt lgkmcnt(0)
	s_load_dword s15, s[16:17], 0x0
                                        ; kill: killed $sgpr0 killed $sgpr1
	s_load_dwordx2 s[0:1], s[20:21], 0x544
	s_load_dword s30, s[20:21], 0x54c
                                        ; kill: killed $sgpr16 killed $sgpr17
	s_mov_b64 s[16:17], 0
	s_waitcnt lgkmcnt(0)
	s_mul_i32 s15, s15, s18
	s_waitcnt vmcnt(0)
	v_and_b32_e32 v2, 1, v2
	v_cmp_eq_u32_e32 vcc, 1, v2
	s_xor_b64 s[10:11], vcc, -1
	s_add_u32 s26, s26, s25
	s_addc_u32 s27, s27, s19
	s_sub_u32 s8, 0, s8
	s_subb_u32 s9, 0, s9
	s_add_u32 s28, s26, s8
	s_addc_u32 s29, s27, s9
	v_cndmask_b32_e64 v2, 0, 1, s[10:11]
	s_load_dword s25, s[28:29], 0x200
	s_load_dword s31, s[28:29], 0x300
	s_load_dwordx4 s[8:11], s[20:21], 0x550
	s_load_dwordx2 s[18:19], s[26:27], 0x0
	s_cmp_eq_u32 s22, 3
	s_waitcnt lgkmcnt(0)
	s_mul_i32 s20, s25, s23
	s_cselect_b32 s14, s31, s14
	s_cselect_b32 s21, s31, s30
	s_cmp_eq_u32 s22, 2
	s_cselect_b32 s13, s31, s13
	s_cselect_b32 s23, s31, s1
	s_cmp_eq_u32 s22, 1
	v_cvt_f32_u32_e32 v3, s14
	v_cvt_f32_u32_e32 v4, s21
	s_cselect_b32 s12, s31, s12
	s_cselect_b32 s22, s31, s0
	v_cvt_f32_u32_e32 v5, s13
	v_cvt_f32_u32_e32 v6, s23
	;; [unrolled: 1-line block ×4, first 2 shown]
	v_rcp_iflag_f32_e32 v3, v3
	v_rcp_iflag_f32_e32 v4, v4
	;; [unrolled: 1-line block ×6, first 2 shown]
	v_mul_f32_e32 v3, 0x4f7ffffe, v3
	v_mul_f32_e32 v4, 0x4f7ffffe, v4
	v_cvt_u32_f32_e32 v3, v3
	v_mul_f32_e32 v5, 0x4f7ffffe, v5
	v_cvt_u32_f32_e32 v9, v4
	;; [unrolled: 2-line block ×5, first 2 shown]
	v_cvt_u32_f32_e32 v10, v4
	s_sub_i32 s25, 0, s14
	s_sub_i32 s26, 0, s21
	;; [unrolled: 1-line block ×4, first 2 shown]
	v_mul_lo_u32 v4, s25, v3
	v_mul_lo_u32 v5, s26, v9
	s_sub_i32 s27, 0, s12
	s_sub_i32 s28, 0, s22
	v_mul_hi_u32 v4, v3, v4
	v_mul_lo_u32 v11, s0, v6
	v_mul_hi_u32 v5, v9, v5
	v_mul_lo_u32 v12, s1, v7
	v_add_u32_e32 v4, v3, v4
	v_mul_hi_u32 v3, v6, v11
	v_mul_lo_u32 v11, s27, v8
	v_add_u32_e32 v5, v9, v5
	;; [unrolled: 3-line block ×3, first 2 shown]
	v_mul_hi_u32 v3, v8, v11
	v_add_u32_e32 v7, v7, v9
	v_mul_hi_u32 v9, v10, v12
	v_add_u32_e32 v8, v8, v3
	v_add_u32_e32 v9, v10, v9
	v_cmp_ne_u32_e64 s[0:1], 1, v2
	s_branch .LBB199_3
.LBB199_2:                              ;   in Loop: Header=BB199_3 Depth=1
	v_lshl_add_u64 v[2:3], v[2:3], 4, s[18:19]
	global_load_dwordx4 v[10:13], v[2:3], off
	v_mul_hi_u32 v14, v4, v0
	v_mad_u64_u32 v[2:3], s[28:29], s25, v14, v[0:1]
	v_not_b32_e32 v15, v14
	v_add_u32_e32 v3, 1, v14
	v_cmp_le_u32_e32 vcc, s14, v2
	s_nop 1
	v_cndmask_b32_e32 v3, v14, v3, vcc
	v_mad_u64_u32 v[14:15], s[28:29], s14, v15, v[0:1]
	v_cndmask_b32_e32 v2, v2, v14, vcc
	v_add_u32_e32 v14, 1, v3
	v_cmp_le_u32_e32 vcc, s14, v2
	s_nop 1
	v_cndmask_b32_e32 v2, v3, v14, vcc
	v_mul_hi_u32 v3, v2, v6
	v_mul_lo_u32 v14, v3, s13
	v_sub_u32_e32 v14, v2, v14
	v_add_u32_e32 v15, 1, v3
	v_cmp_le_u32_e32 vcc, s13, v14
	s_nop 1
	v_cndmask_b32_e32 v3, v3, v15, vcc
	v_subrev_u32_e32 v15, s13, v14
	v_cndmask_b32_e32 v14, v14, v15, vcc
	v_add_u32_e32 v15, 1, v3
	v_cmp_le_u32_e32 vcc, s13, v14
	s_nop 1
	v_cndmask_b32_e32 v14, v3, v15, vcc
	v_mul_lo_u32 v3, v14, s13
	v_sub_u32_e32 v3, v2, v3
	v_mul_lo_u32 v15, v3, s6
	v_mad_u64_u32 v[2:3], s[28:29], s25, v2, v[0:1]
	v_mul_hi_u32 v3, v14, v8
	v_mul_lo_u32 v16, v3, s12
	v_sub_u32_e32 v16, v14, v16
	v_add_u32_e32 v17, 1, v3
	v_cmp_le_u32_e32 vcc, s12, v16
	v_mul_lo_u32 v2, v2, s7
	v_add_u32_e32 v0, s15, v0
	v_cndmask_b32_e32 v3, v3, v17, vcc
	v_subrev_u32_e32 v17, s12, v16
	v_cndmask_b32_e32 v16, v16, v17, vcc
	v_add_u32_e32 v17, 1, v3
	v_cmp_le_u32_e32 vcc, s12, v16
	s_nop 1
	v_cndmask_b32_e32 v3, v3, v17, vcc
	v_mul_lo_u32 v16, v3, s12
	v_sub_u32_e32 v14, v14, v16
	v_mul_lo_u32 v3, v3, s4
	v_mul_lo_u32 v14, v14, s5
	v_add3_u32 v2, v3, v2, v15
	v_add3_u32 v2, v2, v14, s20
	v_mov_b32_e32 v3, v1
	v_cmp_le_u32_e32 vcc, s24, v0
	v_lshl_add_u64 v[2:3], v[2:3], 4, s[2:3]
	s_or_b64 s[16:17], vcc, s[16:17]
	s_waitcnt vmcnt(0)
	global_store_dwordx4 v[2:3], v[10:13], off
	s_andn2_b64 exec, exec, s[16:17]
	s_cbranch_execz .LBB199_5
.LBB199_3:                              ; =>This Inner Loop Header: Depth=1
	s_and_b64 vcc, exec, s[0:1]
	v_mov_b64_e32 v[2:3], v[0:1]
	s_cbranch_vccnz .LBB199_2
; %bb.4:                                ;   in Loop: Header=BB199_3 Depth=1
	v_mul_hi_u32 v10, v5, v0
	v_mad_u64_u32 v[2:3], s[28:29], s26, v10, v[0:1]
	v_not_b32_e32 v11, v10
	v_add_u32_e32 v3, 1, v10
	v_cmp_le_u32_e32 vcc, s21, v2
	s_nop 1
	v_cndmask_b32_e32 v3, v10, v3, vcc
	v_mad_u64_u32 v[10:11], s[28:29], s21, v11, v[0:1]
	v_cndmask_b32_e32 v2, v2, v10, vcc
	v_add_u32_e32 v10, 1, v3
	v_cmp_le_u32_e32 vcc, s21, v2
	s_nop 1
	v_cndmask_b32_e32 v2, v3, v10, vcc
	v_mul_hi_u32 v3, v2, v7
	v_mul_lo_u32 v10, v3, s23
	v_sub_u32_e32 v10, v2, v10
	v_add_u32_e32 v11, 1, v3
	v_cmp_le_u32_e32 vcc, s23, v10
	s_nop 1
	v_cndmask_b32_e32 v3, v3, v11, vcc
	v_subrev_u32_e32 v11, s23, v10
	v_cndmask_b32_e32 v10, v10, v11, vcc
	v_add_u32_e32 v11, 1, v3
	v_cmp_le_u32_e32 vcc, s23, v10
	s_nop 1
	v_cndmask_b32_e32 v10, v3, v11, vcc
	v_mul_lo_u32 v3, v10, s23
	v_sub_u32_e32 v3, v2, v3
	v_mul_lo_u32 v11, v3, s10
	v_mad_u64_u32 v[2:3], s[28:29], s26, v2, v[0:1]
	v_mul_hi_u32 v3, v10, v9
	v_mul_lo_u32 v12, v3, s22
	v_sub_u32_e32 v12, v10, v12
	v_add_u32_e32 v13, 1, v3
	v_cmp_le_u32_e32 vcc, s22, v12
	v_mul_lo_u32 v2, v2, s11
	s_nop 0
	v_cndmask_b32_e32 v3, v3, v13, vcc
	v_subrev_u32_e32 v13, s22, v12
	v_cndmask_b32_e32 v12, v12, v13, vcc
	v_add_u32_e32 v13, 1, v3
	v_cmp_le_u32_e32 vcc, s22, v12
	s_nop 1
	v_cndmask_b32_e32 v3, v3, v13, vcc
	v_mul_lo_u32 v12, v3, s22
	v_sub_u32_e32 v10, v10, v12
	v_mul_lo_u32 v10, v10, s9
	v_mad_u64_u32 v[2:3], s[28:29], v3, s8, v[2:3]
	v_add3_u32 v2, v2, v11, v10
	v_mov_b32_e32 v3, v1
	s_branch .LBB199_2
.LBB199_5:
	s_endpgm
	.section	.rodata,"a",@progbits
	.p2align	6, 0x0
	.amdhsa_kernel _ZN2at6native12_GLOBAL__N_119CatArrayBatchedCopyINS1_10OpaqueTypeILj16EEEjLi4ELi64ELi64EEEvPT_NS1_25CatArrInputTensorMetadataIS5_T0_XT2_EXT3_EEENS1_16TensorSizeStrideIS8_Lj4EEEiS8_
		.amdhsa_group_segment_fixed_size 0
		.amdhsa_private_segment_fixed_size 0
		.amdhsa_kernarg_size 3696
		.amdhsa_user_sgpr_count 2
		.amdhsa_user_sgpr_dispatch_ptr 0
		.amdhsa_user_sgpr_queue_ptr 0
		.amdhsa_user_sgpr_kernarg_segment_ptr 1
		.amdhsa_user_sgpr_dispatch_id 0
		.amdhsa_user_sgpr_kernarg_preload_length 0
		.amdhsa_user_sgpr_kernarg_preload_offset 0
		.amdhsa_user_sgpr_private_segment_size 0
		.amdhsa_uses_dynamic_stack 0
		.amdhsa_enable_private_segment 0
		.amdhsa_system_sgpr_workgroup_id_x 1
		.amdhsa_system_sgpr_workgroup_id_y 1
		.amdhsa_system_sgpr_workgroup_id_z 0
		.amdhsa_system_sgpr_workgroup_info 0
		.amdhsa_system_vgpr_workitem_id 0
		.amdhsa_next_free_vgpr 18
		.amdhsa_next_free_sgpr 32
		.amdhsa_accum_offset 20
		.amdhsa_reserve_vcc 1
		.amdhsa_float_round_mode_32 0
		.amdhsa_float_round_mode_16_64 0
		.amdhsa_float_denorm_mode_32 3
		.amdhsa_float_denorm_mode_16_64 3
		.amdhsa_dx10_clamp 1
		.amdhsa_ieee_mode 1
		.amdhsa_fp16_overflow 0
		.amdhsa_tg_split 0
		.amdhsa_exception_fp_ieee_invalid_op 0
		.amdhsa_exception_fp_denorm_src 0
		.amdhsa_exception_fp_ieee_div_zero 0
		.amdhsa_exception_fp_ieee_overflow 0
		.amdhsa_exception_fp_ieee_underflow 0
		.amdhsa_exception_fp_ieee_inexact 0
		.amdhsa_exception_int_div_zero 0
	.end_amdhsa_kernel
	.section	.text._ZN2at6native12_GLOBAL__N_119CatArrayBatchedCopyINS1_10OpaqueTypeILj16EEEjLi4ELi64ELi64EEEvPT_NS1_25CatArrInputTensorMetadataIS5_T0_XT2_EXT3_EEENS1_16TensorSizeStrideIS8_Lj4EEEiS8_,"axG",@progbits,_ZN2at6native12_GLOBAL__N_119CatArrayBatchedCopyINS1_10OpaqueTypeILj16EEEjLi4ELi64ELi64EEEvPT_NS1_25CatArrInputTensorMetadataIS5_T0_XT2_EXT3_EEENS1_16TensorSizeStrideIS8_Lj4EEEiS8_,comdat
.Lfunc_end199:
	.size	_ZN2at6native12_GLOBAL__N_119CatArrayBatchedCopyINS1_10OpaqueTypeILj16EEEjLi4ELi64ELi64EEEvPT_NS1_25CatArrInputTensorMetadataIS5_T0_XT2_EXT3_EEENS1_16TensorSizeStrideIS8_Lj4EEEiS8_, .Lfunc_end199-_ZN2at6native12_GLOBAL__N_119CatArrayBatchedCopyINS1_10OpaqueTypeILj16EEEjLi4ELi64ELi64EEEvPT_NS1_25CatArrInputTensorMetadataIS5_T0_XT2_EXT3_EEENS1_16TensorSizeStrideIS8_Lj4EEEiS8_
                                        ; -- End function
	.set _ZN2at6native12_GLOBAL__N_119CatArrayBatchedCopyINS1_10OpaqueTypeILj16EEEjLi4ELi64ELi64EEEvPT_NS1_25CatArrInputTensorMetadataIS5_T0_XT2_EXT3_EEENS1_16TensorSizeStrideIS8_Lj4EEEiS8_.num_vgpr, 18
	.set _ZN2at6native12_GLOBAL__N_119CatArrayBatchedCopyINS1_10OpaqueTypeILj16EEEjLi4ELi64ELi64EEEvPT_NS1_25CatArrInputTensorMetadataIS5_T0_XT2_EXT3_EEENS1_16TensorSizeStrideIS8_Lj4EEEiS8_.num_agpr, 0
	.set _ZN2at6native12_GLOBAL__N_119CatArrayBatchedCopyINS1_10OpaqueTypeILj16EEEjLi4ELi64ELi64EEEvPT_NS1_25CatArrInputTensorMetadataIS5_T0_XT2_EXT3_EEENS1_16TensorSizeStrideIS8_Lj4EEEiS8_.numbered_sgpr, 32
	.set _ZN2at6native12_GLOBAL__N_119CatArrayBatchedCopyINS1_10OpaqueTypeILj16EEEjLi4ELi64ELi64EEEvPT_NS1_25CatArrInputTensorMetadataIS5_T0_XT2_EXT3_EEENS1_16TensorSizeStrideIS8_Lj4EEEiS8_.num_named_barrier, 0
	.set _ZN2at6native12_GLOBAL__N_119CatArrayBatchedCopyINS1_10OpaqueTypeILj16EEEjLi4ELi64ELi64EEEvPT_NS1_25CatArrInputTensorMetadataIS5_T0_XT2_EXT3_EEENS1_16TensorSizeStrideIS8_Lj4EEEiS8_.private_seg_size, 0
	.set _ZN2at6native12_GLOBAL__N_119CatArrayBatchedCopyINS1_10OpaqueTypeILj16EEEjLi4ELi64ELi64EEEvPT_NS1_25CatArrInputTensorMetadataIS5_T0_XT2_EXT3_EEENS1_16TensorSizeStrideIS8_Lj4EEEiS8_.uses_vcc, 1
	.set _ZN2at6native12_GLOBAL__N_119CatArrayBatchedCopyINS1_10OpaqueTypeILj16EEEjLi4ELi64ELi64EEEvPT_NS1_25CatArrInputTensorMetadataIS5_T0_XT2_EXT3_EEENS1_16TensorSizeStrideIS8_Lj4EEEiS8_.uses_flat_scratch, 0
	.set _ZN2at6native12_GLOBAL__N_119CatArrayBatchedCopyINS1_10OpaqueTypeILj16EEEjLi4ELi64ELi64EEEvPT_NS1_25CatArrInputTensorMetadataIS5_T0_XT2_EXT3_EEENS1_16TensorSizeStrideIS8_Lj4EEEiS8_.has_dyn_sized_stack, 0
	.set _ZN2at6native12_GLOBAL__N_119CatArrayBatchedCopyINS1_10OpaqueTypeILj16EEEjLi4ELi64ELi64EEEvPT_NS1_25CatArrInputTensorMetadataIS5_T0_XT2_EXT3_EEENS1_16TensorSizeStrideIS8_Lj4EEEiS8_.has_recursion, 0
	.set _ZN2at6native12_GLOBAL__N_119CatArrayBatchedCopyINS1_10OpaqueTypeILj16EEEjLi4ELi64ELi64EEEvPT_NS1_25CatArrInputTensorMetadataIS5_T0_XT2_EXT3_EEENS1_16TensorSizeStrideIS8_Lj4EEEiS8_.has_indirect_call, 0
	.section	.AMDGPU.csdata,"",@progbits
; Kernel info:
; codeLenInByte = 1204
; TotalNumSgprs: 38
; NumVgprs: 18
; NumAgprs: 0
; TotalNumVgprs: 18
; ScratchSize: 0
; MemoryBound: 0
; FloatMode: 240
; IeeeMode: 1
; LDSByteSize: 0 bytes/workgroup (compile time only)
; SGPRBlocks: 4
; VGPRBlocks: 2
; NumSGPRsForWavesPerEU: 38
; NumVGPRsForWavesPerEU: 18
; AccumOffset: 20
; Occupancy: 8
; WaveLimiterHint : 1
; COMPUTE_PGM_RSRC2:SCRATCH_EN: 0
; COMPUTE_PGM_RSRC2:USER_SGPR: 2
; COMPUTE_PGM_RSRC2:TRAP_HANDLER: 0
; COMPUTE_PGM_RSRC2:TGID_X_EN: 1
; COMPUTE_PGM_RSRC2:TGID_Y_EN: 1
; COMPUTE_PGM_RSRC2:TGID_Z_EN: 0
; COMPUTE_PGM_RSRC2:TIDIG_COMP_CNT: 0
; COMPUTE_PGM_RSRC3_GFX90A:ACCUM_OFFSET: 4
; COMPUTE_PGM_RSRC3_GFX90A:TG_SPLIT: 0
	.section	.AMDGPU.gpr_maximums,"",@progbits
	.set amdgpu.max_num_vgpr, 0
	.set amdgpu.max_num_agpr, 0
	.set amdgpu.max_num_sgpr, 0
	.section	.AMDGPU.csdata,"",@progbits
	.type	__hip_cuid_63762c5ca8a2db49,@object ; @__hip_cuid_63762c5ca8a2db49
	.section	.bss,"aw",@nobits
	.globl	__hip_cuid_63762c5ca8a2db49
__hip_cuid_63762c5ca8a2db49:
	.byte	0                               ; 0x0
	.size	__hip_cuid_63762c5ca8a2db49, 1

	.ident	"AMD clang version 22.0.0git (https://github.com/RadeonOpenCompute/llvm-project roc-7.2.4 26084 f58b06dce1f9c15707c5f808fd002e18c2accf7e)"
	.section	".note.GNU-stack","",@progbits
	.addrsig
	.addrsig_sym __hip_cuid_63762c5ca8a2db49
	.amdgpu_metadata
---
amdhsa.kernels:
  - .agpr_count:     0
    .args:
      - .address_space:  global
        .offset:         0
        .size:           8
        .value_kind:     global_buffer
      - .offset:         8
        .size:           2720
        .value_kind:     by_value
      - .offset:         2728
        .size:           32
        .value_kind:     by_value
      - .offset:         2760
        .size:           4
        .value_kind:     by_value
      - .offset:         2764
        .size:           4
        .value_kind:     by_value
      - .offset:         2768
        .size:           4
        .value_kind:     hidden_block_count_x
      - .offset:         2772
        .size:           4
        .value_kind:     hidden_block_count_y
      - .offset:         2776
        .size:           4
        .value_kind:     hidden_block_count_z
      - .offset:         2780
        .size:           2
        .value_kind:     hidden_group_size_x
      - .offset:         2782
        .size:           2
        .value_kind:     hidden_group_size_y
      - .offset:         2784
        .size:           2
        .value_kind:     hidden_group_size_z
      - .offset:         2786
        .size:           2
        .value_kind:     hidden_remainder_x
      - .offset:         2788
        .size:           2
        .value_kind:     hidden_remainder_y
      - .offset:         2790
        .size:           2
        .value_kind:     hidden_remainder_z
      - .offset:         2808
        .size:           8
        .value_kind:     hidden_global_offset_x
      - .offset:         2816
        .size:           8
        .value_kind:     hidden_global_offset_y
      - .offset:         2824
        .size:           8
        .value_kind:     hidden_global_offset_z
      - .offset:         2832
        .size:           2
        .value_kind:     hidden_grid_dims
    .group_segment_fixed_size: 0
    .kernarg_segment_align: 8
    .kernarg_segment_size: 3024
    .language:       OpenCL C
    .language_version:
      - 2
      - 0
    .max_flat_workgroup_size: 1024
    .name:           _ZN2at6native12_GLOBAL__N_130CatArrayBatchedCopy_vectorizedINS1_10OpaqueTypeILj1EEEjLi1ELi128ELi1ELi16ELi16EEEvPcNS1_25CatArrInputTensorMetadataIT_T0_XT2_EXT3_EEENS1_16TensorSizeStrideIS8_Lj4EEEiS8_
    .private_segment_fixed_size: 0
    .sgpr_count:     22
    .sgpr_spill_count: 0
    .symbol:         _ZN2at6native12_GLOBAL__N_130CatArrayBatchedCopy_vectorizedINS1_10OpaqueTypeILj1EEEjLi1ELi128ELi1ELi16ELi16EEEvPcNS1_25CatArrInputTensorMetadataIT_T0_XT2_EXT3_EEENS1_16TensorSizeStrideIS8_Lj4EEEiS8_.kd
    .uniform_work_group_size: 1
    .uses_dynamic_stack: false
    .vgpr_count:     10
    .vgpr_spill_count: 0
    .wavefront_size: 64
  - .agpr_count:     0
    .args:
      - .address_space:  global
        .offset:         0
        .size:           8
        .value_kind:     global_buffer
      - .offset:         8
        .size:           2720
        .value_kind:     by_value
      - .offset:         2728
        .size:           32
        .value_kind:     by_value
      - .offset:         2760
        .size:           4
        .value_kind:     by_value
      - .offset:         2764
        .size:           4
        .value_kind:     by_value
      - .offset:         2768
        .size:           4
        .value_kind:     hidden_block_count_x
      - .offset:         2772
        .size:           4
        .value_kind:     hidden_block_count_y
      - .offset:         2776
        .size:           4
        .value_kind:     hidden_block_count_z
      - .offset:         2780
        .size:           2
        .value_kind:     hidden_group_size_x
      - .offset:         2782
        .size:           2
        .value_kind:     hidden_group_size_y
      - .offset:         2784
        .size:           2
        .value_kind:     hidden_group_size_z
      - .offset:         2786
        .size:           2
        .value_kind:     hidden_remainder_x
      - .offset:         2788
        .size:           2
        .value_kind:     hidden_remainder_y
      - .offset:         2790
        .size:           2
        .value_kind:     hidden_remainder_z
      - .offset:         2808
        .size:           8
        .value_kind:     hidden_global_offset_x
      - .offset:         2816
        .size:           8
        .value_kind:     hidden_global_offset_y
      - .offset:         2824
        .size:           8
        .value_kind:     hidden_global_offset_z
      - .offset:         2832
        .size:           2
        .value_kind:     hidden_grid_dims
    .group_segment_fixed_size: 0
    .kernarg_segment_align: 8
    .kernarg_segment_size: 3024
    .language:       OpenCL C
    .language_version:
      - 2
      - 0
    .max_flat_workgroup_size: 1024
    .name:           _ZN2at6native12_GLOBAL__N_135CatArrayBatchedCopy_alignedK_contigINS1_10OpaqueTypeILj1EEEjLi1ELi128ELi1ELi16EEEvPT_NS1_25CatArrInputTensorMetadataIS5_T0_XT2_EXT3_EEENS1_16TensorSizeStrideIS8_Lj4EEEiS8_
    .private_segment_fixed_size: 0
    .sgpr_count:     23
    .sgpr_spill_count: 0
    .symbol:         _ZN2at6native12_GLOBAL__N_135CatArrayBatchedCopy_alignedK_contigINS1_10OpaqueTypeILj1EEEjLi1ELi128ELi1ELi16EEEvPT_NS1_25CatArrInputTensorMetadataIS5_T0_XT2_EXT3_EEENS1_16TensorSizeStrideIS8_Lj4EEEiS8_.kd
    .uniform_work_group_size: 1
    .uses_dynamic_stack: false
    .vgpr_count:     45
    .vgpr_spill_count: 0
    .wavefront_size: 64
  - .agpr_count:     0
    .args:
      - .address_space:  global
        .offset:         0
        .size:           8
        .value_kind:     global_buffer
      - .offset:         8
        .size:           2720
        .value_kind:     by_value
      - .offset:         2728
        .size:           32
        .value_kind:     by_value
      - .offset:         2760
        .size:           4
        .value_kind:     by_value
      - .offset:         2764
        .size:           4
        .value_kind:     by_value
      - .offset:         2768
        .size:           4
        .value_kind:     hidden_block_count_x
      - .offset:         2772
        .size:           4
        .value_kind:     hidden_block_count_y
      - .offset:         2776
        .size:           4
        .value_kind:     hidden_block_count_z
      - .offset:         2780
        .size:           2
        .value_kind:     hidden_group_size_x
      - .offset:         2782
        .size:           2
        .value_kind:     hidden_group_size_y
      - .offset:         2784
        .size:           2
        .value_kind:     hidden_group_size_z
      - .offset:         2786
        .size:           2
        .value_kind:     hidden_remainder_x
      - .offset:         2788
        .size:           2
        .value_kind:     hidden_remainder_y
      - .offset:         2790
        .size:           2
        .value_kind:     hidden_remainder_z
      - .offset:         2808
        .size:           8
        .value_kind:     hidden_global_offset_x
      - .offset:         2816
        .size:           8
        .value_kind:     hidden_global_offset_y
      - .offset:         2824
        .size:           8
        .value_kind:     hidden_global_offset_z
      - .offset:         2832
        .size:           2
        .value_kind:     hidden_grid_dims
    .group_segment_fixed_size: 0
    .kernarg_segment_align: 8
    .kernarg_segment_size: 3024
    .language:       OpenCL C
    .language_version:
      - 2
      - 0
    .max_flat_workgroup_size: 1024
    .name:           _ZN2at6native12_GLOBAL__N_135CatArrayBatchedCopy_alignedK_contigINS1_10OpaqueTypeILj1EEEjLi1ELi128ELi1ELi8EEEvPT_NS1_25CatArrInputTensorMetadataIS5_T0_XT2_EXT3_EEENS1_16TensorSizeStrideIS8_Lj4EEEiS8_
    .private_segment_fixed_size: 0
    .sgpr_count:     23
    .sgpr_spill_count: 0
    .symbol:         _ZN2at6native12_GLOBAL__N_135CatArrayBatchedCopy_alignedK_contigINS1_10OpaqueTypeILj1EEEjLi1ELi128ELi1ELi8EEEvPT_NS1_25CatArrInputTensorMetadataIS5_T0_XT2_EXT3_EEENS1_16TensorSizeStrideIS8_Lj4EEEiS8_.kd
    .uniform_work_group_size: 1
    .uses_dynamic_stack: false
    .vgpr_count:     23
    .vgpr_spill_count: 0
    .wavefront_size: 64
  - .agpr_count:     0
    .args:
      - .address_space:  global
        .offset:         0
        .size:           8
        .value_kind:     global_buffer
      - .offset:         8
        .size:           2720
        .value_kind:     by_value
      - .offset:         2728
        .size:           32
        .value_kind:     by_value
      - .offset:         2760
        .size:           4
        .value_kind:     by_value
      - .offset:         2764
        .size:           4
        .value_kind:     by_value
      - .offset:         2768
        .size:           4
        .value_kind:     hidden_block_count_x
      - .offset:         2772
        .size:           4
        .value_kind:     hidden_block_count_y
      - .offset:         2776
        .size:           4
        .value_kind:     hidden_block_count_z
      - .offset:         2780
        .size:           2
        .value_kind:     hidden_group_size_x
      - .offset:         2782
        .size:           2
        .value_kind:     hidden_group_size_y
      - .offset:         2784
        .size:           2
        .value_kind:     hidden_group_size_z
      - .offset:         2786
        .size:           2
        .value_kind:     hidden_remainder_x
      - .offset:         2788
        .size:           2
        .value_kind:     hidden_remainder_y
      - .offset:         2790
        .size:           2
        .value_kind:     hidden_remainder_z
      - .offset:         2808
        .size:           8
        .value_kind:     hidden_global_offset_x
      - .offset:         2816
        .size:           8
        .value_kind:     hidden_global_offset_y
      - .offset:         2824
        .size:           8
        .value_kind:     hidden_global_offset_z
      - .offset:         2832
        .size:           2
        .value_kind:     hidden_grid_dims
    .group_segment_fixed_size: 0
    .kernarg_segment_align: 8
    .kernarg_segment_size: 3024
    .language:       OpenCL C
    .language_version:
      - 2
      - 0
    .max_flat_workgroup_size: 1024
    .name:           _ZN2at6native12_GLOBAL__N_126CatArrayBatchedCopy_contigINS1_10OpaqueTypeILj1EEEjLi1ELi128ELi1EEEvPT_NS1_25CatArrInputTensorMetadataIS5_T0_XT2_EXT3_EEENS1_16TensorSizeStrideIS8_Lj4EEEiS8_
    .private_segment_fixed_size: 0
    .sgpr_count:     22
    .sgpr_spill_count: 0
    .symbol:         _ZN2at6native12_GLOBAL__N_126CatArrayBatchedCopy_contigINS1_10OpaqueTypeILj1EEEjLi1ELi128ELi1EEEvPT_NS1_25CatArrInputTensorMetadataIS5_T0_XT2_EXT3_EEENS1_16TensorSizeStrideIS8_Lj4EEEiS8_.kd
    .uniform_work_group_size: 1
    .uses_dynamic_stack: false
    .vgpr_count:     3
    .vgpr_spill_count: 0
    .wavefront_size: 64
  - .agpr_count:     0
    .args:
      - .address_space:  global
        .offset:         0
        .size:           8
        .value_kind:     global_buffer
      - .offset:         8
        .size:           2720
        .value_kind:     by_value
      - .offset:         2728
        .size:           32
        .value_kind:     by_value
      - .offset:         2760
        .size:           4
        .value_kind:     by_value
      - .offset:         2764
        .size:           4
        .value_kind:     by_value
      - .offset:         2768
        .size:           4
        .value_kind:     hidden_block_count_x
      - .offset:         2772
        .size:           4
        .value_kind:     hidden_block_count_y
      - .offset:         2776
        .size:           4
        .value_kind:     hidden_block_count_z
      - .offset:         2780
        .size:           2
        .value_kind:     hidden_group_size_x
      - .offset:         2782
        .size:           2
        .value_kind:     hidden_group_size_y
      - .offset:         2784
        .size:           2
        .value_kind:     hidden_group_size_z
      - .offset:         2786
        .size:           2
        .value_kind:     hidden_remainder_x
      - .offset:         2788
        .size:           2
        .value_kind:     hidden_remainder_y
      - .offset:         2790
        .size:           2
        .value_kind:     hidden_remainder_z
      - .offset:         2808
        .size:           8
        .value_kind:     hidden_global_offset_x
      - .offset:         2816
        .size:           8
        .value_kind:     hidden_global_offset_y
      - .offset:         2824
        .size:           8
        .value_kind:     hidden_global_offset_z
      - .offset:         2832
        .size:           2
        .value_kind:     hidden_grid_dims
    .group_segment_fixed_size: 0
    .kernarg_segment_align: 8
    .kernarg_segment_size: 3024
    .language:       OpenCL C
    .language_version:
      - 2
      - 0
    .max_flat_workgroup_size: 1024
    .name:           _ZN2at6native12_GLOBAL__N_119CatArrayBatchedCopyINS1_10OpaqueTypeILj1EEEjLi1ELi128ELi1EEEvPT_NS1_25CatArrInputTensorMetadataIS5_T0_XT2_EXT3_EEENS1_16TensorSizeStrideIS8_Lj4EEEiS8_
    .private_segment_fixed_size: 0
    .sgpr_count:     25
    .sgpr_spill_count: 0
    .symbol:         _ZN2at6native12_GLOBAL__N_119CatArrayBatchedCopyINS1_10OpaqueTypeILj1EEEjLi1ELi128ELi1EEEvPT_NS1_25CatArrInputTensorMetadataIS5_T0_XT2_EXT3_EEENS1_16TensorSizeStrideIS8_Lj4EEEiS8_.kd
    .uniform_work_group_size: 1
    .uses_dynamic_stack: false
    .vgpr_count:     4
    .vgpr_spill_count: 0
    .wavefront_size: 64
  - .agpr_count:     0
    .args:
      - .address_space:  global
        .offset:         0
        .size:           8
        .value_kind:     global_buffer
      - .offset:         8
        .size:           2720
        .value_kind:     by_value
      - .offset:         2728
        .size:           32
        .value_kind:     by_value
      - .offset:         2760
        .size:           4
        .value_kind:     by_value
      - .offset:         2764
        .size:           4
        .value_kind:     by_value
      - .offset:         2768
        .size:           4
        .value_kind:     hidden_block_count_x
      - .offset:         2772
        .size:           4
        .value_kind:     hidden_block_count_y
      - .offset:         2776
        .size:           4
        .value_kind:     hidden_block_count_z
      - .offset:         2780
        .size:           2
        .value_kind:     hidden_group_size_x
      - .offset:         2782
        .size:           2
        .value_kind:     hidden_group_size_y
      - .offset:         2784
        .size:           2
        .value_kind:     hidden_group_size_z
      - .offset:         2786
        .size:           2
        .value_kind:     hidden_remainder_x
      - .offset:         2788
        .size:           2
        .value_kind:     hidden_remainder_y
      - .offset:         2790
        .size:           2
        .value_kind:     hidden_remainder_z
      - .offset:         2808
        .size:           8
        .value_kind:     hidden_global_offset_x
      - .offset:         2816
        .size:           8
        .value_kind:     hidden_global_offset_y
      - .offset:         2824
        .size:           8
        .value_kind:     hidden_global_offset_z
      - .offset:         2832
        .size:           2
        .value_kind:     hidden_grid_dims
    .group_segment_fixed_size: 0
    .kernarg_segment_align: 8
    .kernarg_segment_size: 3024
    .language:       OpenCL C
    .language_version:
      - 2
      - 0
    .max_flat_workgroup_size: 1024
    .name:           _ZN2at6native12_GLOBAL__N_130CatArrayBatchedCopy_vectorizedINS1_10OpaqueTypeILj1EEEjLi2ELi128ELi1ELi16ELi16EEEvPcNS1_25CatArrInputTensorMetadataIT_T0_XT2_EXT3_EEENS1_16TensorSizeStrideIS8_Lj4EEEiS8_
    .private_segment_fixed_size: 0
    .sgpr_count:     24
    .sgpr_spill_count: 0
    .symbol:         _ZN2at6native12_GLOBAL__N_130CatArrayBatchedCopy_vectorizedINS1_10OpaqueTypeILj1EEEjLi2ELi128ELi1ELi16ELi16EEEvPcNS1_25CatArrInputTensorMetadataIT_T0_XT2_EXT3_EEENS1_16TensorSizeStrideIS8_Lj4EEEiS8_.kd
    .uniform_work_group_size: 1
    .uses_dynamic_stack: false
    .vgpr_count:     12
    .vgpr_spill_count: 0
    .wavefront_size: 64
  - .agpr_count:     0
    .args:
      - .address_space:  global
        .offset:         0
        .size:           8
        .value_kind:     global_buffer
      - .offset:         8
        .size:           2720
        .value_kind:     by_value
      - .offset:         2728
        .size:           32
        .value_kind:     by_value
      - .offset:         2760
        .size:           4
        .value_kind:     by_value
      - .offset:         2764
        .size:           4
        .value_kind:     by_value
      - .offset:         2768
        .size:           4
        .value_kind:     hidden_block_count_x
      - .offset:         2772
        .size:           4
        .value_kind:     hidden_block_count_y
      - .offset:         2776
        .size:           4
        .value_kind:     hidden_block_count_z
      - .offset:         2780
        .size:           2
        .value_kind:     hidden_group_size_x
      - .offset:         2782
        .size:           2
        .value_kind:     hidden_group_size_y
      - .offset:         2784
        .size:           2
        .value_kind:     hidden_group_size_z
      - .offset:         2786
        .size:           2
        .value_kind:     hidden_remainder_x
      - .offset:         2788
        .size:           2
        .value_kind:     hidden_remainder_y
      - .offset:         2790
        .size:           2
        .value_kind:     hidden_remainder_z
      - .offset:         2808
        .size:           8
        .value_kind:     hidden_global_offset_x
      - .offset:         2816
        .size:           8
        .value_kind:     hidden_global_offset_y
      - .offset:         2824
        .size:           8
        .value_kind:     hidden_global_offset_z
      - .offset:         2832
        .size:           2
        .value_kind:     hidden_grid_dims
    .group_segment_fixed_size: 0
    .kernarg_segment_align: 8
    .kernarg_segment_size: 3024
    .language:       OpenCL C
    .language_version:
      - 2
      - 0
    .max_flat_workgroup_size: 1024
    .name:           _ZN2at6native12_GLOBAL__N_135CatArrayBatchedCopy_alignedK_contigINS1_10OpaqueTypeILj1EEEjLi2ELi128ELi1ELi16EEEvPT_NS1_25CatArrInputTensorMetadataIS5_T0_XT2_EXT3_EEENS1_16TensorSizeStrideIS8_Lj4EEEiS8_
    .private_segment_fixed_size: 0
    .sgpr_count:     55
    .sgpr_spill_count: 0
    .symbol:         _ZN2at6native12_GLOBAL__N_135CatArrayBatchedCopy_alignedK_contigINS1_10OpaqueTypeILj1EEEjLi2ELi128ELi1ELi16EEEvPT_NS1_25CatArrInputTensorMetadataIS5_T0_XT2_EXT3_EEENS1_16TensorSizeStrideIS8_Lj4EEEiS8_.kd
    .uniform_work_group_size: 1
    .uses_dynamic_stack: false
    .vgpr_count:     81
    .vgpr_spill_count: 0
    .wavefront_size: 64
  - .agpr_count:     0
    .args:
      - .address_space:  global
        .offset:         0
        .size:           8
        .value_kind:     global_buffer
      - .offset:         8
        .size:           2720
        .value_kind:     by_value
      - .offset:         2728
        .size:           32
        .value_kind:     by_value
      - .offset:         2760
        .size:           4
        .value_kind:     by_value
      - .offset:         2764
        .size:           4
        .value_kind:     by_value
      - .offset:         2768
        .size:           4
        .value_kind:     hidden_block_count_x
      - .offset:         2772
        .size:           4
        .value_kind:     hidden_block_count_y
      - .offset:         2776
        .size:           4
        .value_kind:     hidden_block_count_z
      - .offset:         2780
        .size:           2
        .value_kind:     hidden_group_size_x
      - .offset:         2782
        .size:           2
        .value_kind:     hidden_group_size_y
      - .offset:         2784
        .size:           2
        .value_kind:     hidden_group_size_z
      - .offset:         2786
        .size:           2
        .value_kind:     hidden_remainder_x
      - .offset:         2788
        .size:           2
        .value_kind:     hidden_remainder_y
      - .offset:         2790
        .size:           2
        .value_kind:     hidden_remainder_z
      - .offset:         2808
        .size:           8
        .value_kind:     hidden_global_offset_x
      - .offset:         2816
        .size:           8
        .value_kind:     hidden_global_offset_y
      - .offset:         2824
        .size:           8
        .value_kind:     hidden_global_offset_z
      - .offset:         2832
        .size:           2
        .value_kind:     hidden_grid_dims
    .group_segment_fixed_size: 0
    .kernarg_segment_align: 8
    .kernarg_segment_size: 3024
    .language:       OpenCL C
    .language_version:
      - 2
      - 0
    .max_flat_workgroup_size: 1024
    .name:           _ZN2at6native12_GLOBAL__N_135CatArrayBatchedCopy_alignedK_contigINS1_10OpaqueTypeILj1EEEjLi2ELi128ELi1ELi8EEEvPT_NS1_25CatArrInputTensorMetadataIS5_T0_XT2_EXT3_EEENS1_16TensorSizeStrideIS8_Lj4EEEiS8_
    .private_segment_fixed_size: 0
    .sgpr_count:     38
    .sgpr_spill_count: 0
    .symbol:         _ZN2at6native12_GLOBAL__N_135CatArrayBatchedCopy_alignedK_contigINS1_10OpaqueTypeILj1EEEjLi2ELi128ELi1ELi8EEEvPT_NS1_25CatArrInputTensorMetadataIS5_T0_XT2_EXT3_EEENS1_16TensorSizeStrideIS8_Lj4EEEiS8_.kd
    .uniform_work_group_size: 1
    .uses_dynamic_stack: false
    .vgpr_count:     48
    .vgpr_spill_count: 0
    .wavefront_size: 64
  - .agpr_count:     0
    .args:
      - .address_space:  global
        .offset:         0
        .size:           8
        .value_kind:     global_buffer
      - .offset:         8
        .size:           2720
        .value_kind:     by_value
      - .offset:         2728
        .size:           32
        .value_kind:     by_value
      - .offset:         2760
        .size:           4
        .value_kind:     by_value
      - .offset:         2764
        .size:           4
        .value_kind:     by_value
      - .offset:         2768
        .size:           4
        .value_kind:     hidden_block_count_x
      - .offset:         2772
        .size:           4
        .value_kind:     hidden_block_count_y
      - .offset:         2776
        .size:           4
        .value_kind:     hidden_block_count_z
      - .offset:         2780
        .size:           2
        .value_kind:     hidden_group_size_x
      - .offset:         2782
        .size:           2
        .value_kind:     hidden_group_size_y
      - .offset:         2784
        .size:           2
        .value_kind:     hidden_group_size_z
      - .offset:         2786
        .size:           2
        .value_kind:     hidden_remainder_x
      - .offset:         2788
        .size:           2
        .value_kind:     hidden_remainder_y
      - .offset:         2790
        .size:           2
        .value_kind:     hidden_remainder_z
      - .offset:         2808
        .size:           8
        .value_kind:     hidden_global_offset_x
      - .offset:         2816
        .size:           8
        .value_kind:     hidden_global_offset_y
      - .offset:         2824
        .size:           8
        .value_kind:     hidden_global_offset_z
      - .offset:         2832
        .size:           2
        .value_kind:     hidden_grid_dims
    .group_segment_fixed_size: 0
    .kernarg_segment_align: 8
    .kernarg_segment_size: 3024
    .language:       OpenCL C
    .language_version:
      - 2
      - 0
    .max_flat_workgroup_size: 1024
    .name:           _ZN2at6native12_GLOBAL__N_126CatArrayBatchedCopy_contigINS1_10OpaqueTypeILj1EEEjLi2ELi128ELi1EEEvPT_NS1_25CatArrInputTensorMetadataIS5_T0_XT2_EXT3_EEENS1_16TensorSizeStrideIS8_Lj4EEEiS8_
    .private_segment_fixed_size: 0
    .sgpr_count:     24
    .sgpr_spill_count: 0
    .symbol:         _ZN2at6native12_GLOBAL__N_126CatArrayBatchedCopy_contigINS1_10OpaqueTypeILj1EEEjLi2ELi128ELi1EEEvPT_NS1_25CatArrInputTensorMetadataIS5_T0_XT2_EXT3_EEENS1_16TensorSizeStrideIS8_Lj4EEEiS8_.kd
    .uniform_work_group_size: 1
    .uses_dynamic_stack: false
    .vgpr_count:     8
    .vgpr_spill_count: 0
    .wavefront_size: 64
  - .agpr_count:     0
    .args:
      - .address_space:  global
        .offset:         0
        .size:           8
        .value_kind:     global_buffer
      - .offset:         8
        .size:           2720
        .value_kind:     by_value
      - .offset:         2728
        .size:           32
        .value_kind:     by_value
      - .offset:         2760
        .size:           4
        .value_kind:     by_value
      - .offset:         2764
        .size:           4
        .value_kind:     by_value
      - .offset:         2768
        .size:           4
        .value_kind:     hidden_block_count_x
      - .offset:         2772
        .size:           4
        .value_kind:     hidden_block_count_y
      - .offset:         2776
        .size:           4
        .value_kind:     hidden_block_count_z
      - .offset:         2780
        .size:           2
        .value_kind:     hidden_group_size_x
      - .offset:         2782
        .size:           2
        .value_kind:     hidden_group_size_y
      - .offset:         2784
        .size:           2
        .value_kind:     hidden_group_size_z
      - .offset:         2786
        .size:           2
        .value_kind:     hidden_remainder_x
      - .offset:         2788
        .size:           2
        .value_kind:     hidden_remainder_y
      - .offset:         2790
        .size:           2
        .value_kind:     hidden_remainder_z
      - .offset:         2808
        .size:           8
        .value_kind:     hidden_global_offset_x
      - .offset:         2816
        .size:           8
        .value_kind:     hidden_global_offset_y
      - .offset:         2824
        .size:           8
        .value_kind:     hidden_global_offset_z
      - .offset:         2832
        .size:           2
        .value_kind:     hidden_grid_dims
    .group_segment_fixed_size: 0
    .kernarg_segment_align: 8
    .kernarg_segment_size: 3024
    .language:       OpenCL C
    .language_version:
      - 2
      - 0
    .max_flat_workgroup_size: 1024
    .name:           _ZN2at6native12_GLOBAL__N_119CatArrayBatchedCopyINS1_10OpaqueTypeILj1EEEjLi2ELi128ELi1EEEvPT_NS1_25CatArrInputTensorMetadataIS5_T0_XT2_EXT3_EEENS1_16TensorSizeStrideIS8_Lj4EEEiS8_
    .private_segment_fixed_size: 0
    .sgpr_count:     31
    .sgpr_spill_count: 0
    .symbol:         _ZN2at6native12_GLOBAL__N_119CatArrayBatchedCopyINS1_10OpaqueTypeILj1EEEjLi2ELi128ELi1EEEvPT_NS1_25CatArrInputTensorMetadataIS5_T0_XT2_EXT3_EEENS1_16TensorSizeStrideIS8_Lj4EEEiS8_.kd
    .uniform_work_group_size: 1
    .uses_dynamic_stack: false
    .vgpr_count:     9
    .vgpr_spill_count: 0
    .wavefront_size: 64
  - .agpr_count:     0
    .args:
      - .address_space:  global
        .offset:         0
        .size:           8
        .value_kind:     global_buffer
      - .offset:         8
        .size:           2720
        .value_kind:     by_value
      - .offset:         2728
        .size:           32
        .value_kind:     by_value
      - .offset:         2760
        .size:           4
        .value_kind:     by_value
      - .offset:         2764
        .size:           4
        .value_kind:     by_value
      - .offset:         2768
        .size:           4
        .value_kind:     hidden_block_count_x
      - .offset:         2772
        .size:           4
        .value_kind:     hidden_block_count_y
      - .offset:         2776
        .size:           4
        .value_kind:     hidden_block_count_z
      - .offset:         2780
        .size:           2
        .value_kind:     hidden_group_size_x
      - .offset:         2782
        .size:           2
        .value_kind:     hidden_group_size_y
      - .offset:         2784
        .size:           2
        .value_kind:     hidden_group_size_z
      - .offset:         2786
        .size:           2
        .value_kind:     hidden_remainder_x
      - .offset:         2788
        .size:           2
        .value_kind:     hidden_remainder_y
      - .offset:         2790
        .size:           2
        .value_kind:     hidden_remainder_z
      - .offset:         2808
        .size:           8
        .value_kind:     hidden_global_offset_x
      - .offset:         2816
        .size:           8
        .value_kind:     hidden_global_offset_y
      - .offset:         2824
        .size:           8
        .value_kind:     hidden_global_offset_z
      - .offset:         2832
        .size:           2
        .value_kind:     hidden_grid_dims
    .group_segment_fixed_size: 0
    .kernarg_segment_align: 8
    .kernarg_segment_size: 3024
    .language:       OpenCL C
    .language_version:
      - 2
      - 0
    .max_flat_workgroup_size: 1024
    .name:           _ZN2at6native12_GLOBAL__N_130CatArrayBatchedCopy_vectorizedINS1_10OpaqueTypeILj1EEEjLi3ELi128ELi1ELi16ELi16EEEvPcNS1_25CatArrInputTensorMetadataIT_T0_XT2_EXT3_EEENS1_16TensorSizeStrideIS8_Lj4EEEiS8_
    .private_segment_fixed_size: 0
    .sgpr_count:     30
    .sgpr_spill_count: 0
    .symbol:         _ZN2at6native12_GLOBAL__N_130CatArrayBatchedCopy_vectorizedINS1_10OpaqueTypeILj1EEEjLi3ELi128ELi1ELi16ELi16EEEvPcNS1_25CatArrInputTensorMetadataIT_T0_XT2_EXT3_EEENS1_16TensorSizeStrideIS8_Lj4EEEiS8_.kd
    .uniform_work_group_size: 1
    .uses_dynamic_stack: false
    .vgpr_count:     14
    .vgpr_spill_count: 0
    .wavefront_size: 64
  - .agpr_count:     0
    .args:
      - .address_space:  global
        .offset:         0
        .size:           8
        .value_kind:     global_buffer
      - .offset:         8
        .size:           2720
        .value_kind:     by_value
      - .offset:         2728
        .size:           32
        .value_kind:     by_value
      - .offset:         2760
        .size:           4
        .value_kind:     by_value
      - .offset:         2764
        .size:           4
        .value_kind:     by_value
      - .offset:         2768
        .size:           4
        .value_kind:     hidden_block_count_x
      - .offset:         2772
        .size:           4
        .value_kind:     hidden_block_count_y
      - .offset:         2776
        .size:           4
        .value_kind:     hidden_block_count_z
      - .offset:         2780
        .size:           2
        .value_kind:     hidden_group_size_x
      - .offset:         2782
        .size:           2
        .value_kind:     hidden_group_size_y
      - .offset:         2784
        .size:           2
        .value_kind:     hidden_group_size_z
      - .offset:         2786
        .size:           2
        .value_kind:     hidden_remainder_x
      - .offset:         2788
        .size:           2
        .value_kind:     hidden_remainder_y
      - .offset:         2790
        .size:           2
        .value_kind:     hidden_remainder_z
      - .offset:         2808
        .size:           8
        .value_kind:     hidden_global_offset_x
      - .offset:         2816
        .size:           8
        .value_kind:     hidden_global_offset_y
      - .offset:         2824
        .size:           8
        .value_kind:     hidden_global_offset_z
      - .offset:         2832
        .size:           2
        .value_kind:     hidden_grid_dims
    .group_segment_fixed_size: 0
    .kernarg_segment_align: 8
    .kernarg_segment_size: 3024
    .language:       OpenCL C
    .language_version:
      - 2
      - 0
    .max_flat_workgroup_size: 1024
    .name:           _ZN2at6native12_GLOBAL__N_135CatArrayBatchedCopy_alignedK_contigINS1_10OpaqueTypeILj1EEEjLi3ELi128ELi1ELi16EEEvPT_NS1_25CatArrInputTensorMetadataIS5_T0_XT2_EXT3_EEENS1_16TensorSizeStrideIS8_Lj4EEEiS8_
    .private_segment_fixed_size: 0
    .sgpr_count:     42
    .sgpr_spill_count: 0
    .symbol:         _ZN2at6native12_GLOBAL__N_135CatArrayBatchedCopy_alignedK_contigINS1_10OpaqueTypeILj1EEEjLi3ELi128ELi1ELi16EEEvPT_NS1_25CatArrInputTensorMetadataIS5_T0_XT2_EXT3_EEENS1_16TensorSizeStrideIS8_Lj4EEEiS8_.kd
    .uniform_work_group_size: 1
    .uses_dynamic_stack: false
    .vgpr_count:     53
    .vgpr_spill_count: 0
    .wavefront_size: 64
  - .agpr_count:     0
    .args:
      - .address_space:  global
        .offset:         0
        .size:           8
        .value_kind:     global_buffer
      - .offset:         8
        .size:           2720
        .value_kind:     by_value
      - .offset:         2728
        .size:           32
        .value_kind:     by_value
      - .offset:         2760
        .size:           4
        .value_kind:     by_value
      - .offset:         2764
        .size:           4
        .value_kind:     by_value
      - .offset:         2768
        .size:           4
        .value_kind:     hidden_block_count_x
      - .offset:         2772
        .size:           4
        .value_kind:     hidden_block_count_y
      - .offset:         2776
        .size:           4
        .value_kind:     hidden_block_count_z
      - .offset:         2780
        .size:           2
        .value_kind:     hidden_group_size_x
      - .offset:         2782
        .size:           2
        .value_kind:     hidden_group_size_y
      - .offset:         2784
        .size:           2
        .value_kind:     hidden_group_size_z
      - .offset:         2786
        .size:           2
        .value_kind:     hidden_remainder_x
      - .offset:         2788
        .size:           2
        .value_kind:     hidden_remainder_y
      - .offset:         2790
        .size:           2
        .value_kind:     hidden_remainder_z
      - .offset:         2808
        .size:           8
        .value_kind:     hidden_global_offset_x
      - .offset:         2816
        .size:           8
        .value_kind:     hidden_global_offset_y
      - .offset:         2824
        .size:           8
        .value_kind:     hidden_global_offset_z
      - .offset:         2832
        .size:           2
        .value_kind:     hidden_grid_dims
    .group_segment_fixed_size: 0
    .kernarg_segment_align: 8
    .kernarg_segment_size: 3024
    .language:       OpenCL C
    .language_version:
      - 2
      - 0
    .max_flat_workgroup_size: 1024
    .name:           _ZN2at6native12_GLOBAL__N_135CatArrayBatchedCopy_alignedK_contigINS1_10OpaqueTypeILj1EEEjLi3ELi128ELi1ELi8EEEvPT_NS1_25CatArrInputTensorMetadataIS5_T0_XT2_EXT3_EEENS1_16TensorSizeStrideIS8_Lj4EEEiS8_
    .private_segment_fixed_size: 0
    .sgpr_count:     42
    .sgpr_spill_count: 0
    .symbol:         _ZN2at6native12_GLOBAL__N_135CatArrayBatchedCopy_alignedK_contigINS1_10OpaqueTypeILj1EEEjLi3ELi128ELi1ELi8EEEvPT_NS1_25CatArrInputTensorMetadataIS5_T0_XT2_EXT3_EEENS1_16TensorSizeStrideIS8_Lj4EEEiS8_.kd
    .uniform_work_group_size: 1
    .uses_dynamic_stack: false
    .vgpr_count:     52
    .vgpr_spill_count: 0
    .wavefront_size: 64
  - .agpr_count:     0
    .args:
      - .address_space:  global
        .offset:         0
        .size:           8
        .value_kind:     global_buffer
      - .offset:         8
        .size:           2720
        .value_kind:     by_value
      - .offset:         2728
        .size:           32
        .value_kind:     by_value
      - .offset:         2760
        .size:           4
        .value_kind:     by_value
      - .offset:         2764
        .size:           4
        .value_kind:     by_value
      - .offset:         2768
        .size:           4
        .value_kind:     hidden_block_count_x
      - .offset:         2772
        .size:           4
        .value_kind:     hidden_block_count_y
      - .offset:         2776
        .size:           4
        .value_kind:     hidden_block_count_z
      - .offset:         2780
        .size:           2
        .value_kind:     hidden_group_size_x
      - .offset:         2782
        .size:           2
        .value_kind:     hidden_group_size_y
      - .offset:         2784
        .size:           2
        .value_kind:     hidden_group_size_z
      - .offset:         2786
        .size:           2
        .value_kind:     hidden_remainder_x
      - .offset:         2788
        .size:           2
        .value_kind:     hidden_remainder_y
      - .offset:         2790
        .size:           2
        .value_kind:     hidden_remainder_z
      - .offset:         2808
        .size:           8
        .value_kind:     hidden_global_offset_x
      - .offset:         2816
        .size:           8
        .value_kind:     hidden_global_offset_y
      - .offset:         2824
        .size:           8
        .value_kind:     hidden_global_offset_z
      - .offset:         2832
        .size:           2
        .value_kind:     hidden_grid_dims
    .group_segment_fixed_size: 0
    .kernarg_segment_align: 8
    .kernarg_segment_size: 3024
    .language:       OpenCL C
    .language_version:
      - 2
      - 0
    .max_flat_workgroup_size: 1024
    .name:           _ZN2at6native12_GLOBAL__N_126CatArrayBatchedCopy_contigINS1_10OpaqueTypeILj1EEEjLi3ELi128ELi1EEEvPT_NS1_25CatArrInputTensorMetadataIS5_T0_XT2_EXT3_EEENS1_16TensorSizeStrideIS8_Lj4EEEiS8_
    .private_segment_fixed_size: 0
    .sgpr_count:     30
    .sgpr_spill_count: 0
    .symbol:         _ZN2at6native12_GLOBAL__N_126CatArrayBatchedCopy_contigINS1_10OpaqueTypeILj1EEEjLi3ELi128ELi1EEEvPT_NS1_25CatArrInputTensorMetadataIS5_T0_XT2_EXT3_EEENS1_16TensorSizeStrideIS8_Lj4EEEiS8_.kd
    .uniform_work_group_size: 1
    .uses_dynamic_stack: false
    .vgpr_count:     9
    .vgpr_spill_count: 0
    .wavefront_size: 64
  - .agpr_count:     0
    .args:
      - .address_space:  global
        .offset:         0
        .size:           8
        .value_kind:     global_buffer
      - .offset:         8
        .size:           2720
        .value_kind:     by_value
      - .offset:         2728
        .size:           32
        .value_kind:     by_value
      - .offset:         2760
        .size:           4
        .value_kind:     by_value
      - .offset:         2764
        .size:           4
        .value_kind:     by_value
      - .offset:         2768
        .size:           4
        .value_kind:     hidden_block_count_x
      - .offset:         2772
        .size:           4
        .value_kind:     hidden_block_count_y
      - .offset:         2776
        .size:           4
        .value_kind:     hidden_block_count_z
      - .offset:         2780
        .size:           2
        .value_kind:     hidden_group_size_x
      - .offset:         2782
        .size:           2
        .value_kind:     hidden_group_size_y
      - .offset:         2784
        .size:           2
        .value_kind:     hidden_group_size_z
      - .offset:         2786
        .size:           2
        .value_kind:     hidden_remainder_x
      - .offset:         2788
        .size:           2
        .value_kind:     hidden_remainder_y
      - .offset:         2790
        .size:           2
        .value_kind:     hidden_remainder_z
      - .offset:         2808
        .size:           8
        .value_kind:     hidden_global_offset_x
      - .offset:         2816
        .size:           8
        .value_kind:     hidden_global_offset_y
      - .offset:         2824
        .size:           8
        .value_kind:     hidden_global_offset_z
      - .offset:         2832
        .size:           2
        .value_kind:     hidden_grid_dims
    .group_segment_fixed_size: 0
    .kernarg_segment_align: 8
    .kernarg_segment_size: 3024
    .language:       OpenCL C
    .language_version:
      - 2
      - 0
    .max_flat_workgroup_size: 1024
    .name:           _ZN2at6native12_GLOBAL__N_119CatArrayBatchedCopyINS1_10OpaqueTypeILj1EEEjLi3ELi128ELi1EEEvPT_NS1_25CatArrInputTensorMetadataIS5_T0_XT2_EXT3_EEENS1_16TensorSizeStrideIS8_Lj4EEEiS8_
    .private_segment_fixed_size: 0
    .sgpr_count:     37
    .sgpr_spill_count: 0
    .symbol:         _ZN2at6native12_GLOBAL__N_119CatArrayBatchedCopyINS1_10OpaqueTypeILj1EEEjLi3ELi128ELi1EEEvPT_NS1_25CatArrInputTensorMetadataIS5_T0_XT2_EXT3_EEENS1_16TensorSizeStrideIS8_Lj4EEEiS8_.kd
    .uniform_work_group_size: 1
    .uses_dynamic_stack: false
    .vgpr_count:     12
    .vgpr_spill_count: 0
    .wavefront_size: 64
  - .agpr_count:     0
    .args:
      - .address_space:  global
        .offset:         0
        .size:           8
        .value_kind:     global_buffer
      - .offset:         8
        .size:           2720
        .value_kind:     by_value
      - .offset:         2728
        .size:           32
        .value_kind:     by_value
      - .offset:         2760
        .size:           4
        .value_kind:     by_value
      - .offset:         2764
        .size:           4
        .value_kind:     by_value
      - .offset:         2768
        .size:           4
        .value_kind:     hidden_block_count_x
      - .offset:         2772
        .size:           4
        .value_kind:     hidden_block_count_y
      - .offset:         2776
        .size:           4
        .value_kind:     hidden_block_count_z
      - .offset:         2780
        .size:           2
        .value_kind:     hidden_group_size_x
      - .offset:         2782
        .size:           2
        .value_kind:     hidden_group_size_y
      - .offset:         2784
        .size:           2
        .value_kind:     hidden_group_size_z
      - .offset:         2786
        .size:           2
        .value_kind:     hidden_remainder_x
      - .offset:         2788
        .size:           2
        .value_kind:     hidden_remainder_y
      - .offset:         2790
        .size:           2
        .value_kind:     hidden_remainder_z
      - .offset:         2808
        .size:           8
        .value_kind:     hidden_global_offset_x
      - .offset:         2816
        .size:           8
        .value_kind:     hidden_global_offset_y
      - .offset:         2824
        .size:           8
        .value_kind:     hidden_global_offset_z
      - .offset:         2832
        .size:           2
        .value_kind:     hidden_grid_dims
    .group_segment_fixed_size: 0
    .kernarg_segment_align: 8
    .kernarg_segment_size: 3024
    .language:       OpenCL C
    .language_version:
      - 2
      - 0
    .max_flat_workgroup_size: 1024
    .name:           _ZN2at6native12_GLOBAL__N_130CatArrayBatchedCopy_vectorizedINS1_10OpaqueTypeILj1EEEjLi4ELi128ELi1ELi16ELi16EEEvPcNS1_25CatArrInputTensorMetadataIT_T0_XT2_EXT3_EEENS1_16TensorSizeStrideIS8_Lj4EEEiS8_
    .private_segment_fixed_size: 0
    .sgpr_count:     30
    .sgpr_spill_count: 0
    .symbol:         _ZN2at6native12_GLOBAL__N_130CatArrayBatchedCopy_vectorizedINS1_10OpaqueTypeILj1EEEjLi4ELi128ELi1ELi16ELi16EEEvPcNS1_25CatArrInputTensorMetadataIT_T0_XT2_EXT3_EEENS1_16TensorSizeStrideIS8_Lj4EEEiS8_.kd
    .uniform_work_group_size: 1
    .uses_dynamic_stack: false
    .vgpr_count:     16
    .vgpr_spill_count: 0
    .wavefront_size: 64
  - .agpr_count:     0
    .args:
      - .address_space:  global
        .offset:         0
        .size:           8
        .value_kind:     global_buffer
      - .offset:         8
        .size:           2720
        .value_kind:     by_value
      - .offset:         2728
        .size:           32
        .value_kind:     by_value
      - .offset:         2760
        .size:           4
        .value_kind:     by_value
      - .offset:         2764
        .size:           4
        .value_kind:     by_value
      - .offset:         2768
        .size:           4
        .value_kind:     hidden_block_count_x
      - .offset:         2772
        .size:           4
        .value_kind:     hidden_block_count_y
      - .offset:         2776
        .size:           4
        .value_kind:     hidden_block_count_z
      - .offset:         2780
        .size:           2
        .value_kind:     hidden_group_size_x
      - .offset:         2782
        .size:           2
        .value_kind:     hidden_group_size_y
      - .offset:         2784
        .size:           2
        .value_kind:     hidden_group_size_z
      - .offset:         2786
        .size:           2
        .value_kind:     hidden_remainder_x
      - .offset:         2788
        .size:           2
        .value_kind:     hidden_remainder_y
      - .offset:         2790
        .size:           2
        .value_kind:     hidden_remainder_z
      - .offset:         2808
        .size:           8
        .value_kind:     hidden_global_offset_x
      - .offset:         2816
        .size:           8
        .value_kind:     hidden_global_offset_y
      - .offset:         2824
        .size:           8
        .value_kind:     hidden_global_offset_z
      - .offset:         2832
        .size:           2
        .value_kind:     hidden_grid_dims
    .group_segment_fixed_size: 0
    .kernarg_segment_align: 8
    .kernarg_segment_size: 3024
    .language:       OpenCL C
    .language_version:
      - 2
      - 0
    .max_flat_workgroup_size: 1024
    .name:           _ZN2at6native12_GLOBAL__N_135CatArrayBatchedCopy_alignedK_contigINS1_10OpaqueTypeILj1EEEjLi4ELi128ELi1ELi16EEEvPT_NS1_25CatArrInputTensorMetadataIS5_T0_XT2_EXT3_EEENS1_16TensorSizeStrideIS8_Lj4EEEiS8_
    .private_segment_fixed_size: 0
    .sgpr_count:     36
    .sgpr_spill_count: 0
    .symbol:         _ZN2at6native12_GLOBAL__N_135CatArrayBatchedCopy_alignedK_contigINS1_10OpaqueTypeILj1EEEjLi4ELi128ELi1ELi16EEEvPT_NS1_25CatArrInputTensorMetadataIS5_T0_XT2_EXT3_EEENS1_16TensorSizeStrideIS8_Lj4EEEiS8_.kd
    .uniform_work_group_size: 1
    .uses_dynamic_stack: false
    .vgpr_count:     50
    .vgpr_spill_count: 0
    .wavefront_size: 64
  - .agpr_count:     0
    .args:
      - .address_space:  global
        .offset:         0
        .size:           8
        .value_kind:     global_buffer
      - .offset:         8
        .size:           2720
        .value_kind:     by_value
      - .offset:         2728
        .size:           32
        .value_kind:     by_value
      - .offset:         2760
        .size:           4
        .value_kind:     by_value
      - .offset:         2764
        .size:           4
        .value_kind:     by_value
      - .offset:         2768
        .size:           4
        .value_kind:     hidden_block_count_x
      - .offset:         2772
        .size:           4
        .value_kind:     hidden_block_count_y
      - .offset:         2776
        .size:           4
        .value_kind:     hidden_block_count_z
      - .offset:         2780
        .size:           2
        .value_kind:     hidden_group_size_x
      - .offset:         2782
        .size:           2
        .value_kind:     hidden_group_size_y
      - .offset:         2784
        .size:           2
        .value_kind:     hidden_group_size_z
      - .offset:         2786
        .size:           2
        .value_kind:     hidden_remainder_x
      - .offset:         2788
        .size:           2
        .value_kind:     hidden_remainder_y
      - .offset:         2790
        .size:           2
        .value_kind:     hidden_remainder_z
      - .offset:         2808
        .size:           8
        .value_kind:     hidden_global_offset_x
      - .offset:         2816
        .size:           8
        .value_kind:     hidden_global_offset_y
      - .offset:         2824
        .size:           8
        .value_kind:     hidden_global_offset_z
      - .offset:         2832
        .size:           2
        .value_kind:     hidden_grid_dims
    .group_segment_fixed_size: 0
    .kernarg_segment_align: 8
    .kernarg_segment_size: 3024
    .language:       OpenCL C
    .language_version:
      - 2
      - 0
    .max_flat_workgroup_size: 1024
    .name:           _ZN2at6native12_GLOBAL__N_135CatArrayBatchedCopy_alignedK_contigINS1_10OpaqueTypeILj1EEEjLi4ELi128ELi1ELi8EEEvPT_NS1_25CatArrInputTensorMetadataIS5_T0_XT2_EXT3_EEENS1_16TensorSizeStrideIS8_Lj4EEEiS8_
    .private_segment_fixed_size: 0
    .sgpr_count:     35
    .sgpr_spill_count: 0
    .symbol:         _ZN2at6native12_GLOBAL__N_135CatArrayBatchedCopy_alignedK_contigINS1_10OpaqueTypeILj1EEEjLi4ELi128ELi1ELi8EEEvPT_NS1_25CatArrInputTensorMetadataIS5_T0_XT2_EXT3_EEENS1_16TensorSizeStrideIS8_Lj4EEEiS8_.kd
    .uniform_work_group_size: 1
    .uses_dynamic_stack: false
    .vgpr_count:     23
    .vgpr_spill_count: 0
    .wavefront_size: 64
  - .agpr_count:     0
    .args:
      - .address_space:  global
        .offset:         0
        .size:           8
        .value_kind:     global_buffer
      - .offset:         8
        .size:           2720
        .value_kind:     by_value
      - .offset:         2728
        .size:           32
        .value_kind:     by_value
      - .offset:         2760
        .size:           4
        .value_kind:     by_value
      - .offset:         2764
        .size:           4
        .value_kind:     by_value
      - .offset:         2768
        .size:           4
        .value_kind:     hidden_block_count_x
      - .offset:         2772
        .size:           4
        .value_kind:     hidden_block_count_y
      - .offset:         2776
        .size:           4
        .value_kind:     hidden_block_count_z
      - .offset:         2780
        .size:           2
        .value_kind:     hidden_group_size_x
      - .offset:         2782
        .size:           2
        .value_kind:     hidden_group_size_y
      - .offset:         2784
        .size:           2
        .value_kind:     hidden_group_size_z
      - .offset:         2786
        .size:           2
        .value_kind:     hidden_remainder_x
      - .offset:         2788
        .size:           2
        .value_kind:     hidden_remainder_y
      - .offset:         2790
        .size:           2
        .value_kind:     hidden_remainder_z
      - .offset:         2808
        .size:           8
        .value_kind:     hidden_global_offset_x
      - .offset:         2816
        .size:           8
        .value_kind:     hidden_global_offset_y
      - .offset:         2824
        .size:           8
        .value_kind:     hidden_global_offset_z
      - .offset:         2832
        .size:           2
        .value_kind:     hidden_grid_dims
    .group_segment_fixed_size: 0
    .kernarg_segment_align: 8
    .kernarg_segment_size: 3024
    .language:       OpenCL C
    .language_version:
      - 2
      - 0
    .max_flat_workgroup_size: 1024
    .name:           _ZN2at6native12_GLOBAL__N_126CatArrayBatchedCopy_contigINS1_10OpaqueTypeILj1EEEjLi4ELi128ELi1EEEvPT_NS1_25CatArrInputTensorMetadataIS5_T0_XT2_EXT3_EEENS1_16TensorSizeStrideIS8_Lj4EEEiS8_
    .private_segment_fixed_size: 0
    .sgpr_count:     33
    .sgpr_spill_count: 0
    .symbol:         _ZN2at6native12_GLOBAL__N_126CatArrayBatchedCopy_contigINS1_10OpaqueTypeILj1EEEjLi4ELi128ELi1EEEvPT_NS1_25CatArrInputTensorMetadataIS5_T0_XT2_EXT3_EEENS1_16TensorSizeStrideIS8_Lj4EEEiS8_.kd
    .uniform_work_group_size: 1
    .uses_dynamic_stack: false
    .vgpr_count:     12
    .vgpr_spill_count: 0
    .wavefront_size: 64
  - .agpr_count:     0
    .args:
      - .address_space:  global
        .offset:         0
        .size:           8
        .value_kind:     global_buffer
      - .offset:         8
        .size:           2720
        .value_kind:     by_value
      - .offset:         2728
        .size:           32
        .value_kind:     by_value
      - .offset:         2760
        .size:           4
        .value_kind:     by_value
      - .offset:         2764
        .size:           4
        .value_kind:     by_value
      - .offset:         2768
        .size:           4
        .value_kind:     hidden_block_count_x
      - .offset:         2772
        .size:           4
        .value_kind:     hidden_block_count_y
      - .offset:         2776
        .size:           4
        .value_kind:     hidden_block_count_z
      - .offset:         2780
        .size:           2
        .value_kind:     hidden_group_size_x
      - .offset:         2782
        .size:           2
        .value_kind:     hidden_group_size_y
      - .offset:         2784
        .size:           2
        .value_kind:     hidden_group_size_z
      - .offset:         2786
        .size:           2
        .value_kind:     hidden_remainder_x
      - .offset:         2788
        .size:           2
        .value_kind:     hidden_remainder_y
      - .offset:         2790
        .size:           2
        .value_kind:     hidden_remainder_z
      - .offset:         2808
        .size:           8
        .value_kind:     hidden_global_offset_x
      - .offset:         2816
        .size:           8
        .value_kind:     hidden_global_offset_y
      - .offset:         2824
        .size:           8
        .value_kind:     hidden_global_offset_z
      - .offset:         2832
        .size:           2
        .value_kind:     hidden_grid_dims
    .group_segment_fixed_size: 0
    .kernarg_segment_align: 8
    .kernarg_segment_size: 3024
    .language:       OpenCL C
    .language_version:
      - 2
      - 0
    .max_flat_workgroup_size: 1024
    .name:           _ZN2at6native12_GLOBAL__N_119CatArrayBatchedCopyINS1_10OpaqueTypeILj1EEEjLi4ELi128ELi1EEEvPT_NS1_25CatArrInputTensorMetadataIS5_T0_XT2_EXT3_EEENS1_16TensorSizeStrideIS8_Lj4EEEiS8_
    .private_segment_fixed_size: 0
    .sgpr_count:     42
    .sgpr_spill_count: 0
    .symbol:         _ZN2at6native12_GLOBAL__N_119CatArrayBatchedCopyINS1_10OpaqueTypeILj1EEEjLi4ELi128ELi1EEEvPT_NS1_25CatArrInputTensorMetadataIS5_T0_XT2_EXT3_EEENS1_16TensorSizeStrideIS8_Lj4EEEiS8_.kd
    .uniform_work_group_size: 1
    .uses_dynamic_stack: false
    .vgpr_count:     15
    .vgpr_spill_count: 0
    .wavefront_size: 64
  - .agpr_count:     0
    .args:
      - .address_space:  global
        .offset:         0
        .size:           8
        .value_kind:     global_buffer
      - .offset:         8
        .size:           2720
        .value_kind:     by_value
      - .offset:         2728
        .size:           32
        .value_kind:     by_value
      - .offset:         2760
        .size:           4
        .value_kind:     by_value
      - .offset:         2764
        .size:           4
        .value_kind:     by_value
      - .offset:         2768
        .size:           4
        .value_kind:     hidden_block_count_x
      - .offset:         2772
        .size:           4
        .value_kind:     hidden_block_count_y
      - .offset:         2776
        .size:           4
        .value_kind:     hidden_block_count_z
      - .offset:         2780
        .size:           2
        .value_kind:     hidden_group_size_x
      - .offset:         2782
        .size:           2
        .value_kind:     hidden_group_size_y
      - .offset:         2784
        .size:           2
        .value_kind:     hidden_group_size_z
      - .offset:         2786
        .size:           2
        .value_kind:     hidden_remainder_x
      - .offset:         2788
        .size:           2
        .value_kind:     hidden_remainder_y
      - .offset:         2790
        .size:           2
        .value_kind:     hidden_remainder_z
      - .offset:         2808
        .size:           8
        .value_kind:     hidden_global_offset_x
      - .offset:         2816
        .size:           8
        .value_kind:     hidden_global_offset_y
      - .offset:         2824
        .size:           8
        .value_kind:     hidden_global_offset_z
      - .offset:         2832
        .size:           2
        .value_kind:     hidden_grid_dims
    .group_segment_fixed_size: 0
    .kernarg_segment_align: 8
    .kernarg_segment_size: 3024
    .language:       OpenCL C
    .language_version:
      - 2
      - 0
    .max_flat_workgroup_size: 1024
    .name:           _ZN2at6native12_GLOBAL__N_130CatArrayBatchedCopy_vectorizedINS1_10OpaqueTypeILj2EEEjLi1ELi128ELi1ELi16ELi8EEEvPcNS1_25CatArrInputTensorMetadataIT_T0_XT2_EXT3_EEENS1_16TensorSizeStrideIS8_Lj4EEEiS8_
    .private_segment_fixed_size: 0
    .sgpr_count:     25
    .sgpr_spill_count: 0
    .symbol:         _ZN2at6native12_GLOBAL__N_130CatArrayBatchedCopy_vectorizedINS1_10OpaqueTypeILj2EEEjLi1ELi128ELi1ELi16ELi8EEEvPcNS1_25CatArrInputTensorMetadataIT_T0_XT2_EXT3_EEENS1_16TensorSizeStrideIS8_Lj4EEEiS8_.kd
    .uniform_work_group_size: 1
    .uses_dynamic_stack: false
    .vgpr_count:     10
    .vgpr_spill_count: 0
    .wavefront_size: 64
  - .agpr_count:     0
    .args:
      - .address_space:  global
        .offset:         0
        .size:           8
        .value_kind:     global_buffer
      - .offset:         8
        .size:           2720
        .value_kind:     by_value
      - .offset:         2728
        .size:           32
        .value_kind:     by_value
      - .offset:         2760
        .size:           4
        .value_kind:     by_value
      - .offset:         2764
        .size:           4
        .value_kind:     by_value
      - .offset:         2768
        .size:           4
        .value_kind:     hidden_block_count_x
      - .offset:         2772
        .size:           4
        .value_kind:     hidden_block_count_y
      - .offset:         2776
        .size:           4
        .value_kind:     hidden_block_count_z
      - .offset:         2780
        .size:           2
        .value_kind:     hidden_group_size_x
      - .offset:         2782
        .size:           2
        .value_kind:     hidden_group_size_y
      - .offset:         2784
        .size:           2
        .value_kind:     hidden_group_size_z
      - .offset:         2786
        .size:           2
        .value_kind:     hidden_remainder_x
      - .offset:         2788
        .size:           2
        .value_kind:     hidden_remainder_y
      - .offset:         2790
        .size:           2
        .value_kind:     hidden_remainder_z
      - .offset:         2808
        .size:           8
        .value_kind:     hidden_global_offset_x
      - .offset:         2816
        .size:           8
        .value_kind:     hidden_global_offset_y
      - .offset:         2824
        .size:           8
        .value_kind:     hidden_global_offset_z
      - .offset:         2832
        .size:           2
        .value_kind:     hidden_grid_dims
    .group_segment_fixed_size: 0
    .kernarg_segment_align: 8
    .kernarg_segment_size: 3024
    .language:       OpenCL C
    .language_version:
      - 2
      - 0
    .max_flat_workgroup_size: 1024
    .name:           _ZN2at6native12_GLOBAL__N_135CatArrayBatchedCopy_alignedK_contigINS1_10OpaqueTypeILj2EEEjLi1ELi128ELi1ELi16EEEvPT_NS1_25CatArrInputTensorMetadataIS5_T0_XT2_EXT3_EEENS1_16TensorSizeStrideIS8_Lj4EEEiS8_
    .private_segment_fixed_size: 0
    .sgpr_count:     23
    .sgpr_spill_count: 0
    .symbol:         _ZN2at6native12_GLOBAL__N_135CatArrayBatchedCopy_alignedK_contigINS1_10OpaqueTypeILj2EEEjLi1ELi128ELi1ELi16EEEvPT_NS1_25CatArrInputTensorMetadataIS5_T0_XT2_EXT3_EEENS1_16TensorSizeStrideIS8_Lj4EEEiS8_.kd
    .uniform_work_group_size: 1
    .uses_dynamic_stack: false
    .vgpr_count:     31
    .vgpr_spill_count: 0
    .wavefront_size: 64
  - .agpr_count:     0
    .args:
      - .address_space:  global
        .offset:         0
        .size:           8
        .value_kind:     global_buffer
      - .offset:         8
        .size:           2720
        .value_kind:     by_value
      - .offset:         2728
        .size:           32
        .value_kind:     by_value
      - .offset:         2760
        .size:           4
        .value_kind:     by_value
      - .offset:         2764
        .size:           4
        .value_kind:     by_value
      - .offset:         2768
        .size:           4
        .value_kind:     hidden_block_count_x
      - .offset:         2772
        .size:           4
        .value_kind:     hidden_block_count_y
      - .offset:         2776
        .size:           4
        .value_kind:     hidden_block_count_z
      - .offset:         2780
        .size:           2
        .value_kind:     hidden_group_size_x
      - .offset:         2782
        .size:           2
        .value_kind:     hidden_group_size_y
      - .offset:         2784
        .size:           2
        .value_kind:     hidden_group_size_z
      - .offset:         2786
        .size:           2
        .value_kind:     hidden_remainder_x
      - .offset:         2788
        .size:           2
        .value_kind:     hidden_remainder_y
      - .offset:         2790
        .size:           2
        .value_kind:     hidden_remainder_z
      - .offset:         2808
        .size:           8
        .value_kind:     hidden_global_offset_x
      - .offset:         2816
        .size:           8
        .value_kind:     hidden_global_offset_y
      - .offset:         2824
        .size:           8
        .value_kind:     hidden_global_offset_z
      - .offset:         2832
        .size:           2
        .value_kind:     hidden_grid_dims
    .group_segment_fixed_size: 0
    .kernarg_segment_align: 8
    .kernarg_segment_size: 3024
    .language:       OpenCL C
    .language_version:
      - 2
      - 0
    .max_flat_workgroup_size: 1024
    .name:           _ZN2at6native12_GLOBAL__N_135CatArrayBatchedCopy_alignedK_contigINS1_10OpaqueTypeILj2EEEjLi1ELi128ELi1ELi8EEEvPT_NS1_25CatArrInputTensorMetadataIS5_T0_XT2_EXT3_EEENS1_16TensorSizeStrideIS8_Lj4EEEiS8_
    .private_segment_fixed_size: 0
    .sgpr_count:     23
    .sgpr_spill_count: 0
    .symbol:         _ZN2at6native12_GLOBAL__N_135CatArrayBatchedCopy_alignedK_contigINS1_10OpaqueTypeILj2EEEjLi1ELi128ELi1ELi8EEEvPT_NS1_25CatArrInputTensorMetadataIS5_T0_XT2_EXT3_EEENS1_16TensorSizeStrideIS8_Lj4EEEiS8_.kd
    .uniform_work_group_size: 1
    .uses_dynamic_stack: false
    .vgpr_count:     17
    .vgpr_spill_count: 0
    .wavefront_size: 64
  - .agpr_count:     0
    .args:
      - .address_space:  global
        .offset:         0
        .size:           8
        .value_kind:     global_buffer
      - .offset:         8
        .size:           2720
        .value_kind:     by_value
      - .offset:         2728
        .size:           32
        .value_kind:     by_value
      - .offset:         2760
        .size:           4
        .value_kind:     by_value
      - .offset:         2764
        .size:           4
        .value_kind:     by_value
      - .offset:         2768
        .size:           4
        .value_kind:     hidden_block_count_x
      - .offset:         2772
        .size:           4
        .value_kind:     hidden_block_count_y
      - .offset:         2776
        .size:           4
        .value_kind:     hidden_block_count_z
      - .offset:         2780
        .size:           2
        .value_kind:     hidden_group_size_x
      - .offset:         2782
        .size:           2
        .value_kind:     hidden_group_size_y
      - .offset:         2784
        .size:           2
        .value_kind:     hidden_group_size_z
      - .offset:         2786
        .size:           2
        .value_kind:     hidden_remainder_x
      - .offset:         2788
        .size:           2
        .value_kind:     hidden_remainder_y
      - .offset:         2790
        .size:           2
        .value_kind:     hidden_remainder_z
      - .offset:         2808
        .size:           8
        .value_kind:     hidden_global_offset_x
      - .offset:         2816
        .size:           8
        .value_kind:     hidden_global_offset_y
      - .offset:         2824
        .size:           8
        .value_kind:     hidden_global_offset_z
      - .offset:         2832
        .size:           2
        .value_kind:     hidden_grid_dims
    .group_segment_fixed_size: 0
    .kernarg_segment_align: 8
    .kernarg_segment_size: 3024
    .language:       OpenCL C
    .language_version:
      - 2
      - 0
    .max_flat_workgroup_size: 1024
    .name:           _ZN2at6native12_GLOBAL__N_126CatArrayBatchedCopy_contigINS1_10OpaqueTypeILj2EEEjLi1ELi128ELi1EEEvPT_NS1_25CatArrInputTensorMetadataIS5_T0_XT2_EXT3_EEENS1_16TensorSizeStrideIS8_Lj4EEEiS8_
    .private_segment_fixed_size: 0
    .sgpr_count:     22
    .sgpr_spill_count: 0
    .symbol:         _ZN2at6native12_GLOBAL__N_126CatArrayBatchedCopy_contigINS1_10OpaqueTypeILj2EEEjLi1ELi128ELi1EEEvPT_NS1_25CatArrInputTensorMetadataIS5_T0_XT2_EXT3_EEENS1_16TensorSizeStrideIS8_Lj4EEEiS8_.kd
    .uniform_work_group_size: 1
    .uses_dynamic_stack: false
    .vgpr_count:     7
    .vgpr_spill_count: 0
    .wavefront_size: 64
  - .agpr_count:     0
    .args:
      - .address_space:  global
        .offset:         0
        .size:           8
        .value_kind:     global_buffer
      - .offset:         8
        .size:           2720
        .value_kind:     by_value
      - .offset:         2728
        .size:           32
        .value_kind:     by_value
      - .offset:         2760
        .size:           4
        .value_kind:     by_value
      - .offset:         2764
        .size:           4
        .value_kind:     by_value
      - .offset:         2768
        .size:           4
        .value_kind:     hidden_block_count_x
      - .offset:         2772
        .size:           4
        .value_kind:     hidden_block_count_y
      - .offset:         2776
        .size:           4
        .value_kind:     hidden_block_count_z
      - .offset:         2780
        .size:           2
        .value_kind:     hidden_group_size_x
      - .offset:         2782
        .size:           2
        .value_kind:     hidden_group_size_y
      - .offset:         2784
        .size:           2
        .value_kind:     hidden_group_size_z
      - .offset:         2786
        .size:           2
        .value_kind:     hidden_remainder_x
      - .offset:         2788
        .size:           2
        .value_kind:     hidden_remainder_y
      - .offset:         2790
        .size:           2
        .value_kind:     hidden_remainder_z
      - .offset:         2808
        .size:           8
        .value_kind:     hidden_global_offset_x
      - .offset:         2816
        .size:           8
        .value_kind:     hidden_global_offset_y
      - .offset:         2824
        .size:           8
        .value_kind:     hidden_global_offset_z
      - .offset:         2832
        .size:           2
        .value_kind:     hidden_grid_dims
    .group_segment_fixed_size: 0
    .kernarg_segment_align: 8
    .kernarg_segment_size: 3024
    .language:       OpenCL C
    .language_version:
      - 2
      - 0
    .max_flat_workgroup_size: 1024
    .name:           _ZN2at6native12_GLOBAL__N_119CatArrayBatchedCopyINS1_10OpaqueTypeILj2EEEjLi1ELi128ELi1EEEvPT_NS1_25CatArrInputTensorMetadataIS5_T0_XT2_EXT3_EEENS1_16TensorSizeStrideIS8_Lj4EEEiS8_
    .private_segment_fixed_size: 0
    .sgpr_count:     25
    .sgpr_spill_count: 0
    .symbol:         _ZN2at6native12_GLOBAL__N_119CatArrayBatchedCopyINS1_10OpaqueTypeILj2EEEjLi1ELi128ELi1EEEvPT_NS1_25CatArrInputTensorMetadataIS5_T0_XT2_EXT3_EEENS1_16TensorSizeStrideIS8_Lj4EEEiS8_.kd
    .uniform_work_group_size: 1
    .uses_dynamic_stack: false
    .vgpr_count:     8
    .vgpr_spill_count: 0
    .wavefront_size: 64
  - .agpr_count:     0
    .args:
      - .address_space:  global
        .offset:         0
        .size:           8
        .value_kind:     global_buffer
      - .offset:         8
        .size:           2720
        .value_kind:     by_value
      - .offset:         2728
        .size:           32
        .value_kind:     by_value
      - .offset:         2760
        .size:           4
        .value_kind:     by_value
      - .offset:         2764
        .size:           4
        .value_kind:     by_value
      - .offset:         2768
        .size:           4
        .value_kind:     hidden_block_count_x
      - .offset:         2772
        .size:           4
        .value_kind:     hidden_block_count_y
      - .offset:         2776
        .size:           4
        .value_kind:     hidden_block_count_z
      - .offset:         2780
        .size:           2
        .value_kind:     hidden_group_size_x
      - .offset:         2782
        .size:           2
        .value_kind:     hidden_group_size_y
      - .offset:         2784
        .size:           2
        .value_kind:     hidden_group_size_z
      - .offset:         2786
        .size:           2
        .value_kind:     hidden_remainder_x
      - .offset:         2788
        .size:           2
        .value_kind:     hidden_remainder_y
      - .offset:         2790
        .size:           2
        .value_kind:     hidden_remainder_z
      - .offset:         2808
        .size:           8
        .value_kind:     hidden_global_offset_x
      - .offset:         2816
        .size:           8
        .value_kind:     hidden_global_offset_y
      - .offset:         2824
        .size:           8
        .value_kind:     hidden_global_offset_z
      - .offset:         2832
        .size:           2
        .value_kind:     hidden_grid_dims
    .group_segment_fixed_size: 0
    .kernarg_segment_align: 8
    .kernarg_segment_size: 3024
    .language:       OpenCL C
    .language_version:
      - 2
      - 0
    .max_flat_workgroup_size: 1024
    .name:           _ZN2at6native12_GLOBAL__N_130CatArrayBatchedCopy_vectorizedINS1_10OpaqueTypeILj2EEEjLi2ELi128ELi1ELi16ELi8EEEvPcNS1_25CatArrInputTensorMetadataIT_T0_XT2_EXT3_EEENS1_16TensorSizeStrideIS8_Lj4EEEiS8_
    .private_segment_fixed_size: 0
    .sgpr_count:     24
    .sgpr_spill_count: 0
    .symbol:         _ZN2at6native12_GLOBAL__N_130CatArrayBatchedCopy_vectorizedINS1_10OpaqueTypeILj2EEEjLi2ELi128ELi1ELi16ELi8EEEvPcNS1_25CatArrInputTensorMetadataIT_T0_XT2_EXT3_EEENS1_16TensorSizeStrideIS8_Lj4EEEiS8_.kd
    .uniform_work_group_size: 1
    .uses_dynamic_stack: false
    .vgpr_count:     12
    .vgpr_spill_count: 0
    .wavefront_size: 64
  - .agpr_count:     0
    .args:
      - .address_space:  global
        .offset:         0
        .size:           8
        .value_kind:     global_buffer
      - .offset:         8
        .size:           2720
        .value_kind:     by_value
      - .offset:         2728
        .size:           32
        .value_kind:     by_value
      - .offset:         2760
        .size:           4
        .value_kind:     by_value
      - .offset:         2764
        .size:           4
        .value_kind:     by_value
      - .offset:         2768
        .size:           4
        .value_kind:     hidden_block_count_x
      - .offset:         2772
        .size:           4
        .value_kind:     hidden_block_count_y
      - .offset:         2776
        .size:           4
        .value_kind:     hidden_block_count_z
      - .offset:         2780
        .size:           2
        .value_kind:     hidden_group_size_x
      - .offset:         2782
        .size:           2
        .value_kind:     hidden_group_size_y
      - .offset:         2784
        .size:           2
        .value_kind:     hidden_group_size_z
      - .offset:         2786
        .size:           2
        .value_kind:     hidden_remainder_x
      - .offset:         2788
        .size:           2
        .value_kind:     hidden_remainder_y
      - .offset:         2790
        .size:           2
        .value_kind:     hidden_remainder_z
      - .offset:         2808
        .size:           8
        .value_kind:     hidden_global_offset_x
      - .offset:         2816
        .size:           8
        .value_kind:     hidden_global_offset_y
      - .offset:         2824
        .size:           8
        .value_kind:     hidden_global_offset_z
      - .offset:         2832
        .size:           2
        .value_kind:     hidden_grid_dims
    .group_segment_fixed_size: 0
    .kernarg_segment_align: 8
    .kernarg_segment_size: 3024
    .language:       OpenCL C
    .language_version:
      - 2
      - 0
    .max_flat_workgroup_size: 1024
    .name:           _ZN2at6native12_GLOBAL__N_135CatArrayBatchedCopy_alignedK_contigINS1_10OpaqueTypeILj2EEEjLi2ELi128ELi1ELi16EEEvPT_NS1_25CatArrInputTensorMetadataIS5_T0_XT2_EXT3_EEENS1_16TensorSizeStrideIS8_Lj4EEEiS8_
    .private_segment_fixed_size: 0
    .sgpr_count:     38
    .sgpr_spill_count: 0
    .symbol:         _ZN2at6native12_GLOBAL__N_135CatArrayBatchedCopy_alignedK_contigINS1_10OpaqueTypeILj2EEEjLi2ELi128ELi1ELi16EEEvPT_NS1_25CatArrInputTensorMetadataIS5_T0_XT2_EXT3_EEENS1_16TensorSizeStrideIS8_Lj4EEEiS8_.kd
    .uniform_work_group_size: 1
    .uses_dynamic_stack: false
    .vgpr_count:     47
    .vgpr_spill_count: 0
    .wavefront_size: 64
  - .agpr_count:     0
    .args:
      - .address_space:  global
        .offset:         0
        .size:           8
        .value_kind:     global_buffer
      - .offset:         8
        .size:           2720
        .value_kind:     by_value
      - .offset:         2728
        .size:           32
        .value_kind:     by_value
      - .offset:         2760
        .size:           4
        .value_kind:     by_value
      - .offset:         2764
        .size:           4
        .value_kind:     by_value
      - .offset:         2768
        .size:           4
        .value_kind:     hidden_block_count_x
      - .offset:         2772
        .size:           4
        .value_kind:     hidden_block_count_y
      - .offset:         2776
        .size:           4
        .value_kind:     hidden_block_count_z
      - .offset:         2780
        .size:           2
        .value_kind:     hidden_group_size_x
      - .offset:         2782
        .size:           2
        .value_kind:     hidden_group_size_y
      - .offset:         2784
        .size:           2
        .value_kind:     hidden_group_size_z
      - .offset:         2786
        .size:           2
        .value_kind:     hidden_remainder_x
      - .offset:         2788
        .size:           2
        .value_kind:     hidden_remainder_y
      - .offset:         2790
        .size:           2
        .value_kind:     hidden_remainder_z
      - .offset:         2808
        .size:           8
        .value_kind:     hidden_global_offset_x
      - .offset:         2816
        .size:           8
        .value_kind:     hidden_global_offset_y
      - .offset:         2824
        .size:           8
        .value_kind:     hidden_global_offset_z
      - .offset:         2832
        .size:           2
        .value_kind:     hidden_grid_dims
    .group_segment_fixed_size: 0
    .kernarg_segment_align: 8
    .kernarg_segment_size: 3024
    .language:       OpenCL C
    .language_version:
      - 2
      - 0
    .max_flat_workgroup_size: 1024
    .name:           _ZN2at6native12_GLOBAL__N_135CatArrayBatchedCopy_alignedK_contigINS1_10OpaqueTypeILj2EEEjLi2ELi128ELi1ELi8EEEvPT_NS1_25CatArrInputTensorMetadataIS5_T0_XT2_EXT3_EEENS1_16TensorSizeStrideIS8_Lj4EEEiS8_
    .private_segment_fixed_size: 0
    .sgpr_count:     32
    .sgpr_spill_count: 0
    .symbol:         _ZN2at6native12_GLOBAL__N_135CatArrayBatchedCopy_alignedK_contigINS1_10OpaqueTypeILj2EEEjLi2ELi128ELi1ELi8EEEvPT_NS1_25CatArrInputTensorMetadataIS5_T0_XT2_EXT3_EEENS1_16TensorSizeStrideIS8_Lj4EEEiS8_.kd
    .uniform_work_group_size: 1
    .uses_dynamic_stack: false
    .vgpr_count:     33
    .vgpr_spill_count: 0
    .wavefront_size: 64
  - .agpr_count:     0
    .args:
      - .address_space:  global
        .offset:         0
        .size:           8
        .value_kind:     global_buffer
      - .offset:         8
        .size:           2720
        .value_kind:     by_value
      - .offset:         2728
        .size:           32
        .value_kind:     by_value
      - .offset:         2760
        .size:           4
        .value_kind:     by_value
      - .offset:         2764
        .size:           4
        .value_kind:     by_value
      - .offset:         2768
        .size:           4
        .value_kind:     hidden_block_count_x
      - .offset:         2772
        .size:           4
        .value_kind:     hidden_block_count_y
      - .offset:         2776
        .size:           4
        .value_kind:     hidden_block_count_z
      - .offset:         2780
        .size:           2
        .value_kind:     hidden_group_size_x
      - .offset:         2782
        .size:           2
        .value_kind:     hidden_group_size_y
      - .offset:         2784
        .size:           2
        .value_kind:     hidden_group_size_z
      - .offset:         2786
        .size:           2
        .value_kind:     hidden_remainder_x
      - .offset:         2788
        .size:           2
        .value_kind:     hidden_remainder_y
      - .offset:         2790
        .size:           2
        .value_kind:     hidden_remainder_z
      - .offset:         2808
        .size:           8
        .value_kind:     hidden_global_offset_x
      - .offset:         2816
        .size:           8
        .value_kind:     hidden_global_offset_y
      - .offset:         2824
        .size:           8
        .value_kind:     hidden_global_offset_z
      - .offset:         2832
        .size:           2
        .value_kind:     hidden_grid_dims
    .group_segment_fixed_size: 0
    .kernarg_segment_align: 8
    .kernarg_segment_size: 3024
    .language:       OpenCL C
    .language_version:
      - 2
      - 0
    .max_flat_workgroup_size: 1024
    .name:           _ZN2at6native12_GLOBAL__N_126CatArrayBatchedCopy_contigINS1_10OpaqueTypeILj2EEEjLi2ELi128ELi1EEEvPT_NS1_25CatArrInputTensorMetadataIS5_T0_XT2_EXT3_EEENS1_16TensorSizeStrideIS8_Lj4EEEiS8_
    .private_segment_fixed_size: 0
    .sgpr_count:     24
    .sgpr_spill_count: 0
    .symbol:         _ZN2at6native12_GLOBAL__N_126CatArrayBatchedCopy_contigINS1_10OpaqueTypeILj2EEEjLi2ELi128ELi1EEEvPT_NS1_25CatArrInputTensorMetadataIS5_T0_XT2_EXT3_EEENS1_16TensorSizeStrideIS8_Lj4EEEiS8_.kd
    .uniform_work_group_size: 1
    .uses_dynamic_stack: false
    .vgpr_count:     10
    .vgpr_spill_count: 0
    .wavefront_size: 64
  - .agpr_count:     0
    .args:
      - .address_space:  global
        .offset:         0
        .size:           8
        .value_kind:     global_buffer
      - .offset:         8
        .size:           2720
        .value_kind:     by_value
      - .offset:         2728
        .size:           32
        .value_kind:     by_value
      - .offset:         2760
        .size:           4
        .value_kind:     by_value
      - .offset:         2764
        .size:           4
        .value_kind:     by_value
      - .offset:         2768
        .size:           4
        .value_kind:     hidden_block_count_x
      - .offset:         2772
        .size:           4
        .value_kind:     hidden_block_count_y
      - .offset:         2776
        .size:           4
        .value_kind:     hidden_block_count_z
      - .offset:         2780
        .size:           2
        .value_kind:     hidden_group_size_x
      - .offset:         2782
        .size:           2
        .value_kind:     hidden_group_size_y
      - .offset:         2784
        .size:           2
        .value_kind:     hidden_group_size_z
      - .offset:         2786
        .size:           2
        .value_kind:     hidden_remainder_x
      - .offset:         2788
        .size:           2
        .value_kind:     hidden_remainder_y
      - .offset:         2790
        .size:           2
        .value_kind:     hidden_remainder_z
      - .offset:         2808
        .size:           8
        .value_kind:     hidden_global_offset_x
      - .offset:         2816
        .size:           8
        .value_kind:     hidden_global_offset_y
      - .offset:         2824
        .size:           8
        .value_kind:     hidden_global_offset_z
      - .offset:         2832
        .size:           2
        .value_kind:     hidden_grid_dims
    .group_segment_fixed_size: 0
    .kernarg_segment_align: 8
    .kernarg_segment_size: 3024
    .language:       OpenCL C
    .language_version:
      - 2
      - 0
    .max_flat_workgroup_size: 1024
    .name:           _ZN2at6native12_GLOBAL__N_119CatArrayBatchedCopyINS1_10OpaqueTypeILj2EEEjLi2ELi128ELi1EEEvPT_NS1_25CatArrInputTensorMetadataIS5_T0_XT2_EXT3_EEENS1_16TensorSizeStrideIS8_Lj4EEEiS8_
    .private_segment_fixed_size: 0
    .sgpr_count:     31
    .sgpr_spill_count: 0
    .symbol:         _ZN2at6native12_GLOBAL__N_119CatArrayBatchedCopyINS1_10OpaqueTypeILj2EEEjLi2ELi128ELi1EEEvPT_NS1_25CatArrInputTensorMetadataIS5_T0_XT2_EXT3_EEENS1_16TensorSizeStrideIS8_Lj4EEEiS8_.kd
    .uniform_work_group_size: 1
    .uses_dynamic_stack: false
    .vgpr_count:     9
    .vgpr_spill_count: 0
    .wavefront_size: 64
  - .agpr_count:     0
    .args:
      - .address_space:  global
        .offset:         0
        .size:           8
        .value_kind:     global_buffer
      - .offset:         8
        .size:           2720
        .value_kind:     by_value
      - .offset:         2728
        .size:           32
        .value_kind:     by_value
      - .offset:         2760
        .size:           4
        .value_kind:     by_value
      - .offset:         2764
        .size:           4
        .value_kind:     by_value
      - .offset:         2768
        .size:           4
        .value_kind:     hidden_block_count_x
      - .offset:         2772
        .size:           4
        .value_kind:     hidden_block_count_y
      - .offset:         2776
        .size:           4
        .value_kind:     hidden_block_count_z
      - .offset:         2780
        .size:           2
        .value_kind:     hidden_group_size_x
      - .offset:         2782
        .size:           2
        .value_kind:     hidden_group_size_y
      - .offset:         2784
        .size:           2
        .value_kind:     hidden_group_size_z
      - .offset:         2786
        .size:           2
        .value_kind:     hidden_remainder_x
      - .offset:         2788
        .size:           2
        .value_kind:     hidden_remainder_y
      - .offset:         2790
        .size:           2
        .value_kind:     hidden_remainder_z
      - .offset:         2808
        .size:           8
        .value_kind:     hidden_global_offset_x
      - .offset:         2816
        .size:           8
        .value_kind:     hidden_global_offset_y
      - .offset:         2824
        .size:           8
        .value_kind:     hidden_global_offset_z
      - .offset:         2832
        .size:           2
        .value_kind:     hidden_grid_dims
    .group_segment_fixed_size: 0
    .kernarg_segment_align: 8
    .kernarg_segment_size: 3024
    .language:       OpenCL C
    .language_version:
      - 2
      - 0
    .max_flat_workgroup_size: 1024
    .name:           _ZN2at6native12_GLOBAL__N_130CatArrayBatchedCopy_vectorizedINS1_10OpaqueTypeILj2EEEjLi3ELi128ELi1ELi16ELi8EEEvPcNS1_25CatArrInputTensorMetadataIT_T0_XT2_EXT3_EEENS1_16TensorSizeStrideIS8_Lj4EEEiS8_
    .private_segment_fixed_size: 0
    .sgpr_count:     32
    .sgpr_spill_count: 0
    .symbol:         _ZN2at6native12_GLOBAL__N_130CatArrayBatchedCopy_vectorizedINS1_10OpaqueTypeILj2EEEjLi3ELi128ELi1ELi16ELi8EEEvPcNS1_25CatArrInputTensorMetadataIT_T0_XT2_EXT3_EEENS1_16TensorSizeStrideIS8_Lj4EEEiS8_.kd
    .uniform_work_group_size: 1
    .uses_dynamic_stack: false
    .vgpr_count:     14
    .vgpr_spill_count: 0
    .wavefront_size: 64
  - .agpr_count:     0
    .args:
      - .address_space:  global
        .offset:         0
        .size:           8
        .value_kind:     global_buffer
      - .offset:         8
        .size:           2720
        .value_kind:     by_value
      - .offset:         2728
        .size:           32
        .value_kind:     by_value
      - .offset:         2760
        .size:           4
        .value_kind:     by_value
      - .offset:         2764
        .size:           4
        .value_kind:     by_value
      - .offset:         2768
        .size:           4
        .value_kind:     hidden_block_count_x
      - .offset:         2772
        .size:           4
        .value_kind:     hidden_block_count_y
      - .offset:         2776
        .size:           4
        .value_kind:     hidden_block_count_z
      - .offset:         2780
        .size:           2
        .value_kind:     hidden_group_size_x
      - .offset:         2782
        .size:           2
        .value_kind:     hidden_group_size_y
      - .offset:         2784
        .size:           2
        .value_kind:     hidden_group_size_z
      - .offset:         2786
        .size:           2
        .value_kind:     hidden_remainder_x
      - .offset:         2788
        .size:           2
        .value_kind:     hidden_remainder_y
      - .offset:         2790
        .size:           2
        .value_kind:     hidden_remainder_z
      - .offset:         2808
        .size:           8
        .value_kind:     hidden_global_offset_x
      - .offset:         2816
        .size:           8
        .value_kind:     hidden_global_offset_y
      - .offset:         2824
        .size:           8
        .value_kind:     hidden_global_offset_z
      - .offset:         2832
        .size:           2
        .value_kind:     hidden_grid_dims
    .group_segment_fixed_size: 0
    .kernarg_segment_align: 8
    .kernarg_segment_size: 3024
    .language:       OpenCL C
    .language_version:
      - 2
      - 0
    .max_flat_workgroup_size: 1024
    .name:           _ZN2at6native12_GLOBAL__N_135CatArrayBatchedCopy_alignedK_contigINS1_10OpaqueTypeILj2EEEjLi3ELi128ELi1ELi16EEEvPT_NS1_25CatArrInputTensorMetadataIS5_T0_XT2_EXT3_EEENS1_16TensorSizeStrideIS8_Lj4EEEiS8_
    .private_segment_fixed_size: 0
    .sgpr_count:     44
    .sgpr_spill_count: 0
    .symbol:         _ZN2at6native12_GLOBAL__N_135CatArrayBatchedCopy_alignedK_contigINS1_10OpaqueTypeILj2EEEjLi3ELi128ELi1ELi16EEEvPT_NS1_25CatArrInputTensorMetadataIS5_T0_XT2_EXT3_EEENS1_16TensorSizeStrideIS8_Lj4EEEiS8_.kd
    .uniform_work_group_size: 1
    .uses_dynamic_stack: false
    .vgpr_count:     57
    .vgpr_spill_count: 0
    .wavefront_size: 64
  - .agpr_count:     0
    .args:
      - .address_space:  global
        .offset:         0
        .size:           8
        .value_kind:     global_buffer
      - .offset:         8
        .size:           2720
        .value_kind:     by_value
      - .offset:         2728
        .size:           32
        .value_kind:     by_value
      - .offset:         2760
        .size:           4
        .value_kind:     by_value
      - .offset:         2764
        .size:           4
        .value_kind:     by_value
      - .offset:         2768
        .size:           4
        .value_kind:     hidden_block_count_x
      - .offset:         2772
        .size:           4
        .value_kind:     hidden_block_count_y
      - .offset:         2776
        .size:           4
        .value_kind:     hidden_block_count_z
      - .offset:         2780
        .size:           2
        .value_kind:     hidden_group_size_x
      - .offset:         2782
        .size:           2
        .value_kind:     hidden_group_size_y
      - .offset:         2784
        .size:           2
        .value_kind:     hidden_group_size_z
      - .offset:         2786
        .size:           2
        .value_kind:     hidden_remainder_x
      - .offset:         2788
        .size:           2
        .value_kind:     hidden_remainder_y
      - .offset:         2790
        .size:           2
        .value_kind:     hidden_remainder_z
      - .offset:         2808
        .size:           8
        .value_kind:     hidden_global_offset_x
      - .offset:         2816
        .size:           8
        .value_kind:     hidden_global_offset_y
      - .offset:         2824
        .size:           8
        .value_kind:     hidden_global_offset_z
      - .offset:         2832
        .size:           2
        .value_kind:     hidden_grid_dims
    .group_segment_fixed_size: 0
    .kernarg_segment_align: 8
    .kernarg_segment_size: 3024
    .language:       OpenCL C
    .language_version:
      - 2
      - 0
    .max_flat_workgroup_size: 1024
    .name:           _ZN2at6native12_GLOBAL__N_135CatArrayBatchedCopy_alignedK_contigINS1_10OpaqueTypeILj2EEEjLi3ELi128ELi1ELi8EEEvPT_NS1_25CatArrInputTensorMetadataIS5_T0_XT2_EXT3_EEENS1_16TensorSizeStrideIS8_Lj4EEEiS8_
    .private_segment_fixed_size: 0
    .sgpr_count:     36
    .sgpr_spill_count: 0
    .symbol:         _ZN2at6native12_GLOBAL__N_135CatArrayBatchedCopy_alignedK_contigINS1_10OpaqueTypeILj2EEEjLi3ELi128ELi1ELi8EEEvPT_NS1_25CatArrInputTensorMetadataIS5_T0_XT2_EXT3_EEENS1_16TensorSizeStrideIS8_Lj4EEEiS8_.kd
    .uniform_work_group_size: 1
    .uses_dynamic_stack: false
    .vgpr_count:     35
    .vgpr_spill_count: 0
    .wavefront_size: 64
  - .agpr_count:     0
    .args:
      - .address_space:  global
        .offset:         0
        .size:           8
        .value_kind:     global_buffer
      - .offset:         8
        .size:           2720
        .value_kind:     by_value
      - .offset:         2728
        .size:           32
        .value_kind:     by_value
      - .offset:         2760
        .size:           4
        .value_kind:     by_value
      - .offset:         2764
        .size:           4
        .value_kind:     by_value
      - .offset:         2768
        .size:           4
        .value_kind:     hidden_block_count_x
      - .offset:         2772
        .size:           4
        .value_kind:     hidden_block_count_y
      - .offset:         2776
        .size:           4
        .value_kind:     hidden_block_count_z
      - .offset:         2780
        .size:           2
        .value_kind:     hidden_group_size_x
      - .offset:         2782
        .size:           2
        .value_kind:     hidden_group_size_y
      - .offset:         2784
        .size:           2
        .value_kind:     hidden_group_size_z
      - .offset:         2786
        .size:           2
        .value_kind:     hidden_remainder_x
      - .offset:         2788
        .size:           2
        .value_kind:     hidden_remainder_y
      - .offset:         2790
        .size:           2
        .value_kind:     hidden_remainder_z
      - .offset:         2808
        .size:           8
        .value_kind:     hidden_global_offset_x
      - .offset:         2816
        .size:           8
        .value_kind:     hidden_global_offset_y
      - .offset:         2824
        .size:           8
        .value_kind:     hidden_global_offset_z
      - .offset:         2832
        .size:           2
        .value_kind:     hidden_grid_dims
    .group_segment_fixed_size: 0
    .kernarg_segment_align: 8
    .kernarg_segment_size: 3024
    .language:       OpenCL C
    .language_version:
      - 2
      - 0
    .max_flat_workgroup_size: 1024
    .name:           _ZN2at6native12_GLOBAL__N_126CatArrayBatchedCopy_contigINS1_10OpaqueTypeILj2EEEjLi3ELi128ELi1EEEvPT_NS1_25CatArrInputTensorMetadataIS5_T0_XT2_EXT3_EEENS1_16TensorSizeStrideIS8_Lj4EEEiS8_
    .private_segment_fixed_size: 0
    .sgpr_count:     30
    .sgpr_spill_count: 0
    .symbol:         _ZN2at6native12_GLOBAL__N_126CatArrayBatchedCopy_contigINS1_10OpaqueTypeILj2EEEjLi3ELi128ELi1EEEvPT_NS1_25CatArrInputTensorMetadataIS5_T0_XT2_EXT3_EEENS1_16TensorSizeStrideIS8_Lj4EEEiS8_.kd
    .uniform_work_group_size: 1
    .uses_dynamic_stack: false
    .vgpr_count:     11
    .vgpr_spill_count: 0
    .wavefront_size: 64
  - .agpr_count:     0
    .args:
      - .address_space:  global
        .offset:         0
        .size:           8
        .value_kind:     global_buffer
      - .offset:         8
        .size:           2720
        .value_kind:     by_value
      - .offset:         2728
        .size:           32
        .value_kind:     by_value
      - .offset:         2760
        .size:           4
        .value_kind:     by_value
      - .offset:         2764
        .size:           4
        .value_kind:     by_value
      - .offset:         2768
        .size:           4
        .value_kind:     hidden_block_count_x
      - .offset:         2772
        .size:           4
        .value_kind:     hidden_block_count_y
      - .offset:         2776
        .size:           4
        .value_kind:     hidden_block_count_z
      - .offset:         2780
        .size:           2
        .value_kind:     hidden_group_size_x
      - .offset:         2782
        .size:           2
        .value_kind:     hidden_group_size_y
      - .offset:         2784
        .size:           2
        .value_kind:     hidden_group_size_z
      - .offset:         2786
        .size:           2
        .value_kind:     hidden_remainder_x
      - .offset:         2788
        .size:           2
        .value_kind:     hidden_remainder_y
      - .offset:         2790
        .size:           2
        .value_kind:     hidden_remainder_z
      - .offset:         2808
        .size:           8
        .value_kind:     hidden_global_offset_x
      - .offset:         2816
        .size:           8
        .value_kind:     hidden_global_offset_y
      - .offset:         2824
        .size:           8
        .value_kind:     hidden_global_offset_z
      - .offset:         2832
        .size:           2
        .value_kind:     hidden_grid_dims
    .group_segment_fixed_size: 0
    .kernarg_segment_align: 8
    .kernarg_segment_size: 3024
    .language:       OpenCL C
    .language_version:
      - 2
      - 0
    .max_flat_workgroup_size: 1024
    .name:           _ZN2at6native12_GLOBAL__N_119CatArrayBatchedCopyINS1_10OpaqueTypeILj2EEEjLi3ELi128ELi1EEEvPT_NS1_25CatArrInputTensorMetadataIS5_T0_XT2_EXT3_EEENS1_16TensorSizeStrideIS8_Lj4EEEiS8_
    .private_segment_fixed_size: 0
    .sgpr_count:     37
    .sgpr_spill_count: 0
    .symbol:         _ZN2at6native12_GLOBAL__N_119CatArrayBatchedCopyINS1_10OpaqueTypeILj2EEEjLi3ELi128ELi1EEEvPT_NS1_25CatArrInputTensorMetadataIS5_T0_XT2_EXT3_EEENS1_16TensorSizeStrideIS8_Lj4EEEiS8_.kd
    .uniform_work_group_size: 1
    .uses_dynamic_stack: false
    .vgpr_count:     12
    .vgpr_spill_count: 0
    .wavefront_size: 64
  - .agpr_count:     0
    .args:
      - .address_space:  global
        .offset:         0
        .size:           8
        .value_kind:     global_buffer
      - .offset:         8
        .size:           2720
        .value_kind:     by_value
      - .offset:         2728
        .size:           32
        .value_kind:     by_value
      - .offset:         2760
        .size:           4
        .value_kind:     by_value
      - .offset:         2764
        .size:           4
        .value_kind:     by_value
      - .offset:         2768
        .size:           4
        .value_kind:     hidden_block_count_x
      - .offset:         2772
        .size:           4
        .value_kind:     hidden_block_count_y
      - .offset:         2776
        .size:           4
        .value_kind:     hidden_block_count_z
      - .offset:         2780
        .size:           2
        .value_kind:     hidden_group_size_x
      - .offset:         2782
        .size:           2
        .value_kind:     hidden_group_size_y
      - .offset:         2784
        .size:           2
        .value_kind:     hidden_group_size_z
      - .offset:         2786
        .size:           2
        .value_kind:     hidden_remainder_x
      - .offset:         2788
        .size:           2
        .value_kind:     hidden_remainder_y
      - .offset:         2790
        .size:           2
        .value_kind:     hidden_remainder_z
      - .offset:         2808
        .size:           8
        .value_kind:     hidden_global_offset_x
      - .offset:         2816
        .size:           8
        .value_kind:     hidden_global_offset_y
      - .offset:         2824
        .size:           8
        .value_kind:     hidden_global_offset_z
      - .offset:         2832
        .size:           2
        .value_kind:     hidden_grid_dims
    .group_segment_fixed_size: 0
    .kernarg_segment_align: 8
    .kernarg_segment_size: 3024
    .language:       OpenCL C
    .language_version:
      - 2
      - 0
    .max_flat_workgroup_size: 1024
    .name:           _ZN2at6native12_GLOBAL__N_130CatArrayBatchedCopy_vectorizedINS1_10OpaqueTypeILj2EEEjLi4ELi128ELi1ELi16ELi8EEEvPcNS1_25CatArrInputTensorMetadataIT_T0_XT2_EXT3_EEENS1_16TensorSizeStrideIS8_Lj4EEEiS8_
    .private_segment_fixed_size: 0
    .sgpr_count:     32
    .sgpr_spill_count: 0
    .symbol:         _ZN2at6native12_GLOBAL__N_130CatArrayBatchedCopy_vectorizedINS1_10OpaqueTypeILj2EEEjLi4ELi128ELi1ELi16ELi8EEEvPcNS1_25CatArrInputTensorMetadataIT_T0_XT2_EXT3_EEENS1_16TensorSizeStrideIS8_Lj4EEEiS8_.kd
    .uniform_work_group_size: 1
    .uses_dynamic_stack: false
    .vgpr_count:     16
    .vgpr_spill_count: 0
    .wavefront_size: 64
  - .agpr_count:     0
    .args:
      - .address_space:  global
        .offset:         0
        .size:           8
        .value_kind:     global_buffer
      - .offset:         8
        .size:           2720
        .value_kind:     by_value
      - .offset:         2728
        .size:           32
        .value_kind:     by_value
      - .offset:         2760
        .size:           4
        .value_kind:     by_value
      - .offset:         2764
        .size:           4
        .value_kind:     by_value
      - .offset:         2768
        .size:           4
        .value_kind:     hidden_block_count_x
      - .offset:         2772
        .size:           4
        .value_kind:     hidden_block_count_y
      - .offset:         2776
        .size:           4
        .value_kind:     hidden_block_count_z
      - .offset:         2780
        .size:           2
        .value_kind:     hidden_group_size_x
      - .offset:         2782
        .size:           2
        .value_kind:     hidden_group_size_y
      - .offset:         2784
        .size:           2
        .value_kind:     hidden_group_size_z
      - .offset:         2786
        .size:           2
        .value_kind:     hidden_remainder_x
      - .offset:         2788
        .size:           2
        .value_kind:     hidden_remainder_y
      - .offset:         2790
        .size:           2
        .value_kind:     hidden_remainder_z
      - .offset:         2808
        .size:           8
        .value_kind:     hidden_global_offset_x
      - .offset:         2816
        .size:           8
        .value_kind:     hidden_global_offset_y
      - .offset:         2824
        .size:           8
        .value_kind:     hidden_global_offset_z
      - .offset:         2832
        .size:           2
        .value_kind:     hidden_grid_dims
    .group_segment_fixed_size: 0
    .kernarg_segment_align: 8
    .kernarg_segment_size: 3024
    .language:       OpenCL C
    .language_version:
      - 2
      - 0
    .max_flat_workgroup_size: 1024
    .name:           _ZN2at6native12_GLOBAL__N_135CatArrayBatchedCopy_alignedK_contigINS1_10OpaqueTypeILj2EEEjLi4ELi128ELi1ELi16EEEvPT_NS1_25CatArrInputTensorMetadataIS5_T0_XT2_EXT3_EEENS1_16TensorSizeStrideIS8_Lj4EEEiS8_
    .private_segment_fixed_size: 0
    .sgpr_count:     35
    .sgpr_spill_count: 0
    .symbol:         _ZN2at6native12_GLOBAL__N_135CatArrayBatchedCopy_alignedK_contigINS1_10OpaqueTypeILj2EEEjLi4ELi128ELi1ELi16EEEvPT_NS1_25CatArrInputTensorMetadataIS5_T0_XT2_EXT3_EEENS1_16TensorSizeStrideIS8_Lj4EEEiS8_.kd
    .uniform_work_group_size: 1
    .uses_dynamic_stack: false
    .vgpr_count:     36
    .vgpr_spill_count: 0
    .wavefront_size: 64
  - .agpr_count:     0
    .args:
      - .address_space:  global
        .offset:         0
        .size:           8
        .value_kind:     global_buffer
      - .offset:         8
        .size:           2720
        .value_kind:     by_value
      - .offset:         2728
        .size:           32
        .value_kind:     by_value
      - .offset:         2760
        .size:           4
        .value_kind:     by_value
      - .offset:         2764
        .size:           4
        .value_kind:     by_value
      - .offset:         2768
        .size:           4
        .value_kind:     hidden_block_count_x
      - .offset:         2772
        .size:           4
        .value_kind:     hidden_block_count_y
      - .offset:         2776
        .size:           4
        .value_kind:     hidden_block_count_z
      - .offset:         2780
        .size:           2
        .value_kind:     hidden_group_size_x
      - .offset:         2782
        .size:           2
        .value_kind:     hidden_group_size_y
      - .offset:         2784
        .size:           2
        .value_kind:     hidden_group_size_z
      - .offset:         2786
        .size:           2
        .value_kind:     hidden_remainder_x
      - .offset:         2788
        .size:           2
        .value_kind:     hidden_remainder_y
      - .offset:         2790
        .size:           2
        .value_kind:     hidden_remainder_z
      - .offset:         2808
        .size:           8
        .value_kind:     hidden_global_offset_x
      - .offset:         2816
        .size:           8
        .value_kind:     hidden_global_offset_y
      - .offset:         2824
        .size:           8
        .value_kind:     hidden_global_offset_z
      - .offset:         2832
        .size:           2
        .value_kind:     hidden_grid_dims
    .group_segment_fixed_size: 0
    .kernarg_segment_align: 8
    .kernarg_segment_size: 3024
    .language:       OpenCL C
    .language_version:
      - 2
      - 0
    .max_flat_workgroup_size: 1024
    .name:           _ZN2at6native12_GLOBAL__N_135CatArrayBatchedCopy_alignedK_contigINS1_10OpaqueTypeILj2EEEjLi4ELi128ELi1ELi8EEEvPT_NS1_25CatArrInputTensorMetadataIS5_T0_XT2_EXT3_EEENS1_16TensorSizeStrideIS8_Lj4EEEiS8_
    .private_segment_fixed_size: 0
    .sgpr_count:     38
    .sgpr_spill_count: 0
    .symbol:         _ZN2at6native12_GLOBAL__N_135CatArrayBatchedCopy_alignedK_contigINS1_10OpaqueTypeILj2EEEjLi4ELi128ELi1ELi8EEEvPT_NS1_25CatArrInputTensorMetadataIS5_T0_XT2_EXT3_EEENS1_16TensorSizeStrideIS8_Lj4EEEiS8_.kd
    .uniform_work_group_size: 1
    .uses_dynamic_stack: false
    .vgpr_count:     38
    .vgpr_spill_count: 0
    .wavefront_size: 64
  - .agpr_count:     0
    .args:
      - .address_space:  global
        .offset:         0
        .size:           8
        .value_kind:     global_buffer
      - .offset:         8
        .size:           2720
        .value_kind:     by_value
      - .offset:         2728
        .size:           32
        .value_kind:     by_value
      - .offset:         2760
        .size:           4
        .value_kind:     by_value
      - .offset:         2764
        .size:           4
        .value_kind:     by_value
      - .offset:         2768
        .size:           4
        .value_kind:     hidden_block_count_x
      - .offset:         2772
        .size:           4
        .value_kind:     hidden_block_count_y
      - .offset:         2776
        .size:           4
        .value_kind:     hidden_block_count_z
      - .offset:         2780
        .size:           2
        .value_kind:     hidden_group_size_x
      - .offset:         2782
        .size:           2
        .value_kind:     hidden_group_size_y
      - .offset:         2784
        .size:           2
        .value_kind:     hidden_group_size_z
      - .offset:         2786
        .size:           2
        .value_kind:     hidden_remainder_x
      - .offset:         2788
        .size:           2
        .value_kind:     hidden_remainder_y
      - .offset:         2790
        .size:           2
        .value_kind:     hidden_remainder_z
      - .offset:         2808
        .size:           8
        .value_kind:     hidden_global_offset_x
      - .offset:         2816
        .size:           8
        .value_kind:     hidden_global_offset_y
      - .offset:         2824
        .size:           8
        .value_kind:     hidden_global_offset_z
      - .offset:         2832
        .size:           2
        .value_kind:     hidden_grid_dims
    .group_segment_fixed_size: 0
    .kernarg_segment_align: 8
    .kernarg_segment_size: 3024
    .language:       OpenCL C
    .language_version:
      - 2
      - 0
    .max_flat_workgroup_size: 1024
    .name:           _ZN2at6native12_GLOBAL__N_126CatArrayBatchedCopy_contigINS1_10OpaqueTypeILj2EEEjLi4ELi128ELi1EEEvPT_NS1_25CatArrInputTensorMetadataIS5_T0_XT2_EXT3_EEENS1_16TensorSizeStrideIS8_Lj4EEEiS8_
    .private_segment_fixed_size: 0
    .sgpr_count:     33
    .sgpr_spill_count: 0
    .symbol:         _ZN2at6native12_GLOBAL__N_126CatArrayBatchedCopy_contigINS1_10OpaqueTypeILj2EEEjLi4ELi128ELi1EEEvPT_NS1_25CatArrInputTensorMetadataIS5_T0_XT2_EXT3_EEENS1_16TensorSizeStrideIS8_Lj4EEEiS8_.kd
    .uniform_work_group_size: 1
    .uses_dynamic_stack: false
    .vgpr_count:     14
    .vgpr_spill_count: 0
    .wavefront_size: 64
  - .agpr_count:     0
    .args:
      - .address_space:  global
        .offset:         0
        .size:           8
        .value_kind:     global_buffer
      - .offset:         8
        .size:           2720
        .value_kind:     by_value
      - .offset:         2728
        .size:           32
        .value_kind:     by_value
      - .offset:         2760
        .size:           4
        .value_kind:     by_value
      - .offset:         2764
        .size:           4
        .value_kind:     by_value
      - .offset:         2768
        .size:           4
        .value_kind:     hidden_block_count_x
      - .offset:         2772
        .size:           4
        .value_kind:     hidden_block_count_y
      - .offset:         2776
        .size:           4
        .value_kind:     hidden_block_count_z
      - .offset:         2780
        .size:           2
        .value_kind:     hidden_group_size_x
      - .offset:         2782
        .size:           2
        .value_kind:     hidden_group_size_y
      - .offset:         2784
        .size:           2
        .value_kind:     hidden_group_size_z
      - .offset:         2786
        .size:           2
        .value_kind:     hidden_remainder_x
      - .offset:         2788
        .size:           2
        .value_kind:     hidden_remainder_y
      - .offset:         2790
        .size:           2
        .value_kind:     hidden_remainder_z
      - .offset:         2808
        .size:           8
        .value_kind:     hidden_global_offset_x
      - .offset:         2816
        .size:           8
        .value_kind:     hidden_global_offset_y
      - .offset:         2824
        .size:           8
        .value_kind:     hidden_global_offset_z
      - .offset:         2832
        .size:           2
        .value_kind:     hidden_grid_dims
    .group_segment_fixed_size: 0
    .kernarg_segment_align: 8
    .kernarg_segment_size: 3024
    .language:       OpenCL C
    .language_version:
      - 2
      - 0
    .max_flat_workgroup_size: 1024
    .name:           _ZN2at6native12_GLOBAL__N_119CatArrayBatchedCopyINS1_10OpaqueTypeILj2EEEjLi4ELi128ELi1EEEvPT_NS1_25CatArrInputTensorMetadataIS5_T0_XT2_EXT3_EEENS1_16TensorSizeStrideIS8_Lj4EEEiS8_
    .private_segment_fixed_size: 0
    .sgpr_count:     42
    .sgpr_spill_count: 0
    .symbol:         _ZN2at6native12_GLOBAL__N_119CatArrayBatchedCopyINS1_10OpaqueTypeILj2EEEjLi4ELi128ELi1EEEvPT_NS1_25CatArrInputTensorMetadataIS5_T0_XT2_EXT3_EEENS1_16TensorSizeStrideIS8_Lj4EEEiS8_.kd
    .uniform_work_group_size: 1
    .uses_dynamic_stack: false
    .vgpr_count:     15
    .vgpr_spill_count: 0
    .wavefront_size: 64
  - .agpr_count:     0
    .args:
      - .address_space:  global
        .offset:         0
        .size:           8
        .value_kind:     global_buffer
      - .offset:         8
        .size:           2720
        .value_kind:     by_value
      - .offset:         2728
        .size:           32
        .value_kind:     by_value
      - .offset:         2760
        .size:           4
        .value_kind:     by_value
      - .offset:         2764
        .size:           4
        .value_kind:     by_value
      - .offset:         2768
        .size:           4
        .value_kind:     hidden_block_count_x
      - .offset:         2772
        .size:           4
        .value_kind:     hidden_block_count_y
      - .offset:         2776
        .size:           4
        .value_kind:     hidden_block_count_z
      - .offset:         2780
        .size:           2
        .value_kind:     hidden_group_size_x
      - .offset:         2782
        .size:           2
        .value_kind:     hidden_group_size_y
      - .offset:         2784
        .size:           2
        .value_kind:     hidden_group_size_z
      - .offset:         2786
        .size:           2
        .value_kind:     hidden_remainder_x
      - .offset:         2788
        .size:           2
        .value_kind:     hidden_remainder_y
      - .offset:         2790
        .size:           2
        .value_kind:     hidden_remainder_z
      - .offset:         2808
        .size:           8
        .value_kind:     hidden_global_offset_x
      - .offset:         2816
        .size:           8
        .value_kind:     hidden_global_offset_y
      - .offset:         2824
        .size:           8
        .value_kind:     hidden_global_offset_z
      - .offset:         2832
        .size:           2
        .value_kind:     hidden_grid_dims
    .group_segment_fixed_size: 0
    .kernarg_segment_align: 8
    .kernarg_segment_size: 3024
    .language:       OpenCL C
    .language_version:
      - 2
      - 0
    .max_flat_workgroup_size: 1024
    .name:           _ZN2at6native12_GLOBAL__N_130CatArrayBatchedCopy_vectorizedINS1_10OpaqueTypeILj4EEEjLi1ELi128ELi1ELi16ELi4EEEvPcNS1_25CatArrInputTensorMetadataIT_T0_XT2_EXT3_EEENS1_16TensorSizeStrideIS8_Lj4EEEiS8_
    .private_segment_fixed_size: 0
    .sgpr_count:     25
    .sgpr_spill_count: 0
    .symbol:         _ZN2at6native12_GLOBAL__N_130CatArrayBatchedCopy_vectorizedINS1_10OpaqueTypeILj4EEEjLi1ELi128ELi1ELi16ELi4EEEvPcNS1_25CatArrInputTensorMetadataIT_T0_XT2_EXT3_EEENS1_16TensorSizeStrideIS8_Lj4EEEiS8_.kd
    .uniform_work_group_size: 1
    .uses_dynamic_stack: false
    .vgpr_count:     10
    .vgpr_spill_count: 0
    .wavefront_size: 64
  - .agpr_count:     0
    .args:
      - .address_space:  global
        .offset:         0
        .size:           8
        .value_kind:     global_buffer
      - .offset:         8
        .size:           2720
        .value_kind:     by_value
      - .offset:         2728
        .size:           32
        .value_kind:     by_value
      - .offset:         2760
        .size:           4
        .value_kind:     by_value
      - .offset:         2764
        .size:           4
        .value_kind:     by_value
      - .offset:         2768
        .size:           4
        .value_kind:     hidden_block_count_x
      - .offset:         2772
        .size:           4
        .value_kind:     hidden_block_count_y
      - .offset:         2776
        .size:           4
        .value_kind:     hidden_block_count_z
      - .offset:         2780
        .size:           2
        .value_kind:     hidden_group_size_x
      - .offset:         2782
        .size:           2
        .value_kind:     hidden_group_size_y
      - .offset:         2784
        .size:           2
        .value_kind:     hidden_group_size_z
      - .offset:         2786
        .size:           2
        .value_kind:     hidden_remainder_x
      - .offset:         2788
        .size:           2
        .value_kind:     hidden_remainder_y
      - .offset:         2790
        .size:           2
        .value_kind:     hidden_remainder_z
      - .offset:         2808
        .size:           8
        .value_kind:     hidden_global_offset_x
      - .offset:         2816
        .size:           8
        .value_kind:     hidden_global_offset_y
      - .offset:         2824
        .size:           8
        .value_kind:     hidden_global_offset_z
      - .offset:         2832
        .size:           2
        .value_kind:     hidden_grid_dims
    .group_segment_fixed_size: 0
    .kernarg_segment_align: 8
    .kernarg_segment_size: 3024
    .language:       OpenCL C
    .language_version:
      - 2
      - 0
    .max_flat_workgroup_size: 1024
    .name:           _ZN2at6native12_GLOBAL__N_135CatArrayBatchedCopy_alignedK_contigINS1_10OpaqueTypeILj4EEEjLi1ELi128ELi1ELi16EEEvPT_NS1_25CatArrInputTensorMetadataIS5_T0_XT2_EXT3_EEENS1_16TensorSizeStrideIS8_Lj4EEEiS8_
    .private_segment_fixed_size: 0
    .sgpr_count:     23
    .sgpr_spill_count: 0
    .symbol:         _ZN2at6native12_GLOBAL__N_135CatArrayBatchedCopy_alignedK_contigINS1_10OpaqueTypeILj4EEEjLi1ELi128ELi1ELi16EEEvPT_NS1_25CatArrInputTensorMetadataIS5_T0_XT2_EXT3_EEENS1_16TensorSizeStrideIS8_Lj4EEEiS8_.kd
    .uniform_work_group_size: 1
    .uses_dynamic_stack: false
    .vgpr_count:     19
    .vgpr_spill_count: 0
    .wavefront_size: 64
  - .agpr_count:     0
    .args:
      - .address_space:  global
        .offset:         0
        .size:           8
        .value_kind:     global_buffer
      - .offset:         8
        .size:           2720
        .value_kind:     by_value
      - .offset:         2728
        .size:           32
        .value_kind:     by_value
      - .offset:         2760
        .size:           4
        .value_kind:     by_value
      - .offset:         2764
        .size:           4
        .value_kind:     by_value
      - .offset:         2768
        .size:           4
        .value_kind:     hidden_block_count_x
      - .offset:         2772
        .size:           4
        .value_kind:     hidden_block_count_y
      - .offset:         2776
        .size:           4
        .value_kind:     hidden_block_count_z
      - .offset:         2780
        .size:           2
        .value_kind:     hidden_group_size_x
      - .offset:         2782
        .size:           2
        .value_kind:     hidden_group_size_y
      - .offset:         2784
        .size:           2
        .value_kind:     hidden_group_size_z
      - .offset:         2786
        .size:           2
        .value_kind:     hidden_remainder_x
      - .offset:         2788
        .size:           2
        .value_kind:     hidden_remainder_y
      - .offset:         2790
        .size:           2
        .value_kind:     hidden_remainder_z
      - .offset:         2808
        .size:           8
        .value_kind:     hidden_global_offset_x
      - .offset:         2816
        .size:           8
        .value_kind:     hidden_global_offset_y
      - .offset:         2824
        .size:           8
        .value_kind:     hidden_global_offset_z
      - .offset:         2832
        .size:           2
        .value_kind:     hidden_grid_dims
    .group_segment_fixed_size: 0
    .kernarg_segment_align: 8
    .kernarg_segment_size: 3024
    .language:       OpenCL C
    .language_version:
      - 2
      - 0
    .max_flat_workgroup_size: 1024
    .name:           _ZN2at6native12_GLOBAL__N_135CatArrayBatchedCopy_alignedK_contigINS1_10OpaqueTypeILj4EEEjLi1ELi128ELi1ELi8EEEvPT_NS1_25CatArrInputTensorMetadataIS5_T0_XT2_EXT3_EEENS1_16TensorSizeStrideIS8_Lj4EEEiS8_
    .private_segment_fixed_size: 0
    .sgpr_count:     23
    .sgpr_spill_count: 0
    .symbol:         _ZN2at6native12_GLOBAL__N_135CatArrayBatchedCopy_alignedK_contigINS1_10OpaqueTypeILj4EEEjLi1ELi128ELi1ELi8EEEvPT_NS1_25CatArrInputTensorMetadataIS5_T0_XT2_EXT3_EEENS1_16TensorSizeStrideIS8_Lj4EEEiS8_.kd
    .uniform_work_group_size: 1
    .uses_dynamic_stack: false
    .vgpr_count:     11
    .vgpr_spill_count: 0
    .wavefront_size: 64
  - .agpr_count:     0
    .args:
      - .address_space:  global
        .offset:         0
        .size:           8
        .value_kind:     global_buffer
      - .offset:         8
        .size:           2720
        .value_kind:     by_value
      - .offset:         2728
        .size:           32
        .value_kind:     by_value
      - .offset:         2760
        .size:           4
        .value_kind:     by_value
      - .offset:         2764
        .size:           4
        .value_kind:     by_value
      - .offset:         2768
        .size:           4
        .value_kind:     hidden_block_count_x
      - .offset:         2772
        .size:           4
        .value_kind:     hidden_block_count_y
      - .offset:         2776
        .size:           4
        .value_kind:     hidden_block_count_z
      - .offset:         2780
        .size:           2
        .value_kind:     hidden_group_size_x
      - .offset:         2782
        .size:           2
        .value_kind:     hidden_group_size_y
      - .offset:         2784
        .size:           2
        .value_kind:     hidden_group_size_z
      - .offset:         2786
        .size:           2
        .value_kind:     hidden_remainder_x
      - .offset:         2788
        .size:           2
        .value_kind:     hidden_remainder_y
      - .offset:         2790
        .size:           2
        .value_kind:     hidden_remainder_z
      - .offset:         2808
        .size:           8
        .value_kind:     hidden_global_offset_x
      - .offset:         2816
        .size:           8
        .value_kind:     hidden_global_offset_y
      - .offset:         2824
        .size:           8
        .value_kind:     hidden_global_offset_z
      - .offset:         2832
        .size:           2
        .value_kind:     hidden_grid_dims
    .group_segment_fixed_size: 0
    .kernarg_segment_align: 8
    .kernarg_segment_size: 3024
    .language:       OpenCL C
    .language_version:
      - 2
      - 0
    .max_flat_workgroup_size: 1024
    .name:           _ZN2at6native12_GLOBAL__N_126CatArrayBatchedCopy_contigINS1_10OpaqueTypeILj4EEEjLi1ELi128ELi1EEEvPT_NS1_25CatArrInputTensorMetadataIS5_T0_XT2_EXT3_EEENS1_16TensorSizeStrideIS8_Lj4EEEiS8_
    .private_segment_fixed_size: 0
    .sgpr_count:     22
    .sgpr_spill_count: 0
    .symbol:         _ZN2at6native12_GLOBAL__N_126CatArrayBatchedCopy_contigINS1_10OpaqueTypeILj4EEEjLi1ELi128ELi1EEEvPT_NS1_25CatArrInputTensorMetadataIS5_T0_XT2_EXT3_EEENS1_16TensorSizeStrideIS8_Lj4EEEiS8_.kd
    .uniform_work_group_size: 1
    .uses_dynamic_stack: false
    .vgpr_count:     7
    .vgpr_spill_count: 0
    .wavefront_size: 64
  - .agpr_count:     0
    .args:
      - .address_space:  global
        .offset:         0
        .size:           8
        .value_kind:     global_buffer
      - .offset:         8
        .size:           2720
        .value_kind:     by_value
      - .offset:         2728
        .size:           32
        .value_kind:     by_value
      - .offset:         2760
        .size:           4
        .value_kind:     by_value
      - .offset:         2764
        .size:           4
        .value_kind:     by_value
      - .offset:         2768
        .size:           4
        .value_kind:     hidden_block_count_x
      - .offset:         2772
        .size:           4
        .value_kind:     hidden_block_count_y
      - .offset:         2776
        .size:           4
        .value_kind:     hidden_block_count_z
      - .offset:         2780
        .size:           2
        .value_kind:     hidden_group_size_x
      - .offset:         2782
        .size:           2
        .value_kind:     hidden_group_size_y
      - .offset:         2784
        .size:           2
        .value_kind:     hidden_group_size_z
      - .offset:         2786
        .size:           2
        .value_kind:     hidden_remainder_x
      - .offset:         2788
        .size:           2
        .value_kind:     hidden_remainder_y
      - .offset:         2790
        .size:           2
        .value_kind:     hidden_remainder_z
      - .offset:         2808
        .size:           8
        .value_kind:     hidden_global_offset_x
      - .offset:         2816
        .size:           8
        .value_kind:     hidden_global_offset_y
      - .offset:         2824
        .size:           8
        .value_kind:     hidden_global_offset_z
      - .offset:         2832
        .size:           2
        .value_kind:     hidden_grid_dims
    .group_segment_fixed_size: 0
    .kernarg_segment_align: 8
    .kernarg_segment_size: 3024
    .language:       OpenCL C
    .language_version:
      - 2
      - 0
    .max_flat_workgroup_size: 1024
    .name:           _ZN2at6native12_GLOBAL__N_119CatArrayBatchedCopyINS1_10OpaqueTypeILj4EEEjLi1ELi128ELi1EEEvPT_NS1_25CatArrInputTensorMetadataIS5_T0_XT2_EXT3_EEENS1_16TensorSizeStrideIS8_Lj4EEEiS8_
    .private_segment_fixed_size: 0
    .sgpr_count:     25
    .sgpr_spill_count: 0
    .symbol:         _ZN2at6native12_GLOBAL__N_119CatArrayBatchedCopyINS1_10OpaqueTypeILj4EEEjLi1ELi128ELi1EEEvPT_NS1_25CatArrInputTensorMetadataIS5_T0_XT2_EXT3_EEENS1_16TensorSizeStrideIS8_Lj4EEEiS8_.kd
    .uniform_work_group_size: 1
    .uses_dynamic_stack: false
    .vgpr_count:     8
    .vgpr_spill_count: 0
    .wavefront_size: 64
  - .agpr_count:     0
    .args:
      - .address_space:  global
        .offset:         0
        .size:           8
        .value_kind:     global_buffer
      - .offset:         8
        .size:           2720
        .value_kind:     by_value
      - .offset:         2728
        .size:           32
        .value_kind:     by_value
      - .offset:         2760
        .size:           4
        .value_kind:     by_value
      - .offset:         2764
        .size:           4
        .value_kind:     by_value
      - .offset:         2768
        .size:           4
        .value_kind:     hidden_block_count_x
      - .offset:         2772
        .size:           4
        .value_kind:     hidden_block_count_y
      - .offset:         2776
        .size:           4
        .value_kind:     hidden_block_count_z
      - .offset:         2780
        .size:           2
        .value_kind:     hidden_group_size_x
      - .offset:         2782
        .size:           2
        .value_kind:     hidden_group_size_y
      - .offset:         2784
        .size:           2
        .value_kind:     hidden_group_size_z
      - .offset:         2786
        .size:           2
        .value_kind:     hidden_remainder_x
      - .offset:         2788
        .size:           2
        .value_kind:     hidden_remainder_y
      - .offset:         2790
        .size:           2
        .value_kind:     hidden_remainder_z
      - .offset:         2808
        .size:           8
        .value_kind:     hidden_global_offset_x
      - .offset:         2816
        .size:           8
        .value_kind:     hidden_global_offset_y
      - .offset:         2824
        .size:           8
        .value_kind:     hidden_global_offset_z
      - .offset:         2832
        .size:           2
        .value_kind:     hidden_grid_dims
    .group_segment_fixed_size: 0
    .kernarg_segment_align: 8
    .kernarg_segment_size: 3024
    .language:       OpenCL C
    .language_version:
      - 2
      - 0
    .max_flat_workgroup_size: 1024
    .name:           _ZN2at6native12_GLOBAL__N_130CatArrayBatchedCopy_vectorizedINS1_10OpaqueTypeILj4EEEjLi2ELi128ELi1ELi16ELi4EEEvPcNS1_25CatArrInputTensorMetadataIT_T0_XT2_EXT3_EEENS1_16TensorSizeStrideIS8_Lj4EEEiS8_
    .private_segment_fixed_size: 0
    .sgpr_count:     24
    .sgpr_spill_count: 0
    .symbol:         _ZN2at6native12_GLOBAL__N_130CatArrayBatchedCopy_vectorizedINS1_10OpaqueTypeILj4EEEjLi2ELi128ELi1ELi16ELi4EEEvPcNS1_25CatArrInputTensorMetadataIT_T0_XT2_EXT3_EEENS1_16TensorSizeStrideIS8_Lj4EEEiS8_.kd
    .uniform_work_group_size: 1
    .uses_dynamic_stack: false
    .vgpr_count:     12
    .vgpr_spill_count: 0
    .wavefront_size: 64
  - .agpr_count:     0
    .args:
      - .address_space:  global
        .offset:         0
        .size:           8
        .value_kind:     global_buffer
      - .offset:         8
        .size:           2720
        .value_kind:     by_value
      - .offset:         2728
        .size:           32
        .value_kind:     by_value
      - .offset:         2760
        .size:           4
        .value_kind:     by_value
      - .offset:         2764
        .size:           4
        .value_kind:     by_value
      - .offset:         2768
        .size:           4
        .value_kind:     hidden_block_count_x
      - .offset:         2772
        .size:           4
        .value_kind:     hidden_block_count_y
      - .offset:         2776
        .size:           4
        .value_kind:     hidden_block_count_z
      - .offset:         2780
        .size:           2
        .value_kind:     hidden_group_size_x
      - .offset:         2782
        .size:           2
        .value_kind:     hidden_group_size_y
      - .offset:         2784
        .size:           2
        .value_kind:     hidden_group_size_z
      - .offset:         2786
        .size:           2
        .value_kind:     hidden_remainder_x
      - .offset:         2788
        .size:           2
        .value_kind:     hidden_remainder_y
      - .offset:         2790
        .size:           2
        .value_kind:     hidden_remainder_z
      - .offset:         2808
        .size:           8
        .value_kind:     hidden_global_offset_x
      - .offset:         2816
        .size:           8
        .value_kind:     hidden_global_offset_y
      - .offset:         2824
        .size:           8
        .value_kind:     hidden_global_offset_z
      - .offset:         2832
        .size:           2
        .value_kind:     hidden_grid_dims
    .group_segment_fixed_size: 0
    .kernarg_segment_align: 8
    .kernarg_segment_size: 3024
    .language:       OpenCL C
    .language_version:
      - 2
      - 0
    .max_flat_workgroup_size: 1024
    .name:           _ZN2at6native12_GLOBAL__N_135CatArrayBatchedCopy_alignedK_contigINS1_10OpaqueTypeILj4EEEjLi2ELi128ELi1ELi16EEEvPT_NS1_25CatArrInputTensorMetadataIS5_T0_XT2_EXT3_EEENS1_16TensorSizeStrideIS8_Lj4EEEiS8_
    .private_segment_fixed_size: 0
    .sgpr_count:     32
    .sgpr_spill_count: 0
    .symbol:         _ZN2at6native12_GLOBAL__N_135CatArrayBatchedCopy_alignedK_contigINS1_10OpaqueTypeILj4EEEjLi2ELi128ELi1ELi16EEEvPT_NS1_25CatArrInputTensorMetadataIS5_T0_XT2_EXT3_EEENS1_16TensorSizeStrideIS8_Lj4EEEiS8_.kd
    .uniform_work_group_size: 1
    .uses_dynamic_stack: false
    .vgpr_count:     35
    .vgpr_spill_count: 0
    .wavefront_size: 64
  - .agpr_count:     0
    .args:
      - .address_space:  global
        .offset:         0
        .size:           8
        .value_kind:     global_buffer
      - .offset:         8
        .size:           2720
        .value_kind:     by_value
      - .offset:         2728
        .size:           32
        .value_kind:     by_value
      - .offset:         2760
        .size:           4
        .value_kind:     by_value
      - .offset:         2764
        .size:           4
        .value_kind:     by_value
      - .offset:         2768
        .size:           4
        .value_kind:     hidden_block_count_x
      - .offset:         2772
        .size:           4
        .value_kind:     hidden_block_count_y
      - .offset:         2776
        .size:           4
        .value_kind:     hidden_block_count_z
      - .offset:         2780
        .size:           2
        .value_kind:     hidden_group_size_x
      - .offset:         2782
        .size:           2
        .value_kind:     hidden_group_size_y
      - .offset:         2784
        .size:           2
        .value_kind:     hidden_group_size_z
      - .offset:         2786
        .size:           2
        .value_kind:     hidden_remainder_x
      - .offset:         2788
        .size:           2
        .value_kind:     hidden_remainder_y
      - .offset:         2790
        .size:           2
        .value_kind:     hidden_remainder_z
      - .offset:         2808
        .size:           8
        .value_kind:     hidden_global_offset_x
      - .offset:         2816
        .size:           8
        .value_kind:     hidden_global_offset_y
      - .offset:         2824
        .size:           8
        .value_kind:     hidden_global_offset_z
      - .offset:         2832
        .size:           2
        .value_kind:     hidden_grid_dims
    .group_segment_fixed_size: 0
    .kernarg_segment_align: 8
    .kernarg_segment_size: 3024
    .language:       OpenCL C
    .language_version:
      - 2
      - 0
    .max_flat_workgroup_size: 1024
    .name:           _ZN2at6native12_GLOBAL__N_135CatArrayBatchedCopy_alignedK_contigINS1_10OpaqueTypeILj4EEEjLi2ELi128ELi1ELi8EEEvPT_NS1_25CatArrInputTensorMetadataIS5_T0_XT2_EXT3_EEENS1_16TensorSizeStrideIS8_Lj4EEEiS8_
    .private_segment_fixed_size: 0
    .sgpr_count:     28
    .sgpr_spill_count: 0
    .symbol:         _ZN2at6native12_GLOBAL__N_135CatArrayBatchedCopy_alignedK_contigINS1_10OpaqueTypeILj4EEEjLi2ELi128ELi1ELi8EEEvPT_NS1_25CatArrInputTensorMetadataIS5_T0_XT2_EXT3_EEENS1_16TensorSizeStrideIS8_Lj4EEEiS8_.kd
    .uniform_work_group_size: 1
    .uses_dynamic_stack: false
    .vgpr_count:     19
    .vgpr_spill_count: 0
    .wavefront_size: 64
  - .agpr_count:     0
    .args:
      - .address_space:  global
        .offset:         0
        .size:           8
        .value_kind:     global_buffer
      - .offset:         8
        .size:           2720
        .value_kind:     by_value
      - .offset:         2728
        .size:           32
        .value_kind:     by_value
      - .offset:         2760
        .size:           4
        .value_kind:     by_value
      - .offset:         2764
        .size:           4
        .value_kind:     by_value
      - .offset:         2768
        .size:           4
        .value_kind:     hidden_block_count_x
      - .offset:         2772
        .size:           4
        .value_kind:     hidden_block_count_y
      - .offset:         2776
        .size:           4
        .value_kind:     hidden_block_count_z
      - .offset:         2780
        .size:           2
        .value_kind:     hidden_group_size_x
      - .offset:         2782
        .size:           2
        .value_kind:     hidden_group_size_y
      - .offset:         2784
        .size:           2
        .value_kind:     hidden_group_size_z
      - .offset:         2786
        .size:           2
        .value_kind:     hidden_remainder_x
      - .offset:         2788
        .size:           2
        .value_kind:     hidden_remainder_y
      - .offset:         2790
        .size:           2
        .value_kind:     hidden_remainder_z
      - .offset:         2808
        .size:           8
        .value_kind:     hidden_global_offset_x
      - .offset:         2816
        .size:           8
        .value_kind:     hidden_global_offset_y
      - .offset:         2824
        .size:           8
        .value_kind:     hidden_global_offset_z
      - .offset:         2832
        .size:           2
        .value_kind:     hidden_grid_dims
    .group_segment_fixed_size: 0
    .kernarg_segment_align: 8
    .kernarg_segment_size: 3024
    .language:       OpenCL C
    .language_version:
      - 2
      - 0
    .max_flat_workgroup_size: 1024
    .name:           _ZN2at6native12_GLOBAL__N_126CatArrayBatchedCopy_contigINS1_10OpaqueTypeILj4EEEjLi2ELi128ELi1EEEvPT_NS1_25CatArrInputTensorMetadataIS5_T0_XT2_EXT3_EEENS1_16TensorSizeStrideIS8_Lj4EEEiS8_
    .private_segment_fixed_size: 0
    .sgpr_count:     24
    .sgpr_spill_count: 0
    .symbol:         _ZN2at6native12_GLOBAL__N_126CatArrayBatchedCopy_contigINS1_10OpaqueTypeILj4EEEjLi2ELi128ELi1EEEvPT_NS1_25CatArrInputTensorMetadataIS5_T0_XT2_EXT3_EEENS1_16TensorSizeStrideIS8_Lj4EEEiS8_.kd
    .uniform_work_group_size: 1
    .uses_dynamic_stack: false
    .vgpr_count:     10
    .vgpr_spill_count: 0
    .wavefront_size: 64
  - .agpr_count:     0
    .args:
      - .address_space:  global
        .offset:         0
        .size:           8
        .value_kind:     global_buffer
      - .offset:         8
        .size:           2720
        .value_kind:     by_value
      - .offset:         2728
        .size:           32
        .value_kind:     by_value
      - .offset:         2760
        .size:           4
        .value_kind:     by_value
      - .offset:         2764
        .size:           4
        .value_kind:     by_value
      - .offset:         2768
        .size:           4
        .value_kind:     hidden_block_count_x
      - .offset:         2772
        .size:           4
        .value_kind:     hidden_block_count_y
      - .offset:         2776
        .size:           4
        .value_kind:     hidden_block_count_z
      - .offset:         2780
        .size:           2
        .value_kind:     hidden_group_size_x
      - .offset:         2782
        .size:           2
        .value_kind:     hidden_group_size_y
      - .offset:         2784
        .size:           2
        .value_kind:     hidden_group_size_z
      - .offset:         2786
        .size:           2
        .value_kind:     hidden_remainder_x
      - .offset:         2788
        .size:           2
        .value_kind:     hidden_remainder_y
      - .offset:         2790
        .size:           2
        .value_kind:     hidden_remainder_z
      - .offset:         2808
        .size:           8
        .value_kind:     hidden_global_offset_x
      - .offset:         2816
        .size:           8
        .value_kind:     hidden_global_offset_y
      - .offset:         2824
        .size:           8
        .value_kind:     hidden_global_offset_z
      - .offset:         2832
        .size:           2
        .value_kind:     hidden_grid_dims
    .group_segment_fixed_size: 0
    .kernarg_segment_align: 8
    .kernarg_segment_size: 3024
    .language:       OpenCL C
    .language_version:
      - 2
      - 0
    .max_flat_workgroup_size: 1024
    .name:           _ZN2at6native12_GLOBAL__N_119CatArrayBatchedCopyINS1_10OpaqueTypeILj4EEEjLi2ELi128ELi1EEEvPT_NS1_25CatArrInputTensorMetadataIS5_T0_XT2_EXT3_EEENS1_16TensorSizeStrideIS8_Lj4EEEiS8_
    .private_segment_fixed_size: 0
    .sgpr_count:     31
    .sgpr_spill_count: 0
    .symbol:         _ZN2at6native12_GLOBAL__N_119CatArrayBatchedCopyINS1_10OpaqueTypeILj4EEEjLi2ELi128ELi1EEEvPT_NS1_25CatArrInputTensorMetadataIS5_T0_XT2_EXT3_EEENS1_16TensorSizeStrideIS8_Lj4EEEiS8_.kd
    .uniform_work_group_size: 1
    .uses_dynamic_stack: false
    .vgpr_count:     9
    .vgpr_spill_count: 0
    .wavefront_size: 64
  - .agpr_count:     0
    .args:
      - .address_space:  global
        .offset:         0
        .size:           8
        .value_kind:     global_buffer
      - .offset:         8
        .size:           2720
        .value_kind:     by_value
      - .offset:         2728
        .size:           32
        .value_kind:     by_value
      - .offset:         2760
        .size:           4
        .value_kind:     by_value
      - .offset:         2764
        .size:           4
        .value_kind:     by_value
      - .offset:         2768
        .size:           4
        .value_kind:     hidden_block_count_x
      - .offset:         2772
        .size:           4
        .value_kind:     hidden_block_count_y
      - .offset:         2776
        .size:           4
        .value_kind:     hidden_block_count_z
      - .offset:         2780
        .size:           2
        .value_kind:     hidden_group_size_x
      - .offset:         2782
        .size:           2
        .value_kind:     hidden_group_size_y
      - .offset:         2784
        .size:           2
        .value_kind:     hidden_group_size_z
      - .offset:         2786
        .size:           2
        .value_kind:     hidden_remainder_x
      - .offset:         2788
        .size:           2
        .value_kind:     hidden_remainder_y
      - .offset:         2790
        .size:           2
        .value_kind:     hidden_remainder_z
      - .offset:         2808
        .size:           8
        .value_kind:     hidden_global_offset_x
      - .offset:         2816
        .size:           8
        .value_kind:     hidden_global_offset_y
      - .offset:         2824
        .size:           8
        .value_kind:     hidden_global_offset_z
      - .offset:         2832
        .size:           2
        .value_kind:     hidden_grid_dims
    .group_segment_fixed_size: 0
    .kernarg_segment_align: 8
    .kernarg_segment_size: 3024
    .language:       OpenCL C
    .language_version:
      - 2
      - 0
    .max_flat_workgroup_size: 1024
    .name:           _ZN2at6native12_GLOBAL__N_130CatArrayBatchedCopy_vectorizedINS1_10OpaqueTypeILj4EEEjLi3ELi128ELi1ELi16ELi4EEEvPcNS1_25CatArrInputTensorMetadataIT_T0_XT2_EXT3_EEENS1_16TensorSizeStrideIS8_Lj4EEEiS8_
    .private_segment_fixed_size: 0
    .sgpr_count:     32
    .sgpr_spill_count: 0
    .symbol:         _ZN2at6native12_GLOBAL__N_130CatArrayBatchedCopy_vectorizedINS1_10OpaqueTypeILj4EEEjLi3ELi128ELi1ELi16ELi4EEEvPcNS1_25CatArrInputTensorMetadataIT_T0_XT2_EXT3_EEENS1_16TensorSizeStrideIS8_Lj4EEEiS8_.kd
    .uniform_work_group_size: 1
    .uses_dynamic_stack: false
    .vgpr_count:     14
    .vgpr_spill_count: 0
    .wavefront_size: 64
  - .agpr_count:     0
    .args:
      - .address_space:  global
        .offset:         0
        .size:           8
        .value_kind:     global_buffer
      - .offset:         8
        .size:           2720
        .value_kind:     by_value
      - .offset:         2728
        .size:           32
        .value_kind:     by_value
      - .offset:         2760
        .size:           4
        .value_kind:     by_value
      - .offset:         2764
        .size:           4
        .value_kind:     by_value
      - .offset:         2768
        .size:           4
        .value_kind:     hidden_block_count_x
      - .offset:         2772
        .size:           4
        .value_kind:     hidden_block_count_y
      - .offset:         2776
        .size:           4
        .value_kind:     hidden_block_count_z
      - .offset:         2780
        .size:           2
        .value_kind:     hidden_group_size_x
      - .offset:         2782
        .size:           2
        .value_kind:     hidden_group_size_y
      - .offset:         2784
        .size:           2
        .value_kind:     hidden_group_size_z
      - .offset:         2786
        .size:           2
        .value_kind:     hidden_remainder_x
      - .offset:         2788
        .size:           2
        .value_kind:     hidden_remainder_y
      - .offset:         2790
        .size:           2
        .value_kind:     hidden_remainder_z
      - .offset:         2808
        .size:           8
        .value_kind:     hidden_global_offset_x
      - .offset:         2816
        .size:           8
        .value_kind:     hidden_global_offset_y
      - .offset:         2824
        .size:           8
        .value_kind:     hidden_global_offset_z
      - .offset:         2832
        .size:           2
        .value_kind:     hidden_grid_dims
    .group_segment_fixed_size: 0
    .kernarg_segment_align: 8
    .kernarg_segment_size: 3024
    .language:       OpenCL C
    .language_version:
      - 2
      - 0
    .max_flat_workgroup_size: 1024
    .name:           _ZN2at6native12_GLOBAL__N_135CatArrayBatchedCopy_alignedK_contigINS1_10OpaqueTypeILj4EEEjLi3ELi128ELi1ELi16EEEvPT_NS1_25CatArrInputTensorMetadataIS5_T0_XT2_EXT3_EEENS1_16TensorSizeStrideIS8_Lj4EEEiS8_
    .private_segment_fixed_size: 0
    .sgpr_count:     36
    .sgpr_spill_count: 0
    .symbol:         _ZN2at6native12_GLOBAL__N_135CatArrayBatchedCopy_alignedK_contigINS1_10OpaqueTypeILj4EEEjLi3ELi128ELi1ELi16EEEvPT_NS1_25CatArrInputTensorMetadataIS5_T0_XT2_EXT3_EEENS1_16TensorSizeStrideIS8_Lj4EEEiS8_.kd
    .uniform_work_group_size: 1
    .uses_dynamic_stack: false
    .vgpr_count:     37
    .vgpr_spill_count: 0
    .wavefront_size: 64
  - .agpr_count:     0
    .args:
      - .address_space:  global
        .offset:         0
        .size:           8
        .value_kind:     global_buffer
      - .offset:         8
        .size:           2720
        .value_kind:     by_value
      - .offset:         2728
        .size:           32
        .value_kind:     by_value
      - .offset:         2760
        .size:           4
        .value_kind:     by_value
      - .offset:         2764
        .size:           4
        .value_kind:     by_value
      - .offset:         2768
        .size:           4
        .value_kind:     hidden_block_count_x
      - .offset:         2772
        .size:           4
        .value_kind:     hidden_block_count_y
      - .offset:         2776
        .size:           4
        .value_kind:     hidden_block_count_z
      - .offset:         2780
        .size:           2
        .value_kind:     hidden_group_size_x
      - .offset:         2782
        .size:           2
        .value_kind:     hidden_group_size_y
      - .offset:         2784
        .size:           2
        .value_kind:     hidden_group_size_z
      - .offset:         2786
        .size:           2
        .value_kind:     hidden_remainder_x
      - .offset:         2788
        .size:           2
        .value_kind:     hidden_remainder_y
      - .offset:         2790
        .size:           2
        .value_kind:     hidden_remainder_z
      - .offset:         2808
        .size:           8
        .value_kind:     hidden_global_offset_x
      - .offset:         2816
        .size:           8
        .value_kind:     hidden_global_offset_y
      - .offset:         2824
        .size:           8
        .value_kind:     hidden_global_offset_z
      - .offset:         2832
        .size:           2
        .value_kind:     hidden_grid_dims
    .group_segment_fixed_size: 0
    .kernarg_segment_align: 8
    .kernarg_segment_size: 3024
    .language:       OpenCL C
    .language_version:
      - 2
      - 0
    .max_flat_workgroup_size: 1024
    .name:           _ZN2at6native12_GLOBAL__N_135CatArrayBatchedCopy_alignedK_contigINS1_10OpaqueTypeILj4EEEjLi3ELi128ELi1ELi8EEEvPT_NS1_25CatArrInputTensorMetadataIS5_T0_XT2_EXT3_EEENS1_16TensorSizeStrideIS8_Lj4EEEiS8_
    .private_segment_fixed_size: 0
    .sgpr_count:     32
    .sgpr_spill_count: 0
    .symbol:         _ZN2at6native12_GLOBAL__N_135CatArrayBatchedCopy_alignedK_contigINS1_10OpaqueTypeILj4EEEjLi3ELi128ELi1ELi8EEEvPT_NS1_25CatArrInputTensorMetadataIS5_T0_XT2_EXT3_EEENS1_16TensorSizeStrideIS8_Lj4EEEiS8_.kd
    .uniform_work_group_size: 1
    .uses_dynamic_stack: false
    .vgpr_count:     21
    .vgpr_spill_count: 0
    .wavefront_size: 64
  - .agpr_count:     0
    .args:
      - .address_space:  global
        .offset:         0
        .size:           8
        .value_kind:     global_buffer
      - .offset:         8
        .size:           2720
        .value_kind:     by_value
      - .offset:         2728
        .size:           32
        .value_kind:     by_value
      - .offset:         2760
        .size:           4
        .value_kind:     by_value
      - .offset:         2764
        .size:           4
        .value_kind:     by_value
      - .offset:         2768
        .size:           4
        .value_kind:     hidden_block_count_x
      - .offset:         2772
        .size:           4
        .value_kind:     hidden_block_count_y
      - .offset:         2776
        .size:           4
        .value_kind:     hidden_block_count_z
      - .offset:         2780
        .size:           2
        .value_kind:     hidden_group_size_x
      - .offset:         2782
        .size:           2
        .value_kind:     hidden_group_size_y
      - .offset:         2784
        .size:           2
        .value_kind:     hidden_group_size_z
      - .offset:         2786
        .size:           2
        .value_kind:     hidden_remainder_x
      - .offset:         2788
        .size:           2
        .value_kind:     hidden_remainder_y
      - .offset:         2790
        .size:           2
        .value_kind:     hidden_remainder_z
      - .offset:         2808
        .size:           8
        .value_kind:     hidden_global_offset_x
      - .offset:         2816
        .size:           8
        .value_kind:     hidden_global_offset_y
      - .offset:         2824
        .size:           8
        .value_kind:     hidden_global_offset_z
      - .offset:         2832
        .size:           2
        .value_kind:     hidden_grid_dims
    .group_segment_fixed_size: 0
    .kernarg_segment_align: 8
    .kernarg_segment_size: 3024
    .language:       OpenCL C
    .language_version:
      - 2
      - 0
    .max_flat_workgroup_size: 1024
    .name:           _ZN2at6native12_GLOBAL__N_126CatArrayBatchedCopy_contigINS1_10OpaqueTypeILj4EEEjLi3ELi128ELi1EEEvPT_NS1_25CatArrInputTensorMetadataIS5_T0_XT2_EXT3_EEENS1_16TensorSizeStrideIS8_Lj4EEEiS8_
    .private_segment_fixed_size: 0
    .sgpr_count:     30
    .sgpr_spill_count: 0
    .symbol:         _ZN2at6native12_GLOBAL__N_126CatArrayBatchedCopy_contigINS1_10OpaqueTypeILj4EEEjLi3ELi128ELi1EEEvPT_NS1_25CatArrInputTensorMetadataIS5_T0_XT2_EXT3_EEENS1_16TensorSizeStrideIS8_Lj4EEEiS8_.kd
    .uniform_work_group_size: 1
    .uses_dynamic_stack: false
    .vgpr_count:     11
    .vgpr_spill_count: 0
    .wavefront_size: 64
  - .agpr_count:     0
    .args:
      - .address_space:  global
        .offset:         0
        .size:           8
        .value_kind:     global_buffer
      - .offset:         8
        .size:           2720
        .value_kind:     by_value
      - .offset:         2728
        .size:           32
        .value_kind:     by_value
      - .offset:         2760
        .size:           4
        .value_kind:     by_value
      - .offset:         2764
        .size:           4
        .value_kind:     by_value
      - .offset:         2768
        .size:           4
        .value_kind:     hidden_block_count_x
      - .offset:         2772
        .size:           4
        .value_kind:     hidden_block_count_y
      - .offset:         2776
        .size:           4
        .value_kind:     hidden_block_count_z
      - .offset:         2780
        .size:           2
        .value_kind:     hidden_group_size_x
      - .offset:         2782
        .size:           2
        .value_kind:     hidden_group_size_y
      - .offset:         2784
        .size:           2
        .value_kind:     hidden_group_size_z
      - .offset:         2786
        .size:           2
        .value_kind:     hidden_remainder_x
      - .offset:         2788
        .size:           2
        .value_kind:     hidden_remainder_y
      - .offset:         2790
        .size:           2
        .value_kind:     hidden_remainder_z
      - .offset:         2808
        .size:           8
        .value_kind:     hidden_global_offset_x
      - .offset:         2816
        .size:           8
        .value_kind:     hidden_global_offset_y
      - .offset:         2824
        .size:           8
        .value_kind:     hidden_global_offset_z
      - .offset:         2832
        .size:           2
        .value_kind:     hidden_grid_dims
    .group_segment_fixed_size: 0
    .kernarg_segment_align: 8
    .kernarg_segment_size: 3024
    .language:       OpenCL C
    .language_version:
      - 2
      - 0
    .max_flat_workgroup_size: 1024
    .name:           _ZN2at6native12_GLOBAL__N_119CatArrayBatchedCopyINS1_10OpaqueTypeILj4EEEjLi3ELi128ELi1EEEvPT_NS1_25CatArrInputTensorMetadataIS5_T0_XT2_EXT3_EEENS1_16TensorSizeStrideIS8_Lj4EEEiS8_
    .private_segment_fixed_size: 0
    .sgpr_count:     37
    .sgpr_spill_count: 0
    .symbol:         _ZN2at6native12_GLOBAL__N_119CatArrayBatchedCopyINS1_10OpaqueTypeILj4EEEjLi3ELi128ELi1EEEvPT_NS1_25CatArrInputTensorMetadataIS5_T0_XT2_EXT3_EEENS1_16TensorSizeStrideIS8_Lj4EEEiS8_.kd
    .uniform_work_group_size: 1
    .uses_dynamic_stack: false
    .vgpr_count:     12
    .vgpr_spill_count: 0
    .wavefront_size: 64
  - .agpr_count:     0
    .args:
      - .address_space:  global
        .offset:         0
        .size:           8
        .value_kind:     global_buffer
      - .offset:         8
        .size:           2720
        .value_kind:     by_value
      - .offset:         2728
        .size:           32
        .value_kind:     by_value
      - .offset:         2760
        .size:           4
        .value_kind:     by_value
      - .offset:         2764
        .size:           4
        .value_kind:     by_value
      - .offset:         2768
        .size:           4
        .value_kind:     hidden_block_count_x
      - .offset:         2772
        .size:           4
        .value_kind:     hidden_block_count_y
      - .offset:         2776
        .size:           4
        .value_kind:     hidden_block_count_z
      - .offset:         2780
        .size:           2
        .value_kind:     hidden_group_size_x
      - .offset:         2782
        .size:           2
        .value_kind:     hidden_group_size_y
      - .offset:         2784
        .size:           2
        .value_kind:     hidden_group_size_z
      - .offset:         2786
        .size:           2
        .value_kind:     hidden_remainder_x
      - .offset:         2788
        .size:           2
        .value_kind:     hidden_remainder_y
      - .offset:         2790
        .size:           2
        .value_kind:     hidden_remainder_z
      - .offset:         2808
        .size:           8
        .value_kind:     hidden_global_offset_x
      - .offset:         2816
        .size:           8
        .value_kind:     hidden_global_offset_y
      - .offset:         2824
        .size:           8
        .value_kind:     hidden_global_offset_z
      - .offset:         2832
        .size:           2
        .value_kind:     hidden_grid_dims
    .group_segment_fixed_size: 0
    .kernarg_segment_align: 8
    .kernarg_segment_size: 3024
    .language:       OpenCL C
    .language_version:
      - 2
      - 0
    .max_flat_workgroup_size: 1024
    .name:           _ZN2at6native12_GLOBAL__N_130CatArrayBatchedCopy_vectorizedINS1_10OpaqueTypeILj4EEEjLi4ELi128ELi1ELi16ELi4EEEvPcNS1_25CatArrInputTensorMetadataIT_T0_XT2_EXT3_EEENS1_16TensorSizeStrideIS8_Lj4EEEiS8_
    .private_segment_fixed_size: 0
    .sgpr_count:     32
    .sgpr_spill_count: 0
    .symbol:         _ZN2at6native12_GLOBAL__N_130CatArrayBatchedCopy_vectorizedINS1_10OpaqueTypeILj4EEEjLi4ELi128ELi1ELi16ELi4EEEvPcNS1_25CatArrInputTensorMetadataIT_T0_XT2_EXT3_EEENS1_16TensorSizeStrideIS8_Lj4EEEiS8_.kd
    .uniform_work_group_size: 1
    .uses_dynamic_stack: false
    .vgpr_count:     16
    .vgpr_spill_count: 0
    .wavefront_size: 64
  - .agpr_count:     0
    .args:
      - .address_space:  global
        .offset:         0
        .size:           8
        .value_kind:     global_buffer
      - .offset:         8
        .size:           2720
        .value_kind:     by_value
      - .offset:         2728
        .size:           32
        .value_kind:     by_value
      - .offset:         2760
        .size:           4
        .value_kind:     by_value
      - .offset:         2764
        .size:           4
        .value_kind:     by_value
      - .offset:         2768
        .size:           4
        .value_kind:     hidden_block_count_x
      - .offset:         2772
        .size:           4
        .value_kind:     hidden_block_count_y
      - .offset:         2776
        .size:           4
        .value_kind:     hidden_block_count_z
      - .offset:         2780
        .size:           2
        .value_kind:     hidden_group_size_x
      - .offset:         2782
        .size:           2
        .value_kind:     hidden_group_size_y
      - .offset:         2784
        .size:           2
        .value_kind:     hidden_group_size_z
      - .offset:         2786
        .size:           2
        .value_kind:     hidden_remainder_x
      - .offset:         2788
        .size:           2
        .value_kind:     hidden_remainder_y
      - .offset:         2790
        .size:           2
        .value_kind:     hidden_remainder_z
      - .offset:         2808
        .size:           8
        .value_kind:     hidden_global_offset_x
      - .offset:         2816
        .size:           8
        .value_kind:     hidden_global_offset_y
      - .offset:         2824
        .size:           8
        .value_kind:     hidden_global_offset_z
      - .offset:         2832
        .size:           2
        .value_kind:     hidden_grid_dims
    .group_segment_fixed_size: 0
    .kernarg_segment_align: 8
    .kernarg_segment_size: 3024
    .language:       OpenCL C
    .language_version:
      - 2
      - 0
    .max_flat_workgroup_size: 1024
    .name:           _ZN2at6native12_GLOBAL__N_135CatArrayBatchedCopy_alignedK_contigINS1_10OpaqueTypeILj4EEEjLi4ELi128ELi1ELi16EEEvPT_NS1_25CatArrInputTensorMetadataIS5_T0_XT2_EXT3_EEENS1_16TensorSizeStrideIS8_Lj4EEEiS8_
    .private_segment_fixed_size: 0
    .sgpr_count:     38
    .sgpr_spill_count: 0
    .symbol:         _ZN2at6native12_GLOBAL__N_135CatArrayBatchedCopy_alignedK_contigINS1_10OpaqueTypeILj4EEEjLi4ELi128ELi1ELi16EEEvPT_NS1_25CatArrInputTensorMetadataIS5_T0_XT2_EXT3_EEENS1_16TensorSizeStrideIS8_Lj4EEEiS8_.kd
    .uniform_work_group_size: 1
    .uses_dynamic_stack: false
    .vgpr_count:     40
    .vgpr_spill_count: 0
    .wavefront_size: 64
  - .agpr_count:     0
    .args:
      - .address_space:  global
        .offset:         0
        .size:           8
        .value_kind:     global_buffer
      - .offset:         8
        .size:           2720
        .value_kind:     by_value
      - .offset:         2728
        .size:           32
        .value_kind:     by_value
      - .offset:         2760
        .size:           4
        .value_kind:     by_value
      - .offset:         2764
        .size:           4
        .value_kind:     by_value
      - .offset:         2768
        .size:           4
        .value_kind:     hidden_block_count_x
      - .offset:         2772
        .size:           4
        .value_kind:     hidden_block_count_y
      - .offset:         2776
        .size:           4
        .value_kind:     hidden_block_count_z
      - .offset:         2780
        .size:           2
        .value_kind:     hidden_group_size_x
      - .offset:         2782
        .size:           2
        .value_kind:     hidden_group_size_y
      - .offset:         2784
        .size:           2
        .value_kind:     hidden_group_size_z
      - .offset:         2786
        .size:           2
        .value_kind:     hidden_remainder_x
      - .offset:         2788
        .size:           2
        .value_kind:     hidden_remainder_y
      - .offset:         2790
        .size:           2
        .value_kind:     hidden_remainder_z
      - .offset:         2808
        .size:           8
        .value_kind:     hidden_global_offset_x
      - .offset:         2816
        .size:           8
        .value_kind:     hidden_global_offset_y
      - .offset:         2824
        .size:           8
        .value_kind:     hidden_global_offset_z
      - .offset:         2832
        .size:           2
        .value_kind:     hidden_grid_dims
    .group_segment_fixed_size: 0
    .kernarg_segment_align: 8
    .kernarg_segment_size: 3024
    .language:       OpenCL C
    .language_version:
      - 2
      - 0
    .max_flat_workgroup_size: 1024
    .name:           _ZN2at6native12_GLOBAL__N_135CatArrayBatchedCopy_alignedK_contigINS1_10OpaqueTypeILj4EEEjLi4ELi128ELi1ELi8EEEvPT_NS1_25CatArrInputTensorMetadataIS5_T0_XT2_EXT3_EEENS1_16TensorSizeStrideIS8_Lj4EEEiS8_
    .private_segment_fixed_size: 0
    .sgpr_count:     34
    .sgpr_spill_count: 0
    .symbol:         _ZN2at6native12_GLOBAL__N_135CatArrayBatchedCopy_alignedK_contigINS1_10OpaqueTypeILj4EEEjLi4ELi128ELi1ELi8EEEvPT_NS1_25CatArrInputTensorMetadataIS5_T0_XT2_EXT3_EEENS1_16TensorSizeStrideIS8_Lj4EEEiS8_.kd
    .uniform_work_group_size: 1
    .uses_dynamic_stack: false
    .vgpr_count:     22
    .vgpr_spill_count: 0
    .wavefront_size: 64
  - .agpr_count:     0
    .args:
      - .address_space:  global
        .offset:         0
        .size:           8
        .value_kind:     global_buffer
      - .offset:         8
        .size:           2720
        .value_kind:     by_value
      - .offset:         2728
        .size:           32
        .value_kind:     by_value
      - .offset:         2760
        .size:           4
        .value_kind:     by_value
      - .offset:         2764
        .size:           4
        .value_kind:     by_value
      - .offset:         2768
        .size:           4
        .value_kind:     hidden_block_count_x
      - .offset:         2772
        .size:           4
        .value_kind:     hidden_block_count_y
      - .offset:         2776
        .size:           4
        .value_kind:     hidden_block_count_z
      - .offset:         2780
        .size:           2
        .value_kind:     hidden_group_size_x
      - .offset:         2782
        .size:           2
        .value_kind:     hidden_group_size_y
      - .offset:         2784
        .size:           2
        .value_kind:     hidden_group_size_z
      - .offset:         2786
        .size:           2
        .value_kind:     hidden_remainder_x
      - .offset:         2788
        .size:           2
        .value_kind:     hidden_remainder_y
      - .offset:         2790
        .size:           2
        .value_kind:     hidden_remainder_z
      - .offset:         2808
        .size:           8
        .value_kind:     hidden_global_offset_x
      - .offset:         2816
        .size:           8
        .value_kind:     hidden_global_offset_y
      - .offset:         2824
        .size:           8
        .value_kind:     hidden_global_offset_z
      - .offset:         2832
        .size:           2
        .value_kind:     hidden_grid_dims
    .group_segment_fixed_size: 0
    .kernarg_segment_align: 8
    .kernarg_segment_size: 3024
    .language:       OpenCL C
    .language_version:
      - 2
      - 0
    .max_flat_workgroup_size: 1024
    .name:           _ZN2at6native12_GLOBAL__N_126CatArrayBatchedCopy_contigINS1_10OpaqueTypeILj4EEEjLi4ELi128ELi1EEEvPT_NS1_25CatArrInputTensorMetadataIS5_T0_XT2_EXT3_EEENS1_16TensorSizeStrideIS8_Lj4EEEiS8_
    .private_segment_fixed_size: 0
    .sgpr_count:     33
    .sgpr_spill_count: 0
    .symbol:         _ZN2at6native12_GLOBAL__N_126CatArrayBatchedCopy_contigINS1_10OpaqueTypeILj4EEEjLi4ELi128ELi1EEEvPT_NS1_25CatArrInputTensorMetadataIS5_T0_XT2_EXT3_EEENS1_16TensorSizeStrideIS8_Lj4EEEiS8_.kd
    .uniform_work_group_size: 1
    .uses_dynamic_stack: false
    .vgpr_count:     14
    .vgpr_spill_count: 0
    .wavefront_size: 64
  - .agpr_count:     0
    .args:
      - .address_space:  global
        .offset:         0
        .size:           8
        .value_kind:     global_buffer
      - .offset:         8
        .size:           2720
        .value_kind:     by_value
      - .offset:         2728
        .size:           32
        .value_kind:     by_value
      - .offset:         2760
        .size:           4
        .value_kind:     by_value
      - .offset:         2764
        .size:           4
        .value_kind:     by_value
      - .offset:         2768
        .size:           4
        .value_kind:     hidden_block_count_x
      - .offset:         2772
        .size:           4
        .value_kind:     hidden_block_count_y
      - .offset:         2776
        .size:           4
        .value_kind:     hidden_block_count_z
      - .offset:         2780
        .size:           2
        .value_kind:     hidden_group_size_x
      - .offset:         2782
        .size:           2
        .value_kind:     hidden_group_size_y
      - .offset:         2784
        .size:           2
        .value_kind:     hidden_group_size_z
      - .offset:         2786
        .size:           2
        .value_kind:     hidden_remainder_x
      - .offset:         2788
        .size:           2
        .value_kind:     hidden_remainder_y
      - .offset:         2790
        .size:           2
        .value_kind:     hidden_remainder_z
      - .offset:         2808
        .size:           8
        .value_kind:     hidden_global_offset_x
      - .offset:         2816
        .size:           8
        .value_kind:     hidden_global_offset_y
      - .offset:         2824
        .size:           8
        .value_kind:     hidden_global_offset_z
      - .offset:         2832
        .size:           2
        .value_kind:     hidden_grid_dims
    .group_segment_fixed_size: 0
    .kernarg_segment_align: 8
    .kernarg_segment_size: 3024
    .language:       OpenCL C
    .language_version:
      - 2
      - 0
    .max_flat_workgroup_size: 1024
    .name:           _ZN2at6native12_GLOBAL__N_119CatArrayBatchedCopyINS1_10OpaqueTypeILj4EEEjLi4ELi128ELi1EEEvPT_NS1_25CatArrInputTensorMetadataIS5_T0_XT2_EXT3_EEENS1_16TensorSizeStrideIS8_Lj4EEEiS8_
    .private_segment_fixed_size: 0
    .sgpr_count:     42
    .sgpr_spill_count: 0
    .symbol:         _ZN2at6native12_GLOBAL__N_119CatArrayBatchedCopyINS1_10OpaqueTypeILj4EEEjLi4ELi128ELi1EEEvPT_NS1_25CatArrInputTensorMetadataIS5_T0_XT2_EXT3_EEENS1_16TensorSizeStrideIS8_Lj4EEEiS8_.kd
    .uniform_work_group_size: 1
    .uses_dynamic_stack: false
    .vgpr_count:     15
    .vgpr_spill_count: 0
    .wavefront_size: 64
  - .agpr_count:     0
    .args:
      - .address_space:  global
        .offset:         0
        .size:           8
        .value_kind:     global_buffer
      - .offset:         8
        .size:           2720
        .value_kind:     by_value
      - .offset:         2728
        .size:           32
        .value_kind:     by_value
      - .offset:         2760
        .size:           4
        .value_kind:     by_value
      - .offset:         2764
        .size:           4
        .value_kind:     by_value
      - .offset:         2768
        .size:           4
        .value_kind:     hidden_block_count_x
      - .offset:         2772
        .size:           4
        .value_kind:     hidden_block_count_y
      - .offset:         2776
        .size:           4
        .value_kind:     hidden_block_count_z
      - .offset:         2780
        .size:           2
        .value_kind:     hidden_group_size_x
      - .offset:         2782
        .size:           2
        .value_kind:     hidden_group_size_y
      - .offset:         2784
        .size:           2
        .value_kind:     hidden_group_size_z
      - .offset:         2786
        .size:           2
        .value_kind:     hidden_remainder_x
      - .offset:         2788
        .size:           2
        .value_kind:     hidden_remainder_y
      - .offset:         2790
        .size:           2
        .value_kind:     hidden_remainder_z
      - .offset:         2808
        .size:           8
        .value_kind:     hidden_global_offset_x
      - .offset:         2816
        .size:           8
        .value_kind:     hidden_global_offset_y
      - .offset:         2824
        .size:           8
        .value_kind:     hidden_global_offset_z
      - .offset:         2832
        .size:           2
        .value_kind:     hidden_grid_dims
    .group_segment_fixed_size: 0
    .kernarg_segment_align: 8
    .kernarg_segment_size: 3024
    .language:       OpenCL C
    .language_version:
      - 2
      - 0
    .max_flat_workgroup_size: 1024
    .name:           _ZN2at6native12_GLOBAL__N_130CatArrayBatchedCopy_vectorizedINS1_10OpaqueTypeILj8EEEjLi1ELi128ELi1ELi16ELi2EEEvPcNS1_25CatArrInputTensorMetadataIT_T0_XT2_EXT3_EEENS1_16TensorSizeStrideIS8_Lj4EEEiS8_
    .private_segment_fixed_size: 0
    .sgpr_count:     25
    .sgpr_spill_count: 0
    .symbol:         _ZN2at6native12_GLOBAL__N_130CatArrayBatchedCopy_vectorizedINS1_10OpaqueTypeILj8EEEjLi1ELi128ELi1ELi16ELi2EEEvPcNS1_25CatArrInputTensorMetadataIT_T0_XT2_EXT3_EEENS1_16TensorSizeStrideIS8_Lj4EEEiS8_.kd
    .uniform_work_group_size: 1
    .uses_dynamic_stack: false
    .vgpr_count:     10
    .vgpr_spill_count: 0
    .wavefront_size: 64
  - .agpr_count:     0
    .args:
      - .address_space:  global
        .offset:         0
        .size:           8
        .value_kind:     global_buffer
      - .offset:         8
        .size:           2720
        .value_kind:     by_value
      - .offset:         2728
        .size:           32
        .value_kind:     by_value
      - .offset:         2760
        .size:           4
        .value_kind:     by_value
      - .offset:         2764
        .size:           4
        .value_kind:     by_value
      - .offset:         2768
        .size:           4
        .value_kind:     hidden_block_count_x
      - .offset:         2772
        .size:           4
        .value_kind:     hidden_block_count_y
      - .offset:         2776
        .size:           4
        .value_kind:     hidden_block_count_z
      - .offset:         2780
        .size:           2
        .value_kind:     hidden_group_size_x
      - .offset:         2782
        .size:           2
        .value_kind:     hidden_group_size_y
      - .offset:         2784
        .size:           2
        .value_kind:     hidden_group_size_z
      - .offset:         2786
        .size:           2
        .value_kind:     hidden_remainder_x
      - .offset:         2788
        .size:           2
        .value_kind:     hidden_remainder_y
      - .offset:         2790
        .size:           2
        .value_kind:     hidden_remainder_z
      - .offset:         2808
        .size:           8
        .value_kind:     hidden_global_offset_x
      - .offset:         2816
        .size:           8
        .value_kind:     hidden_global_offset_y
      - .offset:         2824
        .size:           8
        .value_kind:     hidden_global_offset_z
      - .offset:         2832
        .size:           2
        .value_kind:     hidden_grid_dims
    .group_segment_fixed_size: 0
    .kernarg_segment_align: 8
    .kernarg_segment_size: 3024
    .language:       OpenCL C
    .language_version:
      - 2
      - 0
    .max_flat_workgroup_size: 1024
    .name:           _ZN2at6native12_GLOBAL__N_135CatArrayBatchedCopy_alignedK_contigINS1_10OpaqueTypeILj8EEEjLi1ELi128ELi1ELi16EEEvPT_NS1_25CatArrInputTensorMetadataIS5_T0_XT2_EXT3_EEENS1_16TensorSizeStrideIS8_Lj4EEEiS8_
    .private_segment_fixed_size: 0
    .sgpr_count:     23
    .sgpr_spill_count: 0
    .symbol:         _ZN2at6native12_GLOBAL__N_135CatArrayBatchedCopy_alignedK_contigINS1_10OpaqueTypeILj8EEEjLi1ELi128ELi1ELi16EEEvPT_NS1_25CatArrInputTensorMetadataIS5_T0_XT2_EXT3_EEENS1_16TensorSizeStrideIS8_Lj4EEEiS8_.kd
    .uniform_work_group_size: 1
    .uses_dynamic_stack: false
    .vgpr_count:     13
    .vgpr_spill_count: 0
    .wavefront_size: 64
  - .agpr_count:     0
    .args:
      - .address_space:  global
        .offset:         0
        .size:           8
        .value_kind:     global_buffer
      - .offset:         8
        .size:           2720
        .value_kind:     by_value
      - .offset:         2728
        .size:           32
        .value_kind:     by_value
      - .offset:         2760
        .size:           4
        .value_kind:     by_value
      - .offset:         2764
        .size:           4
        .value_kind:     by_value
      - .offset:         2768
        .size:           4
        .value_kind:     hidden_block_count_x
      - .offset:         2772
        .size:           4
        .value_kind:     hidden_block_count_y
      - .offset:         2776
        .size:           4
        .value_kind:     hidden_block_count_z
      - .offset:         2780
        .size:           2
        .value_kind:     hidden_group_size_x
      - .offset:         2782
        .size:           2
        .value_kind:     hidden_group_size_y
      - .offset:         2784
        .size:           2
        .value_kind:     hidden_group_size_z
      - .offset:         2786
        .size:           2
        .value_kind:     hidden_remainder_x
      - .offset:         2788
        .size:           2
        .value_kind:     hidden_remainder_y
      - .offset:         2790
        .size:           2
        .value_kind:     hidden_remainder_z
      - .offset:         2808
        .size:           8
        .value_kind:     hidden_global_offset_x
      - .offset:         2816
        .size:           8
        .value_kind:     hidden_global_offset_y
      - .offset:         2824
        .size:           8
        .value_kind:     hidden_global_offset_z
      - .offset:         2832
        .size:           2
        .value_kind:     hidden_grid_dims
    .group_segment_fixed_size: 0
    .kernarg_segment_align: 8
    .kernarg_segment_size: 3024
    .language:       OpenCL C
    .language_version:
      - 2
      - 0
    .max_flat_workgroup_size: 1024
    .name:           _ZN2at6native12_GLOBAL__N_135CatArrayBatchedCopy_alignedK_contigINS1_10OpaqueTypeILj8EEEjLi1ELi128ELi1ELi8EEEvPT_NS1_25CatArrInputTensorMetadataIS5_T0_XT2_EXT3_EEENS1_16TensorSizeStrideIS8_Lj4EEEiS8_
    .private_segment_fixed_size: 0
    .sgpr_count:     22
    .sgpr_spill_count: 0
    .symbol:         _ZN2at6native12_GLOBAL__N_135CatArrayBatchedCopy_alignedK_contigINS1_10OpaqueTypeILj8EEEjLi1ELi128ELi1ELi8EEEvPT_NS1_25CatArrInputTensorMetadataIS5_T0_XT2_EXT3_EEENS1_16TensorSizeStrideIS8_Lj4EEEiS8_.kd
    .uniform_work_group_size: 1
    .uses_dynamic_stack: false
    .vgpr_count:     10
    .vgpr_spill_count: 0
    .wavefront_size: 64
  - .agpr_count:     0
    .args:
      - .address_space:  global
        .offset:         0
        .size:           8
        .value_kind:     global_buffer
      - .offset:         8
        .size:           2720
        .value_kind:     by_value
      - .offset:         2728
        .size:           32
        .value_kind:     by_value
      - .offset:         2760
        .size:           4
        .value_kind:     by_value
      - .offset:         2764
        .size:           4
        .value_kind:     by_value
      - .offset:         2768
        .size:           4
        .value_kind:     hidden_block_count_x
      - .offset:         2772
        .size:           4
        .value_kind:     hidden_block_count_y
      - .offset:         2776
        .size:           4
        .value_kind:     hidden_block_count_z
      - .offset:         2780
        .size:           2
        .value_kind:     hidden_group_size_x
      - .offset:         2782
        .size:           2
        .value_kind:     hidden_group_size_y
      - .offset:         2784
        .size:           2
        .value_kind:     hidden_group_size_z
      - .offset:         2786
        .size:           2
        .value_kind:     hidden_remainder_x
      - .offset:         2788
        .size:           2
        .value_kind:     hidden_remainder_y
      - .offset:         2790
        .size:           2
        .value_kind:     hidden_remainder_z
      - .offset:         2808
        .size:           8
        .value_kind:     hidden_global_offset_x
      - .offset:         2816
        .size:           8
        .value_kind:     hidden_global_offset_y
      - .offset:         2824
        .size:           8
        .value_kind:     hidden_global_offset_z
      - .offset:         2832
        .size:           2
        .value_kind:     hidden_grid_dims
    .group_segment_fixed_size: 0
    .kernarg_segment_align: 8
    .kernarg_segment_size: 3024
    .language:       OpenCL C
    .language_version:
      - 2
      - 0
    .max_flat_workgroup_size: 1024
    .name:           _ZN2at6native12_GLOBAL__N_126CatArrayBatchedCopy_contigINS1_10OpaqueTypeILj8EEEjLi1ELi128ELi1EEEvPT_NS1_25CatArrInputTensorMetadataIS5_T0_XT2_EXT3_EEENS1_16TensorSizeStrideIS8_Lj4EEEiS8_
    .private_segment_fixed_size: 0
    .sgpr_count:     22
    .sgpr_spill_count: 0
    .symbol:         _ZN2at6native12_GLOBAL__N_126CatArrayBatchedCopy_contigINS1_10OpaqueTypeILj8EEEjLi1ELi128ELi1EEEvPT_NS1_25CatArrInputTensorMetadataIS5_T0_XT2_EXT3_EEENS1_16TensorSizeStrideIS8_Lj4EEEiS8_.kd
    .uniform_work_group_size: 1
    .uses_dynamic_stack: false
    .vgpr_count:     8
    .vgpr_spill_count: 0
    .wavefront_size: 64
  - .agpr_count:     0
    .args:
      - .address_space:  global
        .offset:         0
        .size:           8
        .value_kind:     global_buffer
      - .offset:         8
        .size:           2720
        .value_kind:     by_value
      - .offset:         2728
        .size:           32
        .value_kind:     by_value
      - .offset:         2760
        .size:           4
        .value_kind:     by_value
      - .offset:         2764
        .size:           4
        .value_kind:     by_value
      - .offset:         2768
        .size:           4
        .value_kind:     hidden_block_count_x
      - .offset:         2772
        .size:           4
        .value_kind:     hidden_block_count_y
      - .offset:         2776
        .size:           4
        .value_kind:     hidden_block_count_z
      - .offset:         2780
        .size:           2
        .value_kind:     hidden_group_size_x
      - .offset:         2782
        .size:           2
        .value_kind:     hidden_group_size_y
      - .offset:         2784
        .size:           2
        .value_kind:     hidden_group_size_z
      - .offset:         2786
        .size:           2
        .value_kind:     hidden_remainder_x
      - .offset:         2788
        .size:           2
        .value_kind:     hidden_remainder_y
      - .offset:         2790
        .size:           2
        .value_kind:     hidden_remainder_z
      - .offset:         2808
        .size:           8
        .value_kind:     hidden_global_offset_x
      - .offset:         2816
        .size:           8
        .value_kind:     hidden_global_offset_y
      - .offset:         2824
        .size:           8
        .value_kind:     hidden_global_offset_z
      - .offset:         2832
        .size:           2
        .value_kind:     hidden_grid_dims
    .group_segment_fixed_size: 0
    .kernarg_segment_align: 8
    .kernarg_segment_size: 3024
    .language:       OpenCL C
    .language_version:
      - 2
      - 0
    .max_flat_workgroup_size: 1024
    .name:           _ZN2at6native12_GLOBAL__N_119CatArrayBatchedCopyINS1_10OpaqueTypeILj8EEEjLi1ELi128ELi1EEEvPT_NS1_25CatArrInputTensorMetadataIS5_T0_XT2_EXT3_EEENS1_16TensorSizeStrideIS8_Lj4EEEiS8_
    .private_segment_fixed_size: 0
    .sgpr_count:     25
    .sgpr_spill_count: 0
    .symbol:         _ZN2at6native12_GLOBAL__N_119CatArrayBatchedCopyINS1_10OpaqueTypeILj8EEEjLi1ELi128ELi1EEEvPT_NS1_25CatArrInputTensorMetadataIS5_T0_XT2_EXT3_EEENS1_16TensorSizeStrideIS8_Lj4EEEiS8_.kd
    .uniform_work_group_size: 1
    .uses_dynamic_stack: false
    .vgpr_count:     10
    .vgpr_spill_count: 0
    .wavefront_size: 64
  - .agpr_count:     0
    .args:
      - .address_space:  global
        .offset:         0
        .size:           8
        .value_kind:     global_buffer
      - .offset:         8
        .size:           2720
        .value_kind:     by_value
      - .offset:         2728
        .size:           32
        .value_kind:     by_value
      - .offset:         2760
        .size:           4
        .value_kind:     by_value
      - .offset:         2764
        .size:           4
        .value_kind:     by_value
      - .offset:         2768
        .size:           4
        .value_kind:     hidden_block_count_x
      - .offset:         2772
        .size:           4
        .value_kind:     hidden_block_count_y
      - .offset:         2776
        .size:           4
        .value_kind:     hidden_block_count_z
      - .offset:         2780
        .size:           2
        .value_kind:     hidden_group_size_x
      - .offset:         2782
        .size:           2
        .value_kind:     hidden_group_size_y
      - .offset:         2784
        .size:           2
        .value_kind:     hidden_group_size_z
      - .offset:         2786
        .size:           2
        .value_kind:     hidden_remainder_x
      - .offset:         2788
        .size:           2
        .value_kind:     hidden_remainder_y
      - .offset:         2790
        .size:           2
        .value_kind:     hidden_remainder_z
      - .offset:         2808
        .size:           8
        .value_kind:     hidden_global_offset_x
      - .offset:         2816
        .size:           8
        .value_kind:     hidden_global_offset_y
      - .offset:         2824
        .size:           8
        .value_kind:     hidden_global_offset_z
      - .offset:         2832
        .size:           2
        .value_kind:     hidden_grid_dims
    .group_segment_fixed_size: 0
    .kernarg_segment_align: 8
    .kernarg_segment_size: 3024
    .language:       OpenCL C
    .language_version:
      - 2
      - 0
    .max_flat_workgroup_size: 1024
    .name:           _ZN2at6native12_GLOBAL__N_130CatArrayBatchedCopy_vectorizedINS1_10OpaqueTypeILj8EEEjLi2ELi128ELi1ELi16ELi2EEEvPcNS1_25CatArrInputTensorMetadataIT_T0_XT2_EXT3_EEENS1_16TensorSizeStrideIS8_Lj4EEEiS8_
    .private_segment_fixed_size: 0
    .sgpr_count:     24
    .sgpr_spill_count: 0
    .symbol:         _ZN2at6native12_GLOBAL__N_130CatArrayBatchedCopy_vectorizedINS1_10OpaqueTypeILj8EEEjLi2ELi128ELi1ELi16ELi2EEEvPcNS1_25CatArrInputTensorMetadataIT_T0_XT2_EXT3_EEENS1_16TensorSizeStrideIS8_Lj4EEEiS8_.kd
    .uniform_work_group_size: 1
    .uses_dynamic_stack: false
    .vgpr_count:     12
    .vgpr_spill_count: 0
    .wavefront_size: 64
  - .agpr_count:     0
    .args:
      - .address_space:  global
        .offset:         0
        .size:           8
        .value_kind:     global_buffer
      - .offset:         8
        .size:           2720
        .value_kind:     by_value
      - .offset:         2728
        .size:           32
        .value_kind:     by_value
      - .offset:         2760
        .size:           4
        .value_kind:     by_value
      - .offset:         2764
        .size:           4
        .value_kind:     by_value
      - .offset:         2768
        .size:           4
        .value_kind:     hidden_block_count_x
      - .offset:         2772
        .size:           4
        .value_kind:     hidden_block_count_y
      - .offset:         2776
        .size:           4
        .value_kind:     hidden_block_count_z
      - .offset:         2780
        .size:           2
        .value_kind:     hidden_group_size_x
      - .offset:         2782
        .size:           2
        .value_kind:     hidden_group_size_y
      - .offset:         2784
        .size:           2
        .value_kind:     hidden_group_size_z
      - .offset:         2786
        .size:           2
        .value_kind:     hidden_remainder_x
      - .offset:         2788
        .size:           2
        .value_kind:     hidden_remainder_y
      - .offset:         2790
        .size:           2
        .value_kind:     hidden_remainder_z
      - .offset:         2808
        .size:           8
        .value_kind:     hidden_global_offset_x
      - .offset:         2816
        .size:           8
        .value_kind:     hidden_global_offset_y
      - .offset:         2824
        .size:           8
        .value_kind:     hidden_global_offset_z
      - .offset:         2832
        .size:           2
        .value_kind:     hidden_grid_dims
    .group_segment_fixed_size: 0
    .kernarg_segment_align: 8
    .kernarg_segment_size: 3024
    .language:       OpenCL C
    .language_version:
      - 2
      - 0
    .max_flat_workgroup_size: 1024
    .name:           _ZN2at6native12_GLOBAL__N_135CatArrayBatchedCopy_alignedK_contigINS1_10OpaqueTypeILj8EEEjLi2ELi128ELi1ELi16EEEvPT_NS1_25CatArrInputTensorMetadataIS5_T0_XT2_EXT3_EEENS1_16TensorSizeStrideIS8_Lj4EEEiS8_
    .private_segment_fixed_size: 0
    .sgpr_count:     28
    .sgpr_spill_count: 0
    .symbol:         _ZN2at6native12_GLOBAL__N_135CatArrayBatchedCopy_alignedK_contigINS1_10OpaqueTypeILj8EEEjLi2ELi128ELi1ELi16EEEvPT_NS1_25CatArrInputTensorMetadataIS5_T0_XT2_EXT3_EEENS1_16TensorSizeStrideIS8_Lj4EEEiS8_.kd
    .uniform_work_group_size: 1
    .uses_dynamic_stack: false
    .vgpr_count:     21
    .vgpr_spill_count: 0
    .wavefront_size: 64
  - .agpr_count:     0
    .args:
      - .address_space:  global
        .offset:         0
        .size:           8
        .value_kind:     global_buffer
      - .offset:         8
        .size:           2720
        .value_kind:     by_value
      - .offset:         2728
        .size:           32
        .value_kind:     by_value
      - .offset:         2760
        .size:           4
        .value_kind:     by_value
      - .offset:         2764
        .size:           4
        .value_kind:     by_value
      - .offset:         2768
        .size:           4
        .value_kind:     hidden_block_count_x
      - .offset:         2772
        .size:           4
        .value_kind:     hidden_block_count_y
      - .offset:         2776
        .size:           4
        .value_kind:     hidden_block_count_z
      - .offset:         2780
        .size:           2
        .value_kind:     hidden_group_size_x
      - .offset:         2782
        .size:           2
        .value_kind:     hidden_group_size_y
      - .offset:         2784
        .size:           2
        .value_kind:     hidden_group_size_z
      - .offset:         2786
        .size:           2
        .value_kind:     hidden_remainder_x
      - .offset:         2788
        .size:           2
        .value_kind:     hidden_remainder_y
      - .offset:         2790
        .size:           2
        .value_kind:     hidden_remainder_z
      - .offset:         2808
        .size:           8
        .value_kind:     hidden_global_offset_x
      - .offset:         2816
        .size:           8
        .value_kind:     hidden_global_offset_y
      - .offset:         2824
        .size:           8
        .value_kind:     hidden_global_offset_z
      - .offset:         2832
        .size:           2
        .value_kind:     hidden_grid_dims
    .group_segment_fixed_size: 0
    .kernarg_segment_align: 8
    .kernarg_segment_size: 3024
    .language:       OpenCL C
    .language_version:
      - 2
      - 0
    .max_flat_workgroup_size: 1024
    .name:           _ZN2at6native12_GLOBAL__N_135CatArrayBatchedCopy_alignedK_contigINS1_10OpaqueTypeILj8EEEjLi2ELi128ELi1ELi8EEEvPT_NS1_25CatArrInputTensorMetadataIS5_T0_XT2_EXT3_EEENS1_16TensorSizeStrideIS8_Lj4EEEiS8_
    .private_segment_fixed_size: 0
    .sgpr_count:     26
    .sgpr_spill_count: 0
    .symbol:         _ZN2at6native12_GLOBAL__N_135CatArrayBatchedCopy_alignedK_contigINS1_10OpaqueTypeILj8EEEjLi2ELi128ELi1ELi8EEEvPT_NS1_25CatArrInputTensorMetadataIS5_T0_XT2_EXT3_EEENS1_16TensorSizeStrideIS8_Lj4EEEiS8_.kd
    .uniform_work_group_size: 1
    .uses_dynamic_stack: false
    .vgpr_count:     15
    .vgpr_spill_count: 0
    .wavefront_size: 64
  - .agpr_count:     0
    .args:
      - .address_space:  global
        .offset:         0
        .size:           8
        .value_kind:     global_buffer
      - .offset:         8
        .size:           2720
        .value_kind:     by_value
      - .offset:         2728
        .size:           32
        .value_kind:     by_value
      - .offset:         2760
        .size:           4
        .value_kind:     by_value
      - .offset:         2764
        .size:           4
        .value_kind:     by_value
      - .offset:         2768
        .size:           4
        .value_kind:     hidden_block_count_x
      - .offset:         2772
        .size:           4
        .value_kind:     hidden_block_count_y
      - .offset:         2776
        .size:           4
        .value_kind:     hidden_block_count_z
      - .offset:         2780
        .size:           2
        .value_kind:     hidden_group_size_x
      - .offset:         2782
        .size:           2
        .value_kind:     hidden_group_size_y
      - .offset:         2784
        .size:           2
        .value_kind:     hidden_group_size_z
      - .offset:         2786
        .size:           2
        .value_kind:     hidden_remainder_x
      - .offset:         2788
        .size:           2
        .value_kind:     hidden_remainder_y
      - .offset:         2790
        .size:           2
        .value_kind:     hidden_remainder_z
      - .offset:         2808
        .size:           8
        .value_kind:     hidden_global_offset_x
      - .offset:         2816
        .size:           8
        .value_kind:     hidden_global_offset_y
      - .offset:         2824
        .size:           8
        .value_kind:     hidden_global_offset_z
      - .offset:         2832
        .size:           2
        .value_kind:     hidden_grid_dims
    .group_segment_fixed_size: 0
    .kernarg_segment_align: 8
    .kernarg_segment_size: 3024
    .language:       OpenCL C
    .language_version:
      - 2
      - 0
    .max_flat_workgroup_size: 1024
    .name:           _ZN2at6native12_GLOBAL__N_126CatArrayBatchedCopy_contigINS1_10OpaqueTypeILj8EEEjLi2ELi128ELi1EEEvPT_NS1_25CatArrInputTensorMetadataIS5_T0_XT2_EXT3_EEENS1_16TensorSizeStrideIS8_Lj4EEEiS8_
    .private_segment_fixed_size: 0
    .sgpr_count:     24
    .sgpr_spill_count: 0
    .symbol:         _ZN2at6native12_GLOBAL__N_126CatArrayBatchedCopy_contigINS1_10OpaqueTypeILj8EEEjLi2ELi128ELi1EEEvPT_NS1_25CatArrInputTensorMetadataIS5_T0_XT2_EXT3_EEENS1_16TensorSizeStrideIS8_Lj4EEEiS8_.kd
    .uniform_work_group_size: 1
    .uses_dynamic_stack: false
    .vgpr_count:     11
    .vgpr_spill_count: 0
    .wavefront_size: 64
  - .agpr_count:     0
    .args:
      - .address_space:  global
        .offset:         0
        .size:           8
        .value_kind:     global_buffer
      - .offset:         8
        .size:           2720
        .value_kind:     by_value
      - .offset:         2728
        .size:           32
        .value_kind:     by_value
      - .offset:         2760
        .size:           4
        .value_kind:     by_value
      - .offset:         2764
        .size:           4
        .value_kind:     by_value
      - .offset:         2768
        .size:           4
        .value_kind:     hidden_block_count_x
      - .offset:         2772
        .size:           4
        .value_kind:     hidden_block_count_y
      - .offset:         2776
        .size:           4
        .value_kind:     hidden_block_count_z
      - .offset:         2780
        .size:           2
        .value_kind:     hidden_group_size_x
      - .offset:         2782
        .size:           2
        .value_kind:     hidden_group_size_y
      - .offset:         2784
        .size:           2
        .value_kind:     hidden_group_size_z
      - .offset:         2786
        .size:           2
        .value_kind:     hidden_remainder_x
      - .offset:         2788
        .size:           2
        .value_kind:     hidden_remainder_y
      - .offset:         2790
        .size:           2
        .value_kind:     hidden_remainder_z
      - .offset:         2808
        .size:           8
        .value_kind:     hidden_global_offset_x
      - .offset:         2816
        .size:           8
        .value_kind:     hidden_global_offset_y
      - .offset:         2824
        .size:           8
        .value_kind:     hidden_global_offset_z
      - .offset:         2832
        .size:           2
        .value_kind:     hidden_grid_dims
    .group_segment_fixed_size: 0
    .kernarg_segment_align: 8
    .kernarg_segment_size: 3024
    .language:       OpenCL C
    .language_version:
      - 2
      - 0
    .max_flat_workgroup_size: 1024
    .name:           _ZN2at6native12_GLOBAL__N_119CatArrayBatchedCopyINS1_10OpaqueTypeILj8EEEjLi2ELi128ELi1EEEvPT_NS1_25CatArrInputTensorMetadataIS5_T0_XT2_EXT3_EEENS1_16TensorSizeStrideIS8_Lj4EEEiS8_
    .private_segment_fixed_size: 0
    .sgpr_count:     31
    .sgpr_spill_count: 0
    .symbol:         _ZN2at6native12_GLOBAL__N_119CatArrayBatchedCopyINS1_10OpaqueTypeILj8EEEjLi2ELi128ELi1EEEvPT_NS1_25CatArrInputTensorMetadataIS5_T0_XT2_EXT3_EEENS1_16TensorSizeStrideIS8_Lj4EEEiS8_.kd
    .uniform_work_group_size: 1
    .uses_dynamic_stack: false
    .vgpr_count:     10
    .vgpr_spill_count: 0
    .wavefront_size: 64
  - .agpr_count:     0
    .args:
      - .address_space:  global
        .offset:         0
        .size:           8
        .value_kind:     global_buffer
      - .offset:         8
        .size:           2720
        .value_kind:     by_value
      - .offset:         2728
        .size:           32
        .value_kind:     by_value
      - .offset:         2760
        .size:           4
        .value_kind:     by_value
      - .offset:         2764
        .size:           4
        .value_kind:     by_value
      - .offset:         2768
        .size:           4
        .value_kind:     hidden_block_count_x
      - .offset:         2772
        .size:           4
        .value_kind:     hidden_block_count_y
      - .offset:         2776
        .size:           4
        .value_kind:     hidden_block_count_z
      - .offset:         2780
        .size:           2
        .value_kind:     hidden_group_size_x
      - .offset:         2782
        .size:           2
        .value_kind:     hidden_group_size_y
      - .offset:         2784
        .size:           2
        .value_kind:     hidden_group_size_z
      - .offset:         2786
        .size:           2
        .value_kind:     hidden_remainder_x
      - .offset:         2788
        .size:           2
        .value_kind:     hidden_remainder_y
      - .offset:         2790
        .size:           2
        .value_kind:     hidden_remainder_z
      - .offset:         2808
        .size:           8
        .value_kind:     hidden_global_offset_x
      - .offset:         2816
        .size:           8
        .value_kind:     hidden_global_offset_y
      - .offset:         2824
        .size:           8
        .value_kind:     hidden_global_offset_z
      - .offset:         2832
        .size:           2
        .value_kind:     hidden_grid_dims
    .group_segment_fixed_size: 0
    .kernarg_segment_align: 8
    .kernarg_segment_size: 3024
    .language:       OpenCL C
    .language_version:
      - 2
      - 0
    .max_flat_workgroup_size: 1024
    .name:           _ZN2at6native12_GLOBAL__N_130CatArrayBatchedCopy_vectorizedINS1_10OpaqueTypeILj8EEEjLi3ELi128ELi1ELi16ELi2EEEvPcNS1_25CatArrInputTensorMetadataIT_T0_XT2_EXT3_EEENS1_16TensorSizeStrideIS8_Lj4EEEiS8_
    .private_segment_fixed_size: 0
    .sgpr_count:     32
    .sgpr_spill_count: 0
    .symbol:         _ZN2at6native12_GLOBAL__N_130CatArrayBatchedCopy_vectorizedINS1_10OpaqueTypeILj8EEEjLi3ELi128ELi1ELi16ELi2EEEvPcNS1_25CatArrInputTensorMetadataIT_T0_XT2_EXT3_EEENS1_16TensorSizeStrideIS8_Lj4EEEiS8_.kd
    .uniform_work_group_size: 1
    .uses_dynamic_stack: false
    .vgpr_count:     14
    .vgpr_spill_count: 0
    .wavefront_size: 64
  - .agpr_count:     0
    .args:
      - .address_space:  global
        .offset:         0
        .size:           8
        .value_kind:     global_buffer
      - .offset:         8
        .size:           2720
        .value_kind:     by_value
      - .offset:         2728
        .size:           32
        .value_kind:     by_value
      - .offset:         2760
        .size:           4
        .value_kind:     by_value
      - .offset:         2764
        .size:           4
        .value_kind:     by_value
      - .offset:         2768
        .size:           4
        .value_kind:     hidden_block_count_x
      - .offset:         2772
        .size:           4
        .value_kind:     hidden_block_count_y
      - .offset:         2776
        .size:           4
        .value_kind:     hidden_block_count_z
      - .offset:         2780
        .size:           2
        .value_kind:     hidden_group_size_x
      - .offset:         2782
        .size:           2
        .value_kind:     hidden_group_size_y
      - .offset:         2784
        .size:           2
        .value_kind:     hidden_group_size_z
      - .offset:         2786
        .size:           2
        .value_kind:     hidden_remainder_x
      - .offset:         2788
        .size:           2
        .value_kind:     hidden_remainder_y
      - .offset:         2790
        .size:           2
        .value_kind:     hidden_remainder_z
      - .offset:         2808
        .size:           8
        .value_kind:     hidden_global_offset_x
      - .offset:         2816
        .size:           8
        .value_kind:     hidden_global_offset_y
      - .offset:         2824
        .size:           8
        .value_kind:     hidden_global_offset_z
      - .offset:         2832
        .size:           2
        .value_kind:     hidden_grid_dims
    .group_segment_fixed_size: 0
    .kernarg_segment_align: 8
    .kernarg_segment_size: 3024
    .language:       OpenCL C
    .language_version:
      - 2
      - 0
    .max_flat_workgroup_size: 1024
    .name:           _ZN2at6native12_GLOBAL__N_135CatArrayBatchedCopy_alignedK_contigINS1_10OpaqueTypeILj8EEEjLi3ELi128ELi1ELi16EEEvPT_NS1_25CatArrInputTensorMetadataIS5_T0_XT2_EXT3_EEENS1_16TensorSizeStrideIS8_Lj4EEEiS8_
    .private_segment_fixed_size: 0
    .sgpr_count:     32
    .sgpr_spill_count: 0
    .symbol:         _ZN2at6native12_GLOBAL__N_135CatArrayBatchedCopy_alignedK_contigINS1_10OpaqueTypeILj8EEEjLi3ELi128ELi1ELi16EEEvPT_NS1_25CatArrInputTensorMetadataIS5_T0_XT2_EXT3_EEENS1_16TensorSizeStrideIS8_Lj4EEEiS8_.kd
    .uniform_work_group_size: 1
    .uses_dynamic_stack: false
    .vgpr_count:     23
    .vgpr_spill_count: 0
    .wavefront_size: 64
  - .agpr_count:     0
    .args:
      - .address_space:  global
        .offset:         0
        .size:           8
        .value_kind:     global_buffer
      - .offset:         8
        .size:           2720
        .value_kind:     by_value
      - .offset:         2728
        .size:           32
        .value_kind:     by_value
      - .offset:         2760
        .size:           4
        .value_kind:     by_value
      - .offset:         2764
        .size:           4
        .value_kind:     by_value
      - .offset:         2768
        .size:           4
        .value_kind:     hidden_block_count_x
      - .offset:         2772
        .size:           4
        .value_kind:     hidden_block_count_y
      - .offset:         2776
        .size:           4
        .value_kind:     hidden_block_count_z
      - .offset:         2780
        .size:           2
        .value_kind:     hidden_group_size_x
      - .offset:         2782
        .size:           2
        .value_kind:     hidden_group_size_y
      - .offset:         2784
        .size:           2
        .value_kind:     hidden_group_size_z
      - .offset:         2786
        .size:           2
        .value_kind:     hidden_remainder_x
      - .offset:         2788
        .size:           2
        .value_kind:     hidden_remainder_y
      - .offset:         2790
        .size:           2
        .value_kind:     hidden_remainder_z
      - .offset:         2808
        .size:           8
        .value_kind:     hidden_global_offset_x
      - .offset:         2816
        .size:           8
        .value_kind:     hidden_global_offset_y
      - .offset:         2824
        .size:           8
        .value_kind:     hidden_global_offset_z
      - .offset:         2832
        .size:           2
        .value_kind:     hidden_grid_dims
    .group_segment_fixed_size: 0
    .kernarg_segment_align: 8
    .kernarg_segment_size: 3024
    .language:       OpenCL C
    .language_version:
      - 2
      - 0
    .max_flat_workgroup_size: 1024
    .name:           _ZN2at6native12_GLOBAL__N_135CatArrayBatchedCopy_alignedK_contigINS1_10OpaqueTypeILj8EEEjLi3ELi128ELi1ELi8EEEvPT_NS1_25CatArrInputTensorMetadataIS5_T0_XT2_EXT3_EEENS1_16TensorSizeStrideIS8_Lj4EEEiS8_
    .private_segment_fixed_size: 0
    .sgpr_count:     30
    .sgpr_spill_count: 0
    .symbol:         _ZN2at6native12_GLOBAL__N_135CatArrayBatchedCopy_alignedK_contigINS1_10OpaqueTypeILj8EEEjLi3ELi128ELi1ELi8EEEvPT_NS1_25CatArrInputTensorMetadataIS5_T0_XT2_EXT3_EEENS1_16TensorSizeStrideIS8_Lj4EEEiS8_.kd
    .uniform_work_group_size: 1
    .uses_dynamic_stack: false
    .vgpr_count:     16
    .vgpr_spill_count: 0
    .wavefront_size: 64
  - .agpr_count:     0
    .args:
      - .address_space:  global
        .offset:         0
        .size:           8
        .value_kind:     global_buffer
      - .offset:         8
        .size:           2720
        .value_kind:     by_value
      - .offset:         2728
        .size:           32
        .value_kind:     by_value
      - .offset:         2760
        .size:           4
        .value_kind:     by_value
      - .offset:         2764
        .size:           4
        .value_kind:     by_value
      - .offset:         2768
        .size:           4
        .value_kind:     hidden_block_count_x
      - .offset:         2772
        .size:           4
        .value_kind:     hidden_block_count_y
      - .offset:         2776
        .size:           4
        .value_kind:     hidden_block_count_z
      - .offset:         2780
        .size:           2
        .value_kind:     hidden_group_size_x
      - .offset:         2782
        .size:           2
        .value_kind:     hidden_group_size_y
      - .offset:         2784
        .size:           2
        .value_kind:     hidden_group_size_z
      - .offset:         2786
        .size:           2
        .value_kind:     hidden_remainder_x
      - .offset:         2788
        .size:           2
        .value_kind:     hidden_remainder_y
      - .offset:         2790
        .size:           2
        .value_kind:     hidden_remainder_z
      - .offset:         2808
        .size:           8
        .value_kind:     hidden_global_offset_x
      - .offset:         2816
        .size:           8
        .value_kind:     hidden_global_offset_y
      - .offset:         2824
        .size:           8
        .value_kind:     hidden_global_offset_z
      - .offset:         2832
        .size:           2
        .value_kind:     hidden_grid_dims
    .group_segment_fixed_size: 0
    .kernarg_segment_align: 8
    .kernarg_segment_size: 3024
    .language:       OpenCL C
    .language_version:
      - 2
      - 0
    .max_flat_workgroup_size: 1024
    .name:           _ZN2at6native12_GLOBAL__N_126CatArrayBatchedCopy_contigINS1_10OpaqueTypeILj8EEEjLi3ELi128ELi1EEEvPT_NS1_25CatArrInputTensorMetadataIS5_T0_XT2_EXT3_EEENS1_16TensorSizeStrideIS8_Lj4EEEiS8_
    .private_segment_fixed_size: 0
    .sgpr_count:     30
    .sgpr_spill_count: 0
    .symbol:         _ZN2at6native12_GLOBAL__N_126CatArrayBatchedCopy_contigINS1_10OpaqueTypeILj8EEEjLi3ELi128ELi1EEEvPT_NS1_25CatArrInputTensorMetadataIS5_T0_XT2_EXT3_EEENS1_16TensorSizeStrideIS8_Lj4EEEiS8_.kd
    .uniform_work_group_size: 1
    .uses_dynamic_stack: false
    .vgpr_count:     12
    .vgpr_spill_count: 0
    .wavefront_size: 64
  - .agpr_count:     0
    .args:
      - .address_space:  global
        .offset:         0
        .size:           8
        .value_kind:     global_buffer
      - .offset:         8
        .size:           2720
        .value_kind:     by_value
      - .offset:         2728
        .size:           32
        .value_kind:     by_value
      - .offset:         2760
        .size:           4
        .value_kind:     by_value
      - .offset:         2764
        .size:           4
        .value_kind:     by_value
      - .offset:         2768
        .size:           4
        .value_kind:     hidden_block_count_x
      - .offset:         2772
        .size:           4
        .value_kind:     hidden_block_count_y
      - .offset:         2776
        .size:           4
        .value_kind:     hidden_block_count_z
      - .offset:         2780
        .size:           2
        .value_kind:     hidden_group_size_x
      - .offset:         2782
        .size:           2
        .value_kind:     hidden_group_size_y
      - .offset:         2784
        .size:           2
        .value_kind:     hidden_group_size_z
      - .offset:         2786
        .size:           2
        .value_kind:     hidden_remainder_x
      - .offset:         2788
        .size:           2
        .value_kind:     hidden_remainder_y
      - .offset:         2790
        .size:           2
        .value_kind:     hidden_remainder_z
      - .offset:         2808
        .size:           8
        .value_kind:     hidden_global_offset_x
      - .offset:         2816
        .size:           8
        .value_kind:     hidden_global_offset_y
      - .offset:         2824
        .size:           8
        .value_kind:     hidden_global_offset_z
      - .offset:         2832
        .size:           2
        .value_kind:     hidden_grid_dims
    .group_segment_fixed_size: 0
    .kernarg_segment_align: 8
    .kernarg_segment_size: 3024
    .language:       OpenCL C
    .language_version:
      - 2
      - 0
    .max_flat_workgroup_size: 1024
    .name:           _ZN2at6native12_GLOBAL__N_119CatArrayBatchedCopyINS1_10OpaqueTypeILj8EEEjLi3ELi128ELi1EEEvPT_NS1_25CatArrInputTensorMetadataIS5_T0_XT2_EXT3_EEENS1_16TensorSizeStrideIS8_Lj4EEEiS8_
    .private_segment_fixed_size: 0
    .sgpr_count:     37
    .sgpr_spill_count: 0
    .symbol:         _ZN2at6native12_GLOBAL__N_119CatArrayBatchedCopyINS1_10OpaqueTypeILj8EEEjLi3ELi128ELi1EEEvPT_NS1_25CatArrInputTensorMetadataIS5_T0_XT2_EXT3_EEENS1_16TensorSizeStrideIS8_Lj4EEEiS8_.kd
    .uniform_work_group_size: 1
    .uses_dynamic_stack: false
    .vgpr_count:     13
    .vgpr_spill_count: 0
    .wavefront_size: 64
  - .agpr_count:     0
    .args:
      - .address_space:  global
        .offset:         0
        .size:           8
        .value_kind:     global_buffer
      - .offset:         8
        .size:           2720
        .value_kind:     by_value
      - .offset:         2728
        .size:           32
        .value_kind:     by_value
      - .offset:         2760
        .size:           4
        .value_kind:     by_value
      - .offset:         2764
        .size:           4
        .value_kind:     by_value
      - .offset:         2768
        .size:           4
        .value_kind:     hidden_block_count_x
      - .offset:         2772
        .size:           4
        .value_kind:     hidden_block_count_y
      - .offset:         2776
        .size:           4
        .value_kind:     hidden_block_count_z
      - .offset:         2780
        .size:           2
        .value_kind:     hidden_group_size_x
      - .offset:         2782
        .size:           2
        .value_kind:     hidden_group_size_y
      - .offset:         2784
        .size:           2
        .value_kind:     hidden_group_size_z
      - .offset:         2786
        .size:           2
        .value_kind:     hidden_remainder_x
      - .offset:         2788
        .size:           2
        .value_kind:     hidden_remainder_y
      - .offset:         2790
        .size:           2
        .value_kind:     hidden_remainder_z
      - .offset:         2808
        .size:           8
        .value_kind:     hidden_global_offset_x
      - .offset:         2816
        .size:           8
        .value_kind:     hidden_global_offset_y
      - .offset:         2824
        .size:           8
        .value_kind:     hidden_global_offset_z
      - .offset:         2832
        .size:           2
        .value_kind:     hidden_grid_dims
    .group_segment_fixed_size: 0
    .kernarg_segment_align: 8
    .kernarg_segment_size: 3024
    .language:       OpenCL C
    .language_version:
      - 2
      - 0
    .max_flat_workgroup_size: 1024
    .name:           _ZN2at6native12_GLOBAL__N_130CatArrayBatchedCopy_vectorizedINS1_10OpaqueTypeILj8EEEjLi4ELi128ELi1ELi16ELi2EEEvPcNS1_25CatArrInputTensorMetadataIT_T0_XT2_EXT3_EEENS1_16TensorSizeStrideIS8_Lj4EEEiS8_
    .private_segment_fixed_size: 0
    .sgpr_count:     32
    .sgpr_spill_count: 0
    .symbol:         _ZN2at6native12_GLOBAL__N_130CatArrayBatchedCopy_vectorizedINS1_10OpaqueTypeILj8EEEjLi4ELi128ELi1ELi16ELi2EEEvPcNS1_25CatArrInputTensorMetadataIT_T0_XT2_EXT3_EEENS1_16TensorSizeStrideIS8_Lj4EEEiS8_.kd
    .uniform_work_group_size: 1
    .uses_dynamic_stack: false
    .vgpr_count:     16
    .vgpr_spill_count: 0
    .wavefront_size: 64
  - .agpr_count:     0
    .args:
      - .address_space:  global
        .offset:         0
        .size:           8
        .value_kind:     global_buffer
      - .offset:         8
        .size:           2720
        .value_kind:     by_value
      - .offset:         2728
        .size:           32
        .value_kind:     by_value
      - .offset:         2760
        .size:           4
        .value_kind:     by_value
      - .offset:         2764
        .size:           4
        .value_kind:     by_value
      - .offset:         2768
        .size:           4
        .value_kind:     hidden_block_count_x
      - .offset:         2772
        .size:           4
        .value_kind:     hidden_block_count_y
      - .offset:         2776
        .size:           4
        .value_kind:     hidden_block_count_z
      - .offset:         2780
        .size:           2
        .value_kind:     hidden_group_size_x
      - .offset:         2782
        .size:           2
        .value_kind:     hidden_group_size_y
      - .offset:         2784
        .size:           2
        .value_kind:     hidden_group_size_z
      - .offset:         2786
        .size:           2
        .value_kind:     hidden_remainder_x
      - .offset:         2788
        .size:           2
        .value_kind:     hidden_remainder_y
      - .offset:         2790
        .size:           2
        .value_kind:     hidden_remainder_z
      - .offset:         2808
        .size:           8
        .value_kind:     hidden_global_offset_x
      - .offset:         2816
        .size:           8
        .value_kind:     hidden_global_offset_y
      - .offset:         2824
        .size:           8
        .value_kind:     hidden_global_offset_z
      - .offset:         2832
        .size:           2
        .value_kind:     hidden_grid_dims
    .group_segment_fixed_size: 0
    .kernarg_segment_align: 8
    .kernarg_segment_size: 3024
    .language:       OpenCL C
    .language_version:
      - 2
      - 0
    .max_flat_workgroup_size: 1024
    .name:           _ZN2at6native12_GLOBAL__N_135CatArrayBatchedCopy_alignedK_contigINS1_10OpaqueTypeILj8EEEjLi4ELi128ELi1ELi16EEEvPT_NS1_25CatArrInputTensorMetadataIS5_T0_XT2_EXT3_EEENS1_16TensorSizeStrideIS8_Lj4EEEiS8_
    .private_segment_fixed_size: 0
    .sgpr_count:     34
    .sgpr_spill_count: 0
    .symbol:         _ZN2at6native12_GLOBAL__N_135CatArrayBatchedCopy_alignedK_contigINS1_10OpaqueTypeILj8EEEjLi4ELi128ELi1ELi16EEEvPT_NS1_25CatArrInputTensorMetadataIS5_T0_XT2_EXT3_EEENS1_16TensorSizeStrideIS8_Lj4EEEiS8_.kd
    .uniform_work_group_size: 1
    .uses_dynamic_stack: false
    .vgpr_count:     24
    .vgpr_spill_count: 0
    .wavefront_size: 64
  - .agpr_count:     0
    .args:
      - .address_space:  global
        .offset:         0
        .size:           8
        .value_kind:     global_buffer
      - .offset:         8
        .size:           2720
        .value_kind:     by_value
      - .offset:         2728
        .size:           32
        .value_kind:     by_value
      - .offset:         2760
        .size:           4
        .value_kind:     by_value
      - .offset:         2764
        .size:           4
        .value_kind:     by_value
      - .offset:         2768
        .size:           4
        .value_kind:     hidden_block_count_x
      - .offset:         2772
        .size:           4
        .value_kind:     hidden_block_count_y
      - .offset:         2776
        .size:           4
        .value_kind:     hidden_block_count_z
      - .offset:         2780
        .size:           2
        .value_kind:     hidden_group_size_x
      - .offset:         2782
        .size:           2
        .value_kind:     hidden_group_size_y
      - .offset:         2784
        .size:           2
        .value_kind:     hidden_group_size_z
      - .offset:         2786
        .size:           2
        .value_kind:     hidden_remainder_x
      - .offset:         2788
        .size:           2
        .value_kind:     hidden_remainder_y
      - .offset:         2790
        .size:           2
        .value_kind:     hidden_remainder_z
      - .offset:         2808
        .size:           8
        .value_kind:     hidden_global_offset_x
      - .offset:         2816
        .size:           8
        .value_kind:     hidden_global_offset_y
      - .offset:         2824
        .size:           8
        .value_kind:     hidden_global_offset_z
      - .offset:         2832
        .size:           2
        .value_kind:     hidden_grid_dims
    .group_segment_fixed_size: 0
    .kernarg_segment_align: 8
    .kernarg_segment_size: 3024
    .language:       OpenCL C
    .language_version:
      - 2
      - 0
    .max_flat_workgroup_size: 1024
    .name:           _ZN2at6native12_GLOBAL__N_135CatArrayBatchedCopy_alignedK_contigINS1_10OpaqueTypeILj8EEEjLi4ELi128ELi1ELi8EEEvPT_NS1_25CatArrInputTensorMetadataIS5_T0_XT2_EXT3_EEENS1_16TensorSizeStrideIS8_Lj4EEEiS8_
    .private_segment_fixed_size: 0
    .sgpr_count:     32
    .sgpr_spill_count: 0
    .symbol:         _ZN2at6native12_GLOBAL__N_135CatArrayBatchedCopy_alignedK_contigINS1_10OpaqueTypeILj8EEEjLi4ELi128ELi1ELi8EEEvPT_NS1_25CatArrInputTensorMetadataIS5_T0_XT2_EXT3_EEENS1_16TensorSizeStrideIS8_Lj4EEEiS8_.kd
    .uniform_work_group_size: 1
    .uses_dynamic_stack: false
    .vgpr_count:     19
    .vgpr_spill_count: 0
    .wavefront_size: 64
  - .agpr_count:     0
    .args:
      - .address_space:  global
        .offset:         0
        .size:           8
        .value_kind:     global_buffer
      - .offset:         8
        .size:           2720
        .value_kind:     by_value
      - .offset:         2728
        .size:           32
        .value_kind:     by_value
      - .offset:         2760
        .size:           4
        .value_kind:     by_value
      - .offset:         2764
        .size:           4
        .value_kind:     by_value
      - .offset:         2768
        .size:           4
        .value_kind:     hidden_block_count_x
      - .offset:         2772
        .size:           4
        .value_kind:     hidden_block_count_y
      - .offset:         2776
        .size:           4
        .value_kind:     hidden_block_count_z
      - .offset:         2780
        .size:           2
        .value_kind:     hidden_group_size_x
      - .offset:         2782
        .size:           2
        .value_kind:     hidden_group_size_y
      - .offset:         2784
        .size:           2
        .value_kind:     hidden_group_size_z
      - .offset:         2786
        .size:           2
        .value_kind:     hidden_remainder_x
      - .offset:         2788
        .size:           2
        .value_kind:     hidden_remainder_y
      - .offset:         2790
        .size:           2
        .value_kind:     hidden_remainder_z
      - .offset:         2808
        .size:           8
        .value_kind:     hidden_global_offset_x
      - .offset:         2816
        .size:           8
        .value_kind:     hidden_global_offset_y
      - .offset:         2824
        .size:           8
        .value_kind:     hidden_global_offset_z
      - .offset:         2832
        .size:           2
        .value_kind:     hidden_grid_dims
    .group_segment_fixed_size: 0
    .kernarg_segment_align: 8
    .kernarg_segment_size: 3024
    .language:       OpenCL C
    .language_version:
      - 2
      - 0
    .max_flat_workgroup_size: 1024
    .name:           _ZN2at6native12_GLOBAL__N_126CatArrayBatchedCopy_contigINS1_10OpaqueTypeILj8EEEjLi4ELi128ELi1EEEvPT_NS1_25CatArrInputTensorMetadataIS5_T0_XT2_EXT3_EEENS1_16TensorSizeStrideIS8_Lj4EEEiS8_
    .private_segment_fixed_size: 0
    .sgpr_count:     33
    .sgpr_spill_count: 0
    .symbol:         _ZN2at6native12_GLOBAL__N_126CatArrayBatchedCopy_contigINS1_10OpaqueTypeILj8EEEjLi4ELi128ELi1EEEvPT_NS1_25CatArrInputTensorMetadataIS5_T0_XT2_EXT3_EEENS1_16TensorSizeStrideIS8_Lj4EEEiS8_.kd
    .uniform_work_group_size: 1
    .uses_dynamic_stack: false
    .vgpr_count:     15
    .vgpr_spill_count: 0
    .wavefront_size: 64
  - .agpr_count:     0
    .args:
      - .address_space:  global
        .offset:         0
        .size:           8
        .value_kind:     global_buffer
      - .offset:         8
        .size:           2720
        .value_kind:     by_value
      - .offset:         2728
        .size:           32
        .value_kind:     by_value
      - .offset:         2760
        .size:           4
        .value_kind:     by_value
      - .offset:         2764
        .size:           4
        .value_kind:     by_value
      - .offset:         2768
        .size:           4
        .value_kind:     hidden_block_count_x
      - .offset:         2772
        .size:           4
        .value_kind:     hidden_block_count_y
      - .offset:         2776
        .size:           4
        .value_kind:     hidden_block_count_z
      - .offset:         2780
        .size:           2
        .value_kind:     hidden_group_size_x
      - .offset:         2782
        .size:           2
        .value_kind:     hidden_group_size_y
      - .offset:         2784
        .size:           2
        .value_kind:     hidden_group_size_z
      - .offset:         2786
        .size:           2
        .value_kind:     hidden_remainder_x
      - .offset:         2788
        .size:           2
        .value_kind:     hidden_remainder_y
      - .offset:         2790
        .size:           2
        .value_kind:     hidden_remainder_z
      - .offset:         2808
        .size:           8
        .value_kind:     hidden_global_offset_x
      - .offset:         2816
        .size:           8
        .value_kind:     hidden_global_offset_y
      - .offset:         2824
        .size:           8
        .value_kind:     hidden_global_offset_z
      - .offset:         2832
        .size:           2
        .value_kind:     hidden_grid_dims
    .group_segment_fixed_size: 0
    .kernarg_segment_align: 8
    .kernarg_segment_size: 3024
    .language:       OpenCL C
    .language_version:
      - 2
      - 0
    .max_flat_workgroup_size: 1024
    .name:           _ZN2at6native12_GLOBAL__N_119CatArrayBatchedCopyINS1_10OpaqueTypeILj8EEEjLi4ELi128ELi1EEEvPT_NS1_25CatArrInputTensorMetadataIS5_T0_XT2_EXT3_EEENS1_16TensorSizeStrideIS8_Lj4EEEiS8_
    .private_segment_fixed_size: 0
    .sgpr_count:     42
    .sgpr_spill_count: 0
    .symbol:         _ZN2at6native12_GLOBAL__N_119CatArrayBatchedCopyINS1_10OpaqueTypeILj8EEEjLi4ELi128ELi1EEEvPT_NS1_25CatArrInputTensorMetadataIS5_T0_XT2_EXT3_EEENS1_16TensorSizeStrideIS8_Lj4EEEiS8_.kd
    .uniform_work_group_size: 1
    .uses_dynamic_stack: false
    .vgpr_count:     16
    .vgpr_spill_count: 0
    .wavefront_size: 64
  - .agpr_count:     0
    .args:
      - .address_space:  global
        .offset:         0
        .size:           8
        .value_kind:     global_buffer
      - .offset:         8
        .size:           2720
        .value_kind:     by_value
      - .offset:         2728
        .size:           32
        .value_kind:     by_value
      - .offset:         2760
        .size:           4
        .value_kind:     by_value
      - .offset:         2764
        .size:           4
        .value_kind:     by_value
      - .offset:         2768
        .size:           4
        .value_kind:     hidden_block_count_x
      - .offset:         2772
        .size:           4
        .value_kind:     hidden_block_count_y
      - .offset:         2776
        .size:           4
        .value_kind:     hidden_block_count_z
      - .offset:         2780
        .size:           2
        .value_kind:     hidden_group_size_x
      - .offset:         2782
        .size:           2
        .value_kind:     hidden_group_size_y
      - .offset:         2784
        .size:           2
        .value_kind:     hidden_group_size_z
      - .offset:         2786
        .size:           2
        .value_kind:     hidden_remainder_x
      - .offset:         2788
        .size:           2
        .value_kind:     hidden_remainder_y
      - .offset:         2790
        .size:           2
        .value_kind:     hidden_remainder_z
      - .offset:         2808
        .size:           8
        .value_kind:     hidden_global_offset_x
      - .offset:         2816
        .size:           8
        .value_kind:     hidden_global_offset_y
      - .offset:         2824
        .size:           8
        .value_kind:     hidden_global_offset_z
      - .offset:         2832
        .size:           2
        .value_kind:     hidden_grid_dims
    .group_segment_fixed_size: 0
    .kernarg_segment_align: 8
    .kernarg_segment_size: 3024
    .language:       OpenCL C
    .language_version:
      - 2
      - 0
    .max_flat_workgroup_size: 1024
    .name:           _ZN2at6native12_GLOBAL__N_130CatArrayBatchedCopy_vectorizedINS1_10OpaqueTypeILj16EEEjLi1ELi128ELi1ELi16ELi1EEEvPcNS1_25CatArrInputTensorMetadataIT_T0_XT2_EXT3_EEENS1_16TensorSizeStrideIS8_Lj4EEEiS8_
    .private_segment_fixed_size: 0
    .sgpr_count:     23
    .sgpr_spill_count: 0
    .symbol:         _ZN2at6native12_GLOBAL__N_130CatArrayBatchedCopy_vectorizedINS1_10OpaqueTypeILj16EEEjLi1ELi128ELi1ELi16ELi1EEEvPcNS1_25CatArrInputTensorMetadataIT_T0_XT2_EXT3_EEENS1_16TensorSizeStrideIS8_Lj4EEEiS8_.kd
    .uniform_work_group_size: 1
    .uses_dynamic_stack: false
    .vgpr_count:     10
    .vgpr_spill_count: 0
    .wavefront_size: 64
  - .agpr_count:     0
    .args:
      - .address_space:  global
        .offset:         0
        .size:           8
        .value_kind:     global_buffer
      - .offset:         8
        .size:           2720
        .value_kind:     by_value
      - .offset:         2728
        .size:           32
        .value_kind:     by_value
      - .offset:         2760
        .size:           4
        .value_kind:     by_value
      - .offset:         2764
        .size:           4
        .value_kind:     by_value
      - .offset:         2768
        .size:           4
        .value_kind:     hidden_block_count_x
      - .offset:         2772
        .size:           4
        .value_kind:     hidden_block_count_y
      - .offset:         2776
        .size:           4
        .value_kind:     hidden_block_count_z
      - .offset:         2780
        .size:           2
        .value_kind:     hidden_group_size_x
      - .offset:         2782
        .size:           2
        .value_kind:     hidden_group_size_y
      - .offset:         2784
        .size:           2
        .value_kind:     hidden_group_size_z
      - .offset:         2786
        .size:           2
        .value_kind:     hidden_remainder_x
      - .offset:         2788
        .size:           2
        .value_kind:     hidden_remainder_y
      - .offset:         2790
        .size:           2
        .value_kind:     hidden_remainder_z
      - .offset:         2808
        .size:           8
        .value_kind:     hidden_global_offset_x
      - .offset:         2816
        .size:           8
        .value_kind:     hidden_global_offset_y
      - .offset:         2824
        .size:           8
        .value_kind:     hidden_global_offset_z
      - .offset:         2832
        .size:           2
        .value_kind:     hidden_grid_dims
    .group_segment_fixed_size: 0
    .kernarg_segment_align: 8
    .kernarg_segment_size: 3024
    .language:       OpenCL C
    .language_version:
      - 2
      - 0
    .max_flat_workgroup_size: 1024
    .name:           _ZN2at6native12_GLOBAL__N_135CatArrayBatchedCopy_alignedK_contigINS1_10OpaqueTypeILj16EEEjLi1ELi128ELi1ELi16EEEvPT_NS1_25CatArrInputTensorMetadataIS5_T0_XT2_EXT3_EEENS1_16TensorSizeStrideIS8_Lj4EEEiS8_
    .private_segment_fixed_size: 0
    .sgpr_count:     22
    .sgpr_spill_count: 0
    .symbol:         _ZN2at6native12_GLOBAL__N_135CatArrayBatchedCopy_alignedK_contigINS1_10OpaqueTypeILj16EEEjLi1ELi128ELi1ELi16EEEvPT_NS1_25CatArrInputTensorMetadataIS5_T0_XT2_EXT3_EEENS1_16TensorSizeStrideIS8_Lj4EEEiS8_.kd
    .uniform_work_group_size: 1
    .uses_dynamic_stack: false
    .vgpr_count:     12
    .vgpr_spill_count: 0
    .wavefront_size: 64
  - .agpr_count:     0
    .args:
      - .address_space:  global
        .offset:         0
        .size:           8
        .value_kind:     global_buffer
      - .offset:         8
        .size:           2720
        .value_kind:     by_value
      - .offset:         2728
        .size:           32
        .value_kind:     by_value
      - .offset:         2760
        .size:           4
        .value_kind:     by_value
      - .offset:         2764
        .size:           4
        .value_kind:     by_value
      - .offset:         2768
        .size:           4
        .value_kind:     hidden_block_count_x
      - .offset:         2772
        .size:           4
        .value_kind:     hidden_block_count_y
      - .offset:         2776
        .size:           4
        .value_kind:     hidden_block_count_z
      - .offset:         2780
        .size:           2
        .value_kind:     hidden_group_size_x
      - .offset:         2782
        .size:           2
        .value_kind:     hidden_group_size_y
      - .offset:         2784
        .size:           2
        .value_kind:     hidden_group_size_z
      - .offset:         2786
        .size:           2
        .value_kind:     hidden_remainder_x
      - .offset:         2788
        .size:           2
        .value_kind:     hidden_remainder_y
      - .offset:         2790
        .size:           2
        .value_kind:     hidden_remainder_z
      - .offset:         2808
        .size:           8
        .value_kind:     hidden_global_offset_x
      - .offset:         2816
        .size:           8
        .value_kind:     hidden_global_offset_y
      - .offset:         2824
        .size:           8
        .value_kind:     hidden_global_offset_z
      - .offset:         2832
        .size:           2
        .value_kind:     hidden_grid_dims
    .group_segment_fixed_size: 0
    .kernarg_segment_align: 8
    .kernarg_segment_size: 3024
    .language:       OpenCL C
    .language_version:
      - 2
      - 0
    .max_flat_workgroup_size: 1024
    .name:           _ZN2at6native12_GLOBAL__N_135CatArrayBatchedCopy_alignedK_contigINS1_10OpaqueTypeILj16EEEjLi1ELi128ELi1ELi8EEEvPT_NS1_25CatArrInputTensorMetadataIS5_T0_XT2_EXT3_EEENS1_16TensorSizeStrideIS8_Lj4EEEiS8_
    .private_segment_fixed_size: 0
    .sgpr_count:     22
    .sgpr_spill_count: 0
    .symbol:         _ZN2at6native12_GLOBAL__N_135CatArrayBatchedCopy_alignedK_contigINS1_10OpaqueTypeILj16EEEjLi1ELi128ELi1ELi8EEEvPT_NS1_25CatArrInputTensorMetadataIS5_T0_XT2_EXT3_EEENS1_16TensorSizeStrideIS8_Lj4EEEiS8_.kd
    .uniform_work_group_size: 1
    .uses_dynamic_stack: false
    .vgpr_count:     12
    .vgpr_spill_count: 0
    .wavefront_size: 64
  - .agpr_count:     0
    .args:
      - .address_space:  global
        .offset:         0
        .size:           8
        .value_kind:     global_buffer
      - .offset:         8
        .size:           2720
        .value_kind:     by_value
      - .offset:         2728
        .size:           32
        .value_kind:     by_value
      - .offset:         2760
        .size:           4
        .value_kind:     by_value
      - .offset:         2764
        .size:           4
        .value_kind:     by_value
      - .offset:         2768
        .size:           4
        .value_kind:     hidden_block_count_x
      - .offset:         2772
        .size:           4
        .value_kind:     hidden_block_count_y
      - .offset:         2776
        .size:           4
        .value_kind:     hidden_block_count_z
      - .offset:         2780
        .size:           2
        .value_kind:     hidden_group_size_x
      - .offset:         2782
        .size:           2
        .value_kind:     hidden_group_size_y
      - .offset:         2784
        .size:           2
        .value_kind:     hidden_group_size_z
      - .offset:         2786
        .size:           2
        .value_kind:     hidden_remainder_x
      - .offset:         2788
        .size:           2
        .value_kind:     hidden_remainder_y
      - .offset:         2790
        .size:           2
        .value_kind:     hidden_remainder_z
      - .offset:         2808
        .size:           8
        .value_kind:     hidden_global_offset_x
      - .offset:         2816
        .size:           8
        .value_kind:     hidden_global_offset_y
      - .offset:         2824
        .size:           8
        .value_kind:     hidden_global_offset_z
      - .offset:         2832
        .size:           2
        .value_kind:     hidden_grid_dims
    .group_segment_fixed_size: 0
    .kernarg_segment_align: 8
    .kernarg_segment_size: 3024
    .language:       OpenCL C
    .language_version:
      - 2
      - 0
    .max_flat_workgroup_size: 1024
    .name:           _ZN2at6native12_GLOBAL__N_126CatArrayBatchedCopy_contigINS1_10OpaqueTypeILj16EEEjLi1ELi128ELi1EEEvPT_NS1_25CatArrInputTensorMetadataIS5_T0_XT2_EXT3_EEENS1_16TensorSizeStrideIS8_Lj4EEEiS8_
    .private_segment_fixed_size: 0
    .sgpr_count:     22
    .sgpr_spill_count: 0
    .symbol:         _ZN2at6native12_GLOBAL__N_126CatArrayBatchedCopy_contigINS1_10OpaqueTypeILj16EEEjLi1ELi128ELi1EEEvPT_NS1_25CatArrInputTensorMetadataIS5_T0_XT2_EXT3_EEENS1_16TensorSizeStrideIS8_Lj4EEEiS8_.kd
    .uniform_work_group_size: 1
    .uses_dynamic_stack: false
    .vgpr_count:     10
    .vgpr_spill_count: 0
    .wavefront_size: 64
  - .agpr_count:     0
    .args:
      - .address_space:  global
        .offset:         0
        .size:           8
        .value_kind:     global_buffer
      - .offset:         8
        .size:           2720
        .value_kind:     by_value
      - .offset:         2728
        .size:           32
        .value_kind:     by_value
      - .offset:         2760
        .size:           4
        .value_kind:     by_value
      - .offset:         2764
        .size:           4
        .value_kind:     by_value
      - .offset:         2768
        .size:           4
        .value_kind:     hidden_block_count_x
      - .offset:         2772
        .size:           4
        .value_kind:     hidden_block_count_y
      - .offset:         2776
        .size:           4
        .value_kind:     hidden_block_count_z
      - .offset:         2780
        .size:           2
        .value_kind:     hidden_group_size_x
      - .offset:         2782
        .size:           2
        .value_kind:     hidden_group_size_y
      - .offset:         2784
        .size:           2
        .value_kind:     hidden_group_size_z
      - .offset:         2786
        .size:           2
        .value_kind:     hidden_remainder_x
      - .offset:         2788
        .size:           2
        .value_kind:     hidden_remainder_y
      - .offset:         2790
        .size:           2
        .value_kind:     hidden_remainder_z
      - .offset:         2808
        .size:           8
        .value_kind:     hidden_global_offset_x
      - .offset:         2816
        .size:           8
        .value_kind:     hidden_global_offset_y
      - .offset:         2824
        .size:           8
        .value_kind:     hidden_global_offset_z
      - .offset:         2832
        .size:           2
        .value_kind:     hidden_grid_dims
    .group_segment_fixed_size: 0
    .kernarg_segment_align: 8
    .kernarg_segment_size: 3024
    .language:       OpenCL C
    .language_version:
      - 2
      - 0
    .max_flat_workgroup_size: 1024
    .name:           _ZN2at6native12_GLOBAL__N_119CatArrayBatchedCopyINS1_10OpaqueTypeILj16EEEjLi1ELi128ELi1EEEvPT_NS1_25CatArrInputTensorMetadataIS5_T0_XT2_EXT3_EEENS1_16TensorSizeStrideIS8_Lj4EEEiS8_
    .private_segment_fixed_size: 0
    .sgpr_count:     25
    .sgpr_spill_count: 0
    .symbol:         _ZN2at6native12_GLOBAL__N_119CatArrayBatchedCopyINS1_10OpaqueTypeILj16EEEjLi1ELi128ELi1EEEvPT_NS1_25CatArrInputTensorMetadataIS5_T0_XT2_EXT3_EEENS1_16TensorSizeStrideIS8_Lj4EEEiS8_.kd
    .uniform_work_group_size: 1
    .uses_dynamic_stack: false
    .vgpr_count:     12
    .vgpr_spill_count: 0
    .wavefront_size: 64
  - .agpr_count:     0
    .args:
      - .address_space:  global
        .offset:         0
        .size:           8
        .value_kind:     global_buffer
      - .offset:         8
        .size:           2720
        .value_kind:     by_value
      - .offset:         2728
        .size:           32
        .value_kind:     by_value
      - .offset:         2760
        .size:           4
        .value_kind:     by_value
      - .offset:         2764
        .size:           4
        .value_kind:     by_value
      - .offset:         2768
        .size:           4
        .value_kind:     hidden_block_count_x
      - .offset:         2772
        .size:           4
        .value_kind:     hidden_block_count_y
      - .offset:         2776
        .size:           4
        .value_kind:     hidden_block_count_z
      - .offset:         2780
        .size:           2
        .value_kind:     hidden_group_size_x
      - .offset:         2782
        .size:           2
        .value_kind:     hidden_group_size_y
      - .offset:         2784
        .size:           2
        .value_kind:     hidden_group_size_z
      - .offset:         2786
        .size:           2
        .value_kind:     hidden_remainder_x
      - .offset:         2788
        .size:           2
        .value_kind:     hidden_remainder_y
      - .offset:         2790
        .size:           2
        .value_kind:     hidden_remainder_z
      - .offset:         2808
        .size:           8
        .value_kind:     hidden_global_offset_x
      - .offset:         2816
        .size:           8
        .value_kind:     hidden_global_offset_y
      - .offset:         2824
        .size:           8
        .value_kind:     hidden_global_offset_z
      - .offset:         2832
        .size:           2
        .value_kind:     hidden_grid_dims
    .group_segment_fixed_size: 0
    .kernarg_segment_align: 8
    .kernarg_segment_size: 3024
    .language:       OpenCL C
    .language_version:
      - 2
      - 0
    .max_flat_workgroup_size: 1024
    .name:           _ZN2at6native12_GLOBAL__N_130CatArrayBatchedCopy_vectorizedINS1_10OpaqueTypeILj16EEEjLi2ELi128ELi1ELi16ELi1EEEvPcNS1_25CatArrInputTensorMetadataIT_T0_XT2_EXT3_EEENS1_16TensorSizeStrideIS8_Lj4EEEiS8_
    .private_segment_fixed_size: 0
    .sgpr_count:     25
    .sgpr_spill_count: 0
    .symbol:         _ZN2at6native12_GLOBAL__N_130CatArrayBatchedCopy_vectorizedINS1_10OpaqueTypeILj16EEEjLi2ELi128ELi1ELi16ELi1EEEvPcNS1_25CatArrInputTensorMetadataIT_T0_XT2_EXT3_EEENS1_16TensorSizeStrideIS8_Lj4EEEiS8_.kd
    .uniform_work_group_size: 1
    .uses_dynamic_stack: false
    .vgpr_count:     12
    .vgpr_spill_count: 0
    .wavefront_size: 64
  - .agpr_count:     0
    .args:
      - .address_space:  global
        .offset:         0
        .size:           8
        .value_kind:     global_buffer
      - .offset:         8
        .size:           2720
        .value_kind:     by_value
      - .offset:         2728
        .size:           32
        .value_kind:     by_value
      - .offset:         2760
        .size:           4
        .value_kind:     by_value
      - .offset:         2764
        .size:           4
        .value_kind:     by_value
      - .offset:         2768
        .size:           4
        .value_kind:     hidden_block_count_x
      - .offset:         2772
        .size:           4
        .value_kind:     hidden_block_count_y
      - .offset:         2776
        .size:           4
        .value_kind:     hidden_block_count_z
      - .offset:         2780
        .size:           2
        .value_kind:     hidden_group_size_x
      - .offset:         2782
        .size:           2
        .value_kind:     hidden_group_size_y
      - .offset:         2784
        .size:           2
        .value_kind:     hidden_group_size_z
      - .offset:         2786
        .size:           2
        .value_kind:     hidden_remainder_x
      - .offset:         2788
        .size:           2
        .value_kind:     hidden_remainder_y
      - .offset:         2790
        .size:           2
        .value_kind:     hidden_remainder_z
      - .offset:         2808
        .size:           8
        .value_kind:     hidden_global_offset_x
      - .offset:         2816
        .size:           8
        .value_kind:     hidden_global_offset_y
      - .offset:         2824
        .size:           8
        .value_kind:     hidden_global_offset_z
      - .offset:         2832
        .size:           2
        .value_kind:     hidden_grid_dims
    .group_segment_fixed_size: 0
    .kernarg_segment_align: 8
    .kernarg_segment_size: 3024
    .language:       OpenCL C
    .language_version:
      - 2
      - 0
    .max_flat_workgroup_size: 1024
    .name:           _ZN2at6native12_GLOBAL__N_135CatArrayBatchedCopy_alignedK_contigINS1_10OpaqueTypeILj16EEEjLi2ELi128ELi1ELi16EEEvPT_NS1_25CatArrInputTensorMetadataIS5_T0_XT2_EXT3_EEENS1_16TensorSizeStrideIS8_Lj4EEEiS8_
    .private_segment_fixed_size: 0
    .sgpr_count:     26
    .sgpr_spill_count: 0
    .symbol:         _ZN2at6native12_GLOBAL__N_135CatArrayBatchedCopy_alignedK_contigINS1_10OpaqueTypeILj16EEEjLi2ELi128ELi1ELi16EEEvPT_NS1_25CatArrInputTensorMetadataIS5_T0_XT2_EXT3_EEENS1_16TensorSizeStrideIS8_Lj4EEEiS8_.kd
    .uniform_work_group_size: 1
    .uses_dynamic_stack: false
    .vgpr_count:     17
    .vgpr_spill_count: 0
    .wavefront_size: 64
  - .agpr_count:     0
    .args:
      - .address_space:  global
        .offset:         0
        .size:           8
        .value_kind:     global_buffer
      - .offset:         8
        .size:           2720
        .value_kind:     by_value
      - .offset:         2728
        .size:           32
        .value_kind:     by_value
      - .offset:         2760
        .size:           4
        .value_kind:     by_value
      - .offset:         2764
        .size:           4
        .value_kind:     by_value
      - .offset:         2768
        .size:           4
        .value_kind:     hidden_block_count_x
      - .offset:         2772
        .size:           4
        .value_kind:     hidden_block_count_y
      - .offset:         2776
        .size:           4
        .value_kind:     hidden_block_count_z
      - .offset:         2780
        .size:           2
        .value_kind:     hidden_group_size_x
      - .offset:         2782
        .size:           2
        .value_kind:     hidden_group_size_y
      - .offset:         2784
        .size:           2
        .value_kind:     hidden_group_size_z
      - .offset:         2786
        .size:           2
        .value_kind:     hidden_remainder_x
      - .offset:         2788
        .size:           2
        .value_kind:     hidden_remainder_y
      - .offset:         2790
        .size:           2
        .value_kind:     hidden_remainder_z
      - .offset:         2808
        .size:           8
        .value_kind:     hidden_global_offset_x
      - .offset:         2816
        .size:           8
        .value_kind:     hidden_global_offset_y
      - .offset:         2824
        .size:           8
        .value_kind:     hidden_global_offset_z
      - .offset:         2832
        .size:           2
        .value_kind:     hidden_grid_dims
    .group_segment_fixed_size: 0
    .kernarg_segment_align: 8
    .kernarg_segment_size: 3024
    .language:       OpenCL C
    .language_version:
      - 2
      - 0
    .max_flat_workgroup_size: 1024
    .name:           _ZN2at6native12_GLOBAL__N_135CatArrayBatchedCopy_alignedK_contigINS1_10OpaqueTypeILj16EEEjLi2ELi128ELi1ELi8EEEvPT_NS1_25CatArrInputTensorMetadataIS5_T0_XT2_EXT3_EEENS1_16TensorSizeStrideIS8_Lj4EEEiS8_
    .private_segment_fixed_size: 0
    .sgpr_count:     26
    .sgpr_spill_count: 0
    .symbol:         _ZN2at6native12_GLOBAL__N_135CatArrayBatchedCopy_alignedK_contigINS1_10OpaqueTypeILj16EEEjLi2ELi128ELi1ELi8EEEvPT_NS1_25CatArrInputTensorMetadataIS5_T0_XT2_EXT3_EEENS1_16TensorSizeStrideIS8_Lj4EEEiS8_.kd
    .uniform_work_group_size: 1
    .uses_dynamic_stack: false
    .vgpr_count:     17
    .vgpr_spill_count: 0
    .wavefront_size: 64
  - .agpr_count:     0
    .args:
      - .address_space:  global
        .offset:         0
        .size:           8
        .value_kind:     global_buffer
      - .offset:         8
        .size:           2720
        .value_kind:     by_value
      - .offset:         2728
        .size:           32
        .value_kind:     by_value
      - .offset:         2760
        .size:           4
        .value_kind:     by_value
      - .offset:         2764
        .size:           4
        .value_kind:     by_value
      - .offset:         2768
        .size:           4
        .value_kind:     hidden_block_count_x
      - .offset:         2772
        .size:           4
        .value_kind:     hidden_block_count_y
      - .offset:         2776
        .size:           4
        .value_kind:     hidden_block_count_z
      - .offset:         2780
        .size:           2
        .value_kind:     hidden_group_size_x
      - .offset:         2782
        .size:           2
        .value_kind:     hidden_group_size_y
      - .offset:         2784
        .size:           2
        .value_kind:     hidden_group_size_z
      - .offset:         2786
        .size:           2
        .value_kind:     hidden_remainder_x
      - .offset:         2788
        .size:           2
        .value_kind:     hidden_remainder_y
      - .offset:         2790
        .size:           2
        .value_kind:     hidden_remainder_z
      - .offset:         2808
        .size:           8
        .value_kind:     hidden_global_offset_x
      - .offset:         2816
        .size:           8
        .value_kind:     hidden_global_offset_y
      - .offset:         2824
        .size:           8
        .value_kind:     hidden_global_offset_z
      - .offset:         2832
        .size:           2
        .value_kind:     hidden_grid_dims
    .group_segment_fixed_size: 0
    .kernarg_segment_align: 8
    .kernarg_segment_size: 3024
    .language:       OpenCL C
    .language_version:
      - 2
      - 0
    .max_flat_workgroup_size: 1024
    .name:           _ZN2at6native12_GLOBAL__N_126CatArrayBatchedCopy_contigINS1_10OpaqueTypeILj16EEEjLi2ELi128ELi1EEEvPT_NS1_25CatArrInputTensorMetadataIS5_T0_XT2_EXT3_EEENS1_16TensorSizeStrideIS8_Lj4EEEiS8_
    .private_segment_fixed_size: 0
    .sgpr_count:     24
    .sgpr_spill_count: 0
    .symbol:         _ZN2at6native12_GLOBAL__N_126CatArrayBatchedCopy_contigINS1_10OpaqueTypeILj16EEEjLi2ELi128ELi1EEEvPT_NS1_25CatArrInputTensorMetadataIS5_T0_XT2_EXT3_EEENS1_16TensorSizeStrideIS8_Lj4EEEiS8_.kd
    .uniform_work_group_size: 1
    .uses_dynamic_stack: false
    .vgpr_count:     13
    .vgpr_spill_count: 0
    .wavefront_size: 64
  - .agpr_count:     0
    .args:
      - .address_space:  global
        .offset:         0
        .size:           8
        .value_kind:     global_buffer
      - .offset:         8
        .size:           2720
        .value_kind:     by_value
      - .offset:         2728
        .size:           32
        .value_kind:     by_value
      - .offset:         2760
        .size:           4
        .value_kind:     by_value
      - .offset:         2764
        .size:           4
        .value_kind:     by_value
      - .offset:         2768
        .size:           4
        .value_kind:     hidden_block_count_x
      - .offset:         2772
        .size:           4
        .value_kind:     hidden_block_count_y
      - .offset:         2776
        .size:           4
        .value_kind:     hidden_block_count_z
      - .offset:         2780
        .size:           2
        .value_kind:     hidden_group_size_x
      - .offset:         2782
        .size:           2
        .value_kind:     hidden_group_size_y
      - .offset:         2784
        .size:           2
        .value_kind:     hidden_group_size_z
      - .offset:         2786
        .size:           2
        .value_kind:     hidden_remainder_x
      - .offset:         2788
        .size:           2
        .value_kind:     hidden_remainder_y
      - .offset:         2790
        .size:           2
        .value_kind:     hidden_remainder_z
      - .offset:         2808
        .size:           8
        .value_kind:     hidden_global_offset_x
      - .offset:         2816
        .size:           8
        .value_kind:     hidden_global_offset_y
      - .offset:         2824
        .size:           8
        .value_kind:     hidden_global_offset_z
      - .offset:         2832
        .size:           2
        .value_kind:     hidden_grid_dims
    .group_segment_fixed_size: 0
    .kernarg_segment_align: 8
    .kernarg_segment_size: 3024
    .language:       OpenCL C
    .language_version:
      - 2
      - 0
    .max_flat_workgroup_size: 1024
    .name:           _ZN2at6native12_GLOBAL__N_119CatArrayBatchedCopyINS1_10OpaqueTypeILj16EEEjLi2ELi128ELi1EEEvPT_NS1_25CatArrInputTensorMetadataIS5_T0_XT2_EXT3_EEENS1_16TensorSizeStrideIS8_Lj4EEEiS8_
    .private_segment_fixed_size: 0
    .sgpr_count:     31
    .sgpr_spill_count: 0
    .symbol:         _ZN2at6native12_GLOBAL__N_119CatArrayBatchedCopyINS1_10OpaqueTypeILj16EEEjLi2ELi128ELi1EEEvPT_NS1_25CatArrInputTensorMetadataIS5_T0_XT2_EXT3_EEENS1_16TensorSizeStrideIS8_Lj4EEEiS8_.kd
    .uniform_work_group_size: 1
    .uses_dynamic_stack: false
    .vgpr_count:     12
    .vgpr_spill_count: 0
    .wavefront_size: 64
  - .agpr_count:     0
    .args:
      - .address_space:  global
        .offset:         0
        .size:           8
        .value_kind:     global_buffer
      - .offset:         8
        .size:           2720
        .value_kind:     by_value
      - .offset:         2728
        .size:           32
        .value_kind:     by_value
      - .offset:         2760
        .size:           4
        .value_kind:     by_value
      - .offset:         2764
        .size:           4
        .value_kind:     by_value
      - .offset:         2768
        .size:           4
        .value_kind:     hidden_block_count_x
      - .offset:         2772
        .size:           4
        .value_kind:     hidden_block_count_y
      - .offset:         2776
        .size:           4
        .value_kind:     hidden_block_count_z
      - .offset:         2780
        .size:           2
        .value_kind:     hidden_group_size_x
      - .offset:         2782
        .size:           2
        .value_kind:     hidden_group_size_y
      - .offset:         2784
        .size:           2
        .value_kind:     hidden_group_size_z
      - .offset:         2786
        .size:           2
        .value_kind:     hidden_remainder_x
      - .offset:         2788
        .size:           2
        .value_kind:     hidden_remainder_y
      - .offset:         2790
        .size:           2
        .value_kind:     hidden_remainder_z
      - .offset:         2808
        .size:           8
        .value_kind:     hidden_global_offset_x
      - .offset:         2816
        .size:           8
        .value_kind:     hidden_global_offset_y
      - .offset:         2824
        .size:           8
        .value_kind:     hidden_global_offset_z
      - .offset:         2832
        .size:           2
        .value_kind:     hidden_grid_dims
    .group_segment_fixed_size: 0
    .kernarg_segment_align: 8
    .kernarg_segment_size: 3024
    .language:       OpenCL C
    .language_version:
      - 2
      - 0
    .max_flat_workgroup_size: 1024
    .name:           _ZN2at6native12_GLOBAL__N_130CatArrayBatchedCopy_vectorizedINS1_10OpaqueTypeILj16EEEjLi3ELi128ELi1ELi16ELi1EEEvPcNS1_25CatArrInputTensorMetadataIT_T0_XT2_EXT3_EEENS1_16TensorSizeStrideIS8_Lj4EEEiS8_
    .private_segment_fixed_size: 0
    .sgpr_count:     32
    .sgpr_spill_count: 0
    .symbol:         _ZN2at6native12_GLOBAL__N_130CatArrayBatchedCopy_vectorizedINS1_10OpaqueTypeILj16EEEjLi3ELi128ELi1ELi16ELi1EEEvPcNS1_25CatArrInputTensorMetadataIT_T0_XT2_EXT3_EEENS1_16TensorSizeStrideIS8_Lj4EEEiS8_.kd
    .uniform_work_group_size: 1
    .uses_dynamic_stack: false
    .vgpr_count:     14
    .vgpr_spill_count: 0
    .wavefront_size: 64
  - .agpr_count:     0
    .args:
      - .address_space:  global
        .offset:         0
        .size:           8
        .value_kind:     global_buffer
      - .offset:         8
        .size:           2720
        .value_kind:     by_value
      - .offset:         2728
        .size:           32
        .value_kind:     by_value
      - .offset:         2760
        .size:           4
        .value_kind:     by_value
      - .offset:         2764
        .size:           4
        .value_kind:     by_value
      - .offset:         2768
        .size:           4
        .value_kind:     hidden_block_count_x
      - .offset:         2772
        .size:           4
        .value_kind:     hidden_block_count_y
      - .offset:         2776
        .size:           4
        .value_kind:     hidden_block_count_z
      - .offset:         2780
        .size:           2
        .value_kind:     hidden_group_size_x
      - .offset:         2782
        .size:           2
        .value_kind:     hidden_group_size_y
      - .offset:         2784
        .size:           2
        .value_kind:     hidden_group_size_z
      - .offset:         2786
        .size:           2
        .value_kind:     hidden_remainder_x
      - .offset:         2788
        .size:           2
        .value_kind:     hidden_remainder_y
      - .offset:         2790
        .size:           2
        .value_kind:     hidden_remainder_z
      - .offset:         2808
        .size:           8
        .value_kind:     hidden_global_offset_x
      - .offset:         2816
        .size:           8
        .value_kind:     hidden_global_offset_y
      - .offset:         2824
        .size:           8
        .value_kind:     hidden_global_offset_z
      - .offset:         2832
        .size:           2
        .value_kind:     hidden_grid_dims
    .group_segment_fixed_size: 0
    .kernarg_segment_align: 8
    .kernarg_segment_size: 3024
    .language:       OpenCL C
    .language_version:
      - 2
      - 0
    .max_flat_workgroup_size: 1024
    .name:           _ZN2at6native12_GLOBAL__N_135CatArrayBatchedCopy_alignedK_contigINS1_10OpaqueTypeILj16EEEjLi3ELi128ELi1ELi16EEEvPT_NS1_25CatArrInputTensorMetadataIS5_T0_XT2_EXT3_EEENS1_16TensorSizeStrideIS8_Lj4EEEiS8_
    .private_segment_fixed_size: 0
    .sgpr_count:     30
    .sgpr_spill_count: 0
    .symbol:         _ZN2at6native12_GLOBAL__N_135CatArrayBatchedCopy_alignedK_contigINS1_10OpaqueTypeILj16EEEjLi3ELi128ELi1ELi16EEEvPT_NS1_25CatArrInputTensorMetadataIS5_T0_XT2_EXT3_EEENS1_16TensorSizeStrideIS8_Lj4EEEiS8_.kd
    .uniform_work_group_size: 1
    .uses_dynamic_stack: false
    .vgpr_count:     18
    .vgpr_spill_count: 0
    .wavefront_size: 64
  - .agpr_count:     0
    .args:
      - .address_space:  global
        .offset:         0
        .size:           8
        .value_kind:     global_buffer
      - .offset:         8
        .size:           2720
        .value_kind:     by_value
      - .offset:         2728
        .size:           32
        .value_kind:     by_value
      - .offset:         2760
        .size:           4
        .value_kind:     by_value
      - .offset:         2764
        .size:           4
        .value_kind:     by_value
      - .offset:         2768
        .size:           4
        .value_kind:     hidden_block_count_x
      - .offset:         2772
        .size:           4
        .value_kind:     hidden_block_count_y
      - .offset:         2776
        .size:           4
        .value_kind:     hidden_block_count_z
      - .offset:         2780
        .size:           2
        .value_kind:     hidden_group_size_x
      - .offset:         2782
        .size:           2
        .value_kind:     hidden_group_size_y
      - .offset:         2784
        .size:           2
        .value_kind:     hidden_group_size_z
      - .offset:         2786
        .size:           2
        .value_kind:     hidden_remainder_x
      - .offset:         2788
        .size:           2
        .value_kind:     hidden_remainder_y
      - .offset:         2790
        .size:           2
        .value_kind:     hidden_remainder_z
      - .offset:         2808
        .size:           8
        .value_kind:     hidden_global_offset_x
      - .offset:         2816
        .size:           8
        .value_kind:     hidden_global_offset_y
      - .offset:         2824
        .size:           8
        .value_kind:     hidden_global_offset_z
      - .offset:         2832
        .size:           2
        .value_kind:     hidden_grid_dims
    .group_segment_fixed_size: 0
    .kernarg_segment_align: 8
    .kernarg_segment_size: 3024
    .language:       OpenCL C
    .language_version:
      - 2
      - 0
    .max_flat_workgroup_size: 1024
    .name:           _ZN2at6native12_GLOBAL__N_135CatArrayBatchedCopy_alignedK_contigINS1_10OpaqueTypeILj16EEEjLi3ELi128ELi1ELi8EEEvPT_NS1_25CatArrInputTensorMetadataIS5_T0_XT2_EXT3_EEENS1_16TensorSizeStrideIS8_Lj4EEEiS8_
    .private_segment_fixed_size: 0
    .sgpr_count:     30
    .sgpr_spill_count: 0
    .symbol:         _ZN2at6native12_GLOBAL__N_135CatArrayBatchedCopy_alignedK_contigINS1_10OpaqueTypeILj16EEEjLi3ELi128ELi1ELi8EEEvPT_NS1_25CatArrInputTensorMetadataIS5_T0_XT2_EXT3_EEENS1_16TensorSizeStrideIS8_Lj4EEEiS8_.kd
    .uniform_work_group_size: 1
    .uses_dynamic_stack: false
    .vgpr_count:     18
    .vgpr_spill_count: 0
    .wavefront_size: 64
  - .agpr_count:     0
    .args:
      - .address_space:  global
        .offset:         0
        .size:           8
        .value_kind:     global_buffer
      - .offset:         8
        .size:           2720
        .value_kind:     by_value
      - .offset:         2728
        .size:           32
        .value_kind:     by_value
      - .offset:         2760
        .size:           4
        .value_kind:     by_value
      - .offset:         2764
        .size:           4
        .value_kind:     by_value
      - .offset:         2768
        .size:           4
        .value_kind:     hidden_block_count_x
      - .offset:         2772
        .size:           4
        .value_kind:     hidden_block_count_y
      - .offset:         2776
        .size:           4
        .value_kind:     hidden_block_count_z
      - .offset:         2780
        .size:           2
        .value_kind:     hidden_group_size_x
      - .offset:         2782
        .size:           2
        .value_kind:     hidden_group_size_y
      - .offset:         2784
        .size:           2
        .value_kind:     hidden_group_size_z
      - .offset:         2786
        .size:           2
        .value_kind:     hidden_remainder_x
      - .offset:         2788
        .size:           2
        .value_kind:     hidden_remainder_y
      - .offset:         2790
        .size:           2
        .value_kind:     hidden_remainder_z
      - .offset:         2808
        .size:           8
        .value_kind:     hidden_global_offset_x
      - .offset:         2816
        .size:           8
        .value_kind:     hidden_global_offset_y
      - .offset:         2824
        .size:           8
        .value_kind:     hidden_global_offset_z
      - .offset:         2832
        .size:           2
        .value_kind:     hidden_grid_dims
    .group_segment_fixed_size: 0
    .kernarg_segment_align: 8
    .kernarg_segment_size: 3024
    .language:       OpenCL C
    .language_version:
      - 2
      - 0
    .max_flat_workgroup_size: 1024
    .name:           _ZN2at6native12_GLOBAL__N_126CatArrayBatchedCopy_contigINS1_10OpaqueTypeILj16EEEjLi3ELi128ELi1EEEvPT_NS1_25CatArrInputTensorMetadataIS5_T0_XT2_EXT3_EEENS1_16TensorSizeStrideIS8_Lj4EEEiS8_
    .private_segment_fixed_size: 0
    .sgpr_count:     30
    .sgpr_spill_count: 0
    .symbol:         _ZN2at6native12_GLOBAL__N_126CatArrayBatchedCopy_contigINS1_10OpaqueTypeILj16EEEjLi3ELi128ELi1EEEvPT_NS1_25CatArrInputTensorMetadataIS5_T0_XT2_EXT3_EEENS1_16TensorSizeStrideIS8_Lj4EEEiS8_.kd
    .uniform_work_group_size: 1
    .uses_dynamic_stack: false
    .vgpr_count:     14
    .vgpr_spill_count: 0
    .wavefront_size: 64
  - .agpr_count:     0
    .args:
      - .address_space:  global
        .offset:         0
        .size:           8
        .value_kind:     global_buffer
      - .offset:         8
        .size:           2720
        .value_kind:     by_value
      - .offset:         2728
        .size:           32
        .value_kind:     by_value
      - .offset:         2760
        .size:           4
        .value_kind:     by_value
      - .offset:         2764
        .size:           4
        .value_kind:     by_value
      - .offset:         2768
        .size:           4
        .value_kind:     hidden_block_count_x
      - .offset:         2772
        .size:           4
        .value_kind:     hidden_block_count_y
      - .offset:         2776
        .size:           4
        .value_kind:     hidden_block_count_z
      - .offset:         2780
        .size:           2
        .value_kind:     hidden_group_size_x
      - .offset:         2782
        .size:           2
        .value_kind:     hidden_group_size_y
      - .offset:         2784
        .size:           2
        .value_kind:     hidden_group_size_z
      - .offset:         2786
        .size:           2
        .value_kind:     hidden_remainder_x
      - .offset:         2788
        .size:           2
        .value_kind:     hidden_remainder_y
      - .offset:         2790
        .size:           2
        .value_kind:     hidden_remainder_z
      - .offset:         2808
        .size:           8
        .value_kind:     hidden_global_offset_x
      - .offset:         2816
        .size:           8
        .value_kind:     hidden_global_offset_y
      - .offset:         2824
        .size:           8
        .value_kind:     hidden_global_offset_z
      - .offset:         2832
        .size:           2
        .value_kind:     hidden_grid_dims
    .group_segment_fixed_size: 0
    .kernarg_segment_align: 8
    .kernarg_segment_size: 3024
    .language:       OpenCL C
    .language_version:
      - 2
      - 0
    .max_flat_workgroup_size: 1024
    .name:           _ZN2at6native12_GLOBAL__N_119CatArrayBatchedCopyINS1_10OpaqueTypeILj16EEEjLi3ELi128ELi1EEEvPT_NS1_25CatArrInputTensorMetadataIS5_T0_XT2_EXT3_EEENS1_16TensorSizeStrideIS8_Lj4EEEiS8_
    .private_segment_fixed_size: 0
    .sgpr_count:     37
    .sgpr_spill_count: 0
    .symbol:         _ZN2at6native12_GLOBAL__N_119CatArrayBatchedCopyINS1_10OpaqueTypeILj16EEEjLi3ELi128ELi1EEEvPT_NS1_25CatArrInputTensorMetadataIS5_T0_XT2_EXT3_EEENS1_16TensorSizeStrideIS8_Lj4EEEiS8_.kd
    .uniform_work_group_size: 1
    .uses_dynamic_stack: false
    .vgpr_count:     15
    .vgpr_spill_count: 0
    .wavefront_size: 64
  - .agpr_count:     0
    .args:
      - .address_space:  global
        .offset:         0
        .size:           8
        .value_kind:     global_buffer
      - .offset:         8
        .size:           2720
        .value_kind:     by_value
      - .offset:         2728
        .size:           32
        .value_kind:     by_value
      - .offset:         2760
        .size:           4
        .value_kind:     by_value
      - .offset:         2764
        .size:           4
        .value_kind:     by_value
      - .offset:         2768
        .size:           4
        .value_kind:     hidden_block_count_x
      - .offset:         2772
        .size:           4
        .value_kind:     hidden_block_count_y
      - .offset:         2776
        .size:           4
        .value_kind:     hidden_block_count_z
      - .offset:         2780
        .size:           2
        .value_kind:     hidden_group_size_x
      - .offset:         2782
        .size:           2
        .value_kind:     hidden_group_size_y
      - .offset:         2784
        .size:           2
        .value_kind:     hidden_group_size_z
      - .offset:         2786
        .size:           2
        .value_kind:     hidden_remainder_x
      - .offset:         2788
        .size:           2
        .value_kind:     hidden_remainder_y
      - .offset:         2790
        .size:           2
        .value_kind:     hidden_remainder_z
      - .offset:         2808
        .size:           8
        .value_kind:     hidden_global_offset_x
      - .offset:         2816
        .size:           8
        .value_kind:     hidden_global_offset_y
      - .offset:         2824
        .size:           8
        .value_kind:     hidden_global_offset_z
      - .offset:         2832
        .size:           2
        .value_kind:     hidden_grid_dims
    .group_segment_fixed_size: 0
    .kernarg_segment_align: 8
    .kernarg_segment_size: 3024
    .language:       OpenCL C
    .language_version:
      - 2
      - 0
    .max_flat_workgroup_size: 1024
    .name:           _ZN2at6native12_GLOBAL__N_130CatArrayBatchedCopy_vectorizedINS1_10OpaqueTypeILj16EEEjLi4ELi128ELi1ELi16ELi1EEEvPcNS1_25CatArrInputTensorMetadataIT_T0_XT2_EXT3_EEENS1_16TensorSizeStrideIS8_Lj4EEEiS8_
    .private_segment_fixed_size: 0
    .sgpr_count:     33
    .sgpr_spill_count: 0
    .symbol:         _ZN2at6native12_GLOBAL__N_130CatArrayBatchedCopy_vectorizedINS1_10OpaqueTypeILj16EEEjLi4ELi128ELi1ELi16ELi1EEEvPcNS1_25CatArrInputTensorMetadataIT_T0_XT2_EXT3_EEENS1_16TensorSizeStrideIS8_Lj4EEEiS8_.kd
    .uniform_work_group_size: 1
    .uses_dynamic_stack: false
    .vgpr_count:     16
    .vgpr_spill_count: 0
    .wavefront_size: 64
  - .agpr_count:     0
    .args:
      - .address_space:  global
        .offset:         0
        .size:           8
        .value_kind:     global_buffer
      - .offset:         8
        .size:           2720
        .value_kind:     by_value
      - .offset:         2728
        .size:           32
        .value_kind:     by_value
      - .offset:         2760
        .size:           4
        .value_kind:     by_value
      - .offset:         2764
        .size:           4
        .value_kind:     by_value
      - .offset:         2768
        .size:           4
        .value_kind:     hidden_block_count_x
      - .offset:         2772
        .size:           4
        .value_kind:     hidden_block_count_y
      - .offset:         2776
        .size:           4
        .value_kind:     hidden_block_count_z
      - .offset:         2780
        .size:           2
        .value_kind:     hidden_group_size_x
      - .offset:         2782
        .size:           2
        .value_kind:     hidden_group_size_y
      - .offset:         2784
        .size:           2
        .value_kind:     hidden_group_size_z
      - .offset:         2786
        .size:           2
        .value_kind:     hidden_remainder_x
      - .offset:         2788
        .size:           2
        .value_kind:     hidden_remainder_y
      - .offset:         2790
        .size:           2
        .value_kind:     hidden_remainder_z
      - .offset:         2808
        .size:           8
        .value_kind:     hidden_global_offset_x
      - .offset:         2816
        .size:           8
        .value_kind:     hidden_global_offset_y
      - .offset:         2824
        .size:           8
        .value_kind:     hidden_global_offset_z
      - .offset:         2832
        .size:           2
        .value_kind:     hidden_grid_dims
    .group_segment_fixed_size: 0
    .kernarg_segment_align: 8
    .kernarg_segment_size: 3024
    .language:       OpenCL C
    .language_version:
      - 2
      - 0
    .max_flat_workgroup_size: 1024
    .name:           _ZN2at6native12_GLOBAL__N_135CatArrayBatchedCopy_alignedK_contigINS1_10OpaqueTypeILj16EEEjLi4ELi128ELi1ELi16EEEvPT_NS1_25CatArrInputTensorMetadataIS5_T0_XT2_EXT3_EEENS1_16TensorSizeStrideIS8_Lj4EEEiS8_
    .private_segment_fixed_size: 0
    .sgpr_count:     32
    .sgpr_spill_count: 0
    .symbol:         _ZN2at6native12_GLOBAL__N_135CatArrayBatchedCopy_alignedK_contigINS1_10OpaqueTypeILj16EEEjLi4ELi128ELi1ELi16EEEvPT_NS1_25CatArrInputTensorMetadataIS5_T0_XT2_EXT3_EEENS1_16TensorSizeStrideIS8_Lj4EEEiS8_.kd
    .uniform_work_group_size: 1
    .uses_dynamic_stack: false
    .vgpr_count:     21
    .vgpr_spill_count: 0
    .wavefront_size: 64
  - .agpr_count:     0
    .args:
      - .address_space:  global
        .offset:         0
        .size:           8
        .value_kind:     global_buffer
      - .offset:         8
        .size:           2720
        .value_kind:     by_value
      - .offset:         2728
        .size:           32
        .value_kind:     by_value
      - .offset:         2760
        .size:           4
        .value_kind:     by_value
      - .offset:         2764
        .size:           4
        .value_kind:     by_value
      - .offset:         2768
        .size:           4
        .value_kind:     hidden_block_count_x
      - .offset:         2772
        .size:           4
        .value_kind:     hidden_block_count_y
      - .offset:         2776
        .size:           4
        .value_kind:     hidden_block_count_z
      - .offset:         2780
        .size:           2
        .value_kind:     hidden_group_size_x
      - .offset:         2782
        .size:           2
        .value_kind:     hidden_group_size_y
      - .offset:         2784
        .size:           2
        .value_kind:     hidden_group_size_z
      - .offset:         2786
        .size:           2
        .value_kind:     hidden_remainder_x
      - .offset:         2788
        .size:           2
        .value_kind:     hidden_remainder_y
      - .offset:         2790
        .size:           2
        .value_kind:     hidden_remainder_z
      - .offset:         2808
        .size:           8
        .value_kind:     hidden_global_offset_x
      - .offset:         2816
        .size:           8
        .value_kind:     hidden_global_offset_y
      - .offset:         2824
        .size:           8
        .value_kind:     hidden_global_offset_z
      - .offset:         2832
        .size:           2
        .value_kind:     hidden_grid_dims
    .group_segment_fixed_size: 0
    .kernarg_segment_align: 8
    .kernarg_segment_size: 3024
    .language:       OpenCL C
    .language_version:
      - 2
      - 0
    .max_flat_workgroup_size: 1024
    .name:           _ZN2at6native12_GLOBAL__N_135CatArrayBatchedCopy_alignedK_contigINS1_10OpaqueTypeILj16EEEjLi4ELi128ELi1ELi8EEEvPT_NS1_25CatArrInputTensorMetadataIS5_T0_XT2_EXT3_EEENS1_16TensorSizeStrideIS8_Lj4EEEiS8_
    .private_segment_fixed_size: 0
    .sgpr_count:     32
    .sgpr_spill_count: 0
    .symbol:         _ZN2at6native12_GLOBAL__N_135CatArrayBatchedCopy_alignedK_contigINS1_10OpaqueTypeILj16EEEjLi4ELi128ELi1ELi8EEEvPT_NS1_25CatArrInputTensorMetadataIS5_T0_XT2_EXT3_EEENS1_16TensorSizeStrideIS8_Lj4EEEiS8_.kd
    .uniform_work_group_size: 1
    .uses_dynamic_stack: false
    .vgpr_count:     21
    .vgpr_spill_count: 0
    .wavefront_size: 64
  - .agpr_count:     0
    .args:
      - .address_space:  global
        .offset:         0
        .size:           8
        .value_kind:     global_buffer
      - .offset:         8
        .size:           2720
        .value_kind:     by_value
      - .offset:         2728
        .size:           32
        .value_kind:     by_value
      - .offset:         2760
        .size:           4
        .value_kind:     by_value
      - .offset:         2764
        .size:           4
        .value_kind:     by_value
      - .offset:         2768
        .size:           4
        .value_kind:     hidden_block_count_x
      - .offset:         2772
        .size:           4
        .value_kind:     hidden_block_count_y
      - .offset:         2776
        .size:           4
        .value_kind:     hidden_block_count_z
      - .offset:         2780
        .size:           2
        .value_kind:     hidden_group_size_x
      - .offset:         2782
        .size:           2
        .value_kind:     hidden_group_size_y
      - .offset:         2784
        .size:           2
        .value_kind:     hidden_group_size_z
      - .offset:         2786
        .size:           2
        .value_kind:     hidden_remainder_x
      - .offset:         2788
        .size:           2
        .value_kind:     hidden_remainder_y
      - .offset:         2790
        .size:           2
        .value_kind:     hidden_remainder_z
      - .offset:         2808
        .size:           8
        .value_kind:     hidden_global_offset_x
      - .offset:         2816
        .size:           8
        .value_kind:     hidden_global_offset_y
      - .offset:         2824
        .size:           8
        .value_kind:     hidden_global_offset_z
      - .offset:         2832
        .size:           2
        .value_kind:     hidden_grid_dims
    .group_segment_fixed_size: 0
    .kernarg_segment_align: 8
    .kernarg_segment_size: 3024
    .language:       OpenCL C
    .language_version:
      - 2
      - 0
    .max_flat_workgroup_size: 1024
    .name:           _ZN2at6native12_GLOBAL__N_126CatArrayBatchedCopy_contigINS1_10OpaqueTypeILj16EEEjLi4ELi128ELi1EEEvPT_NS1_25CatArrInputTensorMetadataIS5_T0_XT2_EXT3_EEENS1_16TensorSizeStrideIS8_Lj4EEEiS8_
    .private_segment_fixed_size: 0
    .sgpr_count:     33
    .sgpr_spill_count: 0
    .symbol:         _ZN2at6native12_GLOBAL__N_126CatArrayBatchedCopy_contigINS1_10OpaqueTypeILj16EEEjLi4ELi128ELi1EEEvPT_NS1_25CatArrInputTensorMetadataIS5_T0_XT2_EXT3_EEENS1_16TensorSizeStrideIS8_Lj4EEEiS8_.kd
    .uniform_work_group_size: 1
    .uses_dynamic_stack: false
    .vgpr_count:     17
    .vgpr_spill_count: 0
    .wavefront_size: 64
  - .agpr_count:     0
    .args:
      - .address_space:  global
        .offset:         0
        .size:           8
        .value_kind:     global_buffer
      - .offset:         8
        .size:           2720
        .value_kind:     by_value
      - .offset:         2728
        .size:           32
        .value_kind:     by_value
      - .offset:         2760
        .size:           4
        .value_kind:     by_value
      - .offset:         2764
        .size:           4
        .value_kind:     by_value
      - .offset:         2768
        .size:           4
        .value_kind:     hidden_block_count_x
      - .offset:         2772
        .size:           4
        .value_kind:     hidden_block_count_y
      - .offset:         2776
        .size:           4
        .value_kind:     hidden_block_count_z
      - .offset:         2780
        .size:           2
        .value_kind:     hidden_group_size_x
      - .offset:         2782
        .size:           2
        .value_kind:     hidden_group_size_y
      - .offset:         2784
        .size:           2
        .value_kind:     hidden_group_size_z
      - .offset:         2786
        .size:           2
        .value_kind:     hidden_remainder_x
      - .offset:         2788
        .size:           2
        .value_kind:     hidden_remainder_y
      - .offset:         2790
        .size:           2
        .value_kind:     hidden_remainder_z
      - .offset:         2808
        .size:           8
        .value_kind:     hidden_global_offset_x
      - .offset:         2816
        .size:           8
        .value_kind:     hidden_global_offset_y
      - .offset:         2824
        .size:           8
        .value_kind:     hidden_global_offset_z
      - .offset:         2832
        .size:           2
        .value_kind:     hidden_grid_dims
    .group_segment_fixed_size: 0
    .kernarg_segment_align: 8
    .kernarg_segment_size: 3024
    .language:       OpenCL C
    .language_version:
      - 2
      - 0
    .max_flat_workgroup_size: 1024
    .name:           _ZN2at6native12_GLOBAL__N_119CatArrayBatchedCopyINS1_10OpaqueTypeILj16EEEjLi4ELi128ELi1EEEvPT_NS1_25CatArrInputTensorMetadataIS5_T0_XT2_EXT3_EEENS1_16TensorSizeStrideIS8_Lj4EEEiS8_
    .private_segment_fixed_size: 0
    .sgpr_count:     42
    .sgpr_spill_count: 0
    .symbol:         _ZN2at6native12_GLOBAL__N_119CatArrayBatchedCopyINS1_10OpaqueTypeILj16EEEjLi4ELi128ELi1EEEvPT_NS1_25CatArrInputTensorMetadataIS5_T0_XT2_EXT3_EEENS1_16TensorSizeStrideIS8_Lj4EEEiS8_.kd
    .uniform_work_group_size: 1
    .uses_dynamic_stack: false
    .vgpr_count:     18
    .vgpr_spill_count: 0
    .wavefront_size: 64
  - .agpr_count:     0
    .args:
      - .address_space:  global
        .offset:         0
        .size:           8
        .value_kind:     global_buffer
      - .offset:         8
        .size:           3392
        .value_kind:     by_value
      - .offset:         3400
        .size:           32
        .value_kind:     by_value
      - .offset:         3432
        .size:           4
        .value_kind:     by_value
      - .offset:         3436
        .size:           4
        .value_kind:     by_value
      - .offset:         3440
        .size:           4
        .value_kind:     hidden_block_count_x
      - .offset:         3444
        .size:           4
        .value_kind:     hidden_block_count_y
      - .offset:         3448
        .size:           4
        .value_kind:     hidden_block_count_z
      - .offset:         3452
        .size:           2
        .value_kind:     hidden_group_size_x
      - .offset:         3454
        .size:           2
        .value_kind:     hidden_group_size_y
      - .offset:         3456
        .size:           2
        .value_kind:     hidden_group_size_z
      - .offset:         3458
        .size:           2
        .value_kind:     hidden_remainder_x
      - .offset:         3460
        .size:           2
        .value_kind:     hidden_remainder_y
      - .offset:         3462
        .size:           2
        .value_kind:     hidden_remainder_z
      - .offset:         3480
        .size:           8
        .value_kind:     hidden_global_offset_x
      - .offset:         3488
        .size:           8
        .value_kind:     hidden_global_offset_y
      - .offset:         3496
        .size:           8
        .value_kind:     hidden_global_offset_z
      - .offset:         3504
        .size:           2
        .value_kind:     hidden_grid_dims
    .group_segment_fixed_size: 0
    .kernarg_segment_align: 8
    .kernarg_segment_size: 3696
    .language:       OpenCL C
    .language_version:
      - 2
      - 0
    .max_flat_workgroup_size: 1024
    .name:           _ZN2at6native12_GLOBAL__N_130CatArrayBatchedCopy_vectorizedINS1_10OpaqueTypeILj1EEEjLi1ELi64ELi64ELi16ELi16EEEvPcNS1_25CatArrInputTensorMetadataIT_T0_XT2_EXT3_EEENS1_16TensorSizeStrideIS8_Lj4EEEiS8_
    .private_segment_fixed_size: 0
    .sgpr_count:     22
    .sgpr_spill_count: 0
    .symbol:         _ZN2at6native12_GLOBAL__N_130CatArrayBatchedCopy_vectorizedINS1_10OpaqueTypeILj1EEEjLi1ELi64ELi64ELi16ELi16EEEvPcNS1_25CatArrInputTensorMetadataIT_T0_XT2_EXT3_EEENS1_16TensorSizeStrideIS8_Lj4EEEiS8_.kd
    .uniform_work_group_size: 1
    .uses_dynamic_stack: false
    .vgpr_count:     10
    .vgpr_spill_count: 0
    .wavefront_size: 64
  - .agpr_count:     0
    .args:
      - .address_space:  global
        .offset:         0
        .size:           8
        .value_kind:     global_buffer
      - .offset:         8
        .size:           3392
        .value_kind:     by_value
      - .offset:         3400
        .size:           32
        .value_kind:     by_value
      - .offset:         3432
        .size:           4
        .value_kind:     by_value
      - .offset:         3436
        .size:           4
        .value_kind:     by_value
      - .offset:         3440
        .size:           4
        .value_kind:     hidden_block_count_x
      - .offset:         3444
        .size:           4
        .value_kind:     hidden_block_count_y
      - .offset:         3448
        .size:           4
        .value_kind:     hidden_block_count_z
      - .offset:         3452
        .size:           2
        .value_kind:     hidden_group_size_x
      - .offset:         3454
        .size:           2
        .value_kind:     hidden_group_size_y
      - .offset:         3456
        .size:           2
        .value_kind:     hidden_group_size_z
      - .offset:         3458
        .size:           2
        .value_kind:     hidden_remainder_x
      - .offset:         3460
        .size:           2
        .value_kind:     hidden_remainder_y
      - .offset:         3462
        .size:           2
        .value_kind:     hidden_remainder_z
      - .offset:         3480
        .size:           8
        .value_kind:     hidden_global_offset_x
      - .offset:         3488
        .size:           8
        .value_kind:     hidden_global_offset_y
      - .offset:         3496
        .size:           8
        .value_kind:     hidden_global_offset_z
      - .offset:         3504
        .size:           2
        .value_kind:     hidden_grid_dims
    .group_segment_fixed_size: 0
    .kernarg_segment_align: 8
    .kernarg_segment_size: 3696
    .language:       OpenCL C
    .language_version:
      - 2
      - 0
    .max_flat_workgroup_size: 1024
    .name:           _ZN2at6native12_GLOBAL__N_135CatArrayBatchedCopy_alignedK_contigINS1_10OpaqueTypeILj1EEEjLi1ELi64ELi64ELi16EEEvPT_NS1_25CatArrInputTensorMetadataIS5_T0_XT2_EXT3_EEENS1_16TensorSizeStrideIS8_Lj4EEEiS8_
    .private_segment_fixed_size: 0
    .sgpr_count:     23
    .sgpr_spill_count: 0
    .symbol:         _ZN2at6native12_GLOBAL__N_135CatArrayBatchedCopy_alignedK_contigINS1_10OpaqueTypeILj1EEEjLi1ELi64ELi64ELi16EEEvPT_NS1_25CatArrInputTensorMetadataIS5_T0_XT2_EXT3_EEENS1_16TensorSizeStrideIS8_Lj4EEEiS8_.kd
    .uniform_work_group_size: 1
    .uses_dynamic_stack: false
    .vgpr_count:     45
    .vgpr_spill_count: 0
    .wavefront_size: 64
  - .agpr_count:     0
    .args:
      - .address_space:  global
        .offset:         0
        .size:           8
        .value_kind:     global_buffer
      - .offset:         8
        .size:           3392
        .value_kind:     by_value
      - .offset:         3400
        .size:           32
        .value_kind:     by_value
      - .offset:         3432
        .size:           4
        .value_kind:     by_value
      - .offset:         3436
        .size:           4
        .value_kind:     by_value
      - .offset:         3440
        .size:           4
        .value_kind:     hidden_block_count_x
      - .offset:         3444
        .size:           4
        .value_kind:     hidden_block_count_y
      - .offset:         3448
        .size:           4
        .value_kind:     hidden_block_count_z
      - .offset:         3452
        .size:           2
        .value_kind:     hidden_group_size_x
      - .offset:         3454
        .size:           2
        .value_kind:     hidden_group_size_y
      - .offset:         3456
        .size:           2
        .value_kind:     hidden_group_size_z
      - .offset:         3458
        .size:           2
        .value_kind:     hidden_remainder_x
      - .offset:         3460
        .size:           2
        .value_kind:     hidden_remainder_y
      - .offset:         3462
        .size:           2
        .value_kind:     hidden_remainder_z
      - .offset:         3480
        .size:           8
        .value_kind:     hidden_global_offset_x
      - .offset:         3488
        .size:           8
        .value_kind:     hidden_global_offset_y
      - .offset:         3496
        .size:           8
        .value_kind:     hidden_global_offset_z
      - .offset:         3504
        .size:           2
        .value_kind:     hidden_grid_dims
    .group_segment_fixed_size: 0
    .kernarg_segment_align: 8
    .kernarg_segment_size: 3696
    .language:       OpenCL C
    .language_version:
      - 2
      - 0
    .max_flat_workgroup_size: 1024
    .name:           _ZN2at6native12_GLOBAL__N_135CatArrayBatchedCopy_alignedK_contigINS1_10OpaqueTypeILj1EEEjLi1ELi64ELi64ELi8EEEvPT_NS1_25CatArrInputTensorMetadataIS5_T0_XT2_EXT3_EEENS1_16TensorSizeStrideIS8_Lj4EEEiS8_
    .private_segment_fixed_size: 0
    .sgpr_count:     23
    .sgpr_spill_count: 0
    .symbol:         _ZN2at6native12_GLOBAL__N_135CatArrayBatchedCopy_alignedK_contigINS1_10OpaqueTypeILj1EEEjLi1ELi64ELi64ELi8EEEvPT_NS1_25CatArrInputTensorMetadataIS5_T0_XT2_EXT3_EEENS1_16TensorSizeStrideIS8_Lj4EEEiS8_.kd
    .uniform_work_group_size: 1
    .uses_dynamic_stack: false
    .vgpr_count:     23
    .vgpr_spill_count: 0
    .wavefront_size: 64
  - .agpr_count:     0
    .args:
      - .address_space:  global
        .offset:         0
        .size:           8
        .value_kind:     global_buffer
      - .offset:         8
        .size:           3392
        .value_kind:     by_value
      - .offset:         3400
        .size:           32
        .value_kind:     by_value
      - .offset:         3432
        .size:           4
        .value_kind:     by_value
      - .offset:         3436
        .size:           4
        .value_kind:     by_value
      - .offset:         3440
        .size:           4
        .value_kind:     hidden_block_count_x
      - .offset:         3444
        .size:           4
        .value_kind:     hidden_block_count_y
      - .offset:         3448
        .size:           4
        .value_kind:     hidden_block_count_z
      - .offset:         3452
        .size:           2
        .value_kind:     hidden_group_size_x
      - .offset:         3454
        .size:           2
        .value_kind:     hidden_group_size_y
      - .offset:         3456
        .size:           2
        .value_kind:     hidden_group_size_z
      - .offset:         3458
        .size:           2
        .value_kind:     hidden_remainder_x
      - .offset:         3460
        .size:           2
        .value_kind:     hidden_remainder_y
      - .offset:         3462
        .size:           2
        .value_kind:     hidden_remainder_z
      - .offset:         3480
        .size:           8
        .value_kind:     hidden_global_offset_x
      - .offset:         3488
        .size:           8
        .value_kind:     hidden_global_offset_y
      - .offset:         3496
        .size:           8
        .value_kind:     hidden_global_offset_z
      - .offset:         3504
        .size:           2
        .value_kind:     hidden_grid_dims
    .group_segment_fixed_size: 0
    .kernarg_segment_align: 8
    .kernarg_segment_size: 3696
    .language:       OpenCL C
    .language_version:
      - 2
      - 0
    .max_flat_workgroup_size: 1024
    .name:           _ZN2at6native12_GLOBAL__N_126CatArrayBatchedCopy_contigINS1_10OpaqueTypeILj1EEEjLi1ELi64ELi64EEEvPT_NS1_25CatArrInputTensorMetadataIS5_T0_XT2_EXT3_EEENS1_16TensorSizeStrideIS8_Lj4EEEiS8_
    .private_segment_fixed_size: 0
    .sgpr_count:     22
    .sgpr_spill_count: 0
    .symbol:         _ZN2at6native12_GLOBAL__N_126CatArrayBatchedCopy_contigINS1_10OpaqueTypeILj1EEEjLi1ELi64ELi64EEEvPT_NS1_25CatArrInputTensorMetadataIS5_T0_XT2_EXT3_EEENS1_16TensorSizeStrideIS8_Lj4EEEiS8_.kd
    .uniform_work_group_size: 1
    .uses_dynamic_stack: false
    .vgpr_count:     3
    .vgpr_spill_count: 0
    .wavefront_size: 64
  - .agpr_count:     0
    .args:
      - .address_space:  global
        .offset:         0
        .size:           8
        .value_kind:     global_buffer
      - .offset:         8
        .size:           3392
        .value_kind:     by_value
      - .offset:         3400
        .size:           32
        .value_kind:     by_value
      - .offset:         3432
        .size:           4
        .value_kind:     by_value
      - .offset:         3436
        .size:           4
        .value_kind:     by_value
      - .offset:         3440
        .size:           4
        .value_kind:     hidden_block_count_x
      - .offset:         3444
        .size:           4
        .value_kind:     hidden_block_count_y
      - .offset:         3448
        .size:           4
        .value_kind:     hidden_block_count_z
      - .offset:         3452
        .size:           2
        .value_kind:     hidden_group_size_x
      - .offset:         3454
        .size:           2
        .value_kind:     hidden_group_size_y
      - .offset:         3456
        .size:           2
        .value_kind:     hidden_group_size_z
      - .offset:         3458
        .size:           2
        .value_kind:     hidden_remainder_x
      - .offset:         3460
        .size:           2
        .value_kind:     hidden_remainder_y
      - .offset:         3462
        .size:           2
        .value_kind:     hidden_remainder_z
      - .offset:         3480
        .size:           8
        .value_kind:     hidden_global_offset_x
      - .offset:         3488
        .size:           8
        .value_kind:     hidden_global_offset_y
      - .offset:         3496
        .size:           8
        .value_kind:     hidden_global_offset_z
      - .offset:         3504
        .size:           2
        .value_kind:     hidden_grid_dims
    .group_segment_fixed_size: 0
    .kernarg_segment_align: 8
    .kernarg_segment_size: 3696
    .language:       OpenCL C
    .language_version:
      - 2
      - 0
    .max_flat_workgroup_size: 1024
    .name:           _ZN2at6native12_GLOBAL__N_119CatArrayBatchedCopyINS1_10OpaqueTypeILj1EEEjLi1ELi64ELi64EEEvPT_NS1_25CatArrInputTensorMetadataIS5_T0_XT2_EXT3_EEENS1_16TensorSizeStrideIS8_Lj4EEEiS8_
    .private_segment_fixed_size: 0
    .sgpr_count:     25
    .sgpr_spill_count: 0
    .symbol:         _ZN2at6native12_GLOBAL__N_119CatArrayBatchedCopyINS1_10OpaqueTypeILj1EEEjLi1ELi64ELi64EEEvPT_NS1_25CatArrInputTensorMetadataIS5_T0_XT2_EXT3_EEENS1_16TensorSizeStrideIS8_Lj4EEEiS8_.kd
    .uniform_work_group_size: 1
    .uses_dynamic_stack: false
    .vgpr_count:     4
    .vgpr_spill_count: 0
    .wavefront_size: 64
  - .agpr_count:     0
    .args:
      - .address_space:  global
        .offset:         0
        .size:           8
        .value_kind:     global_buffer
      - .offset:         8
        .size:           3392
        .value_kind:     by_value
      - .offset:         3400
        .size:           32
        .value_kind:     by_value
      - .offset:         3432
        .size:           4
        .value_kind:     by_value
      - .offset:         3436
        .size:           4
        .value_kind:     by_value
      - .offset:         3440
        .size:           4
        .value_kind:     hidden_block_count_x
      - .offset:         3444
        .size:           4
        .value_kind:     hidden_block_count_y
      - .offset:         3448
        .size:           4
        .value_kind:     hidden_block_count_z
      - .offset:         3452
        .size:           2
        .value_kind:     hidden_group_size_x
      - .offset:         3454
        .size:           2
        .value_kind:     hidden_group_size_y
      - .offset:         3456
        .size:           2
        .value_kind:     hidden_group_size_z
      - .offset:         3458
        .size:           2
        .value_kind:     hidden_remainder_x
      - .offset:         3460
        .size:           2
        .value_kind:     hidden_remainder_y
      - .offset:         3462
        .size:           2
        .value_kind:     hidden_remainder_z
      - .offset:         3480
        .size:           8
        .value_kind:     hidden_global_offset_x
      - .offset:         3488
        .size:           8
        .value_kind:     hidden_global_offset_y
      - .offset:         3496
        .size:           8
        .value_kind:     hidden_global_offset_z
      - .offset:         3504
        .size:           2
        .value_kind:     hidden_grid_dims
    .group_segment_fixed_size: 0
    .kernarg_segment_align: 8
    .kernarg_segment_size: 3696
    .language:       OpenCL C
    .language_version:
      - 2
      - 0
    .max_flat_workgroup_size: 1024
    .name:           _ZN2at6native12_GLOBAL__N_130CatArrayBatchedCopy_vectorizedINS1_10OpaqueTypeILj1EEEjLi2ELi64ELi64ELi16ELi16EEEvPcNS1_25CatArrInputTensorMetadataIT_T0_XT2_EXT3_EEENS1_16TensorSizeStrideIS8_Lj4EEEiS8_
    .private_segment_fixed_size: 0
    .sgpr_count:     24
    .sgpr_spill_count: 0
    .symbol:         _ZN2at6native12_GLOBAL__N_130CatArrayBatchedCopy_vectorizedINS1_10OpaqueTypeILj1EEEjLi2ELi64ELi64ELi16ELi16EEEvPcNS1_25CatArrInputTensorMetadataIT_T0_XT2_EXT3_EEENS1_16TensorSizeStrideIS8_Lj4EEEiS8_.kd
    .uniform_work_group_size: 1
    .uses_dynamic_stack: false
    .vgpr_count:     12
    .vgpr_spill_count: 0
    .wavefront_size: 64
  - .agpr_count:     0
    .args:
      - .address_space:  global
        .offset:         0
        .size:           8
        .value_kind:     global_buffer
      - .offset:         8
        .size:           3392
        .value_kind:     by_value
      - .offset:         3400
        .size:           32
        .value_kind:     by_value
      - .offset:         3432
        .size:           4
        .value_kind:     by_value
      - .offset:         3436
        .size:           4
        .value_kind:     by_value
      - .offset:         3440
        .size:           4
        .value_kind:     hidden_block_count_x
      - .offset:         3444
        .size:           4
        .value_kind:     hidden_block_count_y
      - .offset:         3448
        .size:           4
        .value_kind:     hidden_block_count_z
      - .offset:         3452
        .size:           2
        .value_kind:     hidden_group_size_x
      - .offset:         3454
        .size:           2
        .value_kind:     hidden_group_size_y
      - .offset:         3456
        .size:           2
        .value_kind:     hidden_group_size_z
      - .offset:         3458
        .size:           2
        .value_kind:     hidden_remainder_x
      - .offset:         3460
        .size:           2
        .value_kind:     hidden_remainder_y
      - .offset:         3462
        .size:           2
        .value_kind:     hidden_remainder_z
      - .offset:         3480
        .size:           8
        .value_kind:     hidden_global_offset_x
      - .offset:         3488
        .size:           8
        .value_kind:     hidden_global_offset_y
      - .offset:         3496
        .size:           8
        .value_kind:     hidden_global_offset_z
      - .offset:         3504
        .size:           2
        .value_kind:     hidden_grid_dims
    .group_segment_fixed_size: 0
    .kernarg_segment_align: 8
    .kernarg_segment_size: 3696
    .language:       OpenCL C
    .language_version:
      - 2
      - 0
    .max_flat_workgroup_size: 1024
    .name:           _ZN2at6native12_GLOBAL__N_135CatArrayBatchedCopy_alignedK_contigINS1_10OpaqueTypeILj1EEEjLi2ELi64ELi64ELi16EEEvPT_NS1_25CatArrInputTensorMetadataIS5_T0_XT2_EXT3_EEENS1_16TensorSizeStrideIS8_Lj4EEEiS8_
    .private_segment_fixed_size: 0
    .sgpr_count:     55
    .sgpr_spill_count: 0
    .symbol:         _ZN2at6native12_GLOBAL__N_135CatArrayBatchedCopy_alignedK_contigINS1_10OpaqueTypeILj1EEEjLi2ELi64ELi64ELi16EEEvPT_NS1_25CatArrInputTensorMetadataIS5_T0_XT2_EXT3_EEENS1_16TensorSizeStrideIS8_Lj4EEEiS8_.kd
    .uniform_work_group_size: 1
    .uses_dynamic_stack: false
    .vgpr_count:     81
    .vgpr_spill_count: 0
    .wavefront_size: 64
  - .agpr_count:     0
    .args:
      - .address_space:  global
        .offset:         0
        .size:           8
        .value_kind:     global_buffer
      - .offset:         8
        .size:           3392
        .value_kind:     by_value
      - .offset:         3400
        .size:           32
        .value_kind:     by_value
      - .offset:         3432
        .size:           4
        .value_kind:     by_value
      - .offset:         3436
        .size:           4
        .value_kind:     by_value
      - .offset:         3440
        .size:           4
        .value_kind:     hidden_block_count_x
      - .offset:         3444
        .size:           4
        .value_kind:     hidden_block_count_y
      - .offset:         3448
        .size:           4
        .value_kind:     hidden_block_count_z
      - .offset:         3452
        .size:           2
        .value_kind:     hidden_group_size_x
      - .offset:         3454
        .size:           2
        .value_kind:     hidden_group_size_y
      - .offset:         3456
        .size:           2
        .value_kind:     hidden_group_size_z
      - .offset:         3458
        .size:           2
        .value_kind:     hidden_remainder_x
      - .offset:         3460
        .size:           2
        .value_kind:     hidden_remainder_y
      - .offset:         3462
        .size:           2
        .value_kind:     hidden_remainder_z
      - .offset:         3480
        .size:           8
        .value_kind:     hidden_global_offset_x
      - .offset:         3488
        .size:           8
        .value_kind:     hidden_global_offset_y
      - .offset:         3496
        .size:           8
        .value_kind:     hidden_global_offset_z
      - .offset:         3504
        .size:           2
        .value_kind:     hidden_grid_dims
    .group_segment_fixed_size: 0
    .kernarg_segment_align: 8
    .kernarg_segment_size: 3696
    .language:       OpenCL C
    .language_version:
      - 2
      - 0
    .max_flat_workgroup_size: 1024
    .name:           _ZN2at6native12_GLOBAL__N_135CatArrayBatchedCopy_alignedK_contigINS1_10OpaqueTypeILj1EEEjLi2ELi64ELi64ELi8EEEvPT_NS1_25CatArrInputTensorMetadataIS5_T0_XT2_EXT3_EEENS1_16TensorSizeStrideIS8_Lj4EEEiS8_
    .private_segment_fixed_size: 0
    .sgpr_count:     38
    .sgpr_spill_count: 0
    .symbol:         _ZN2at6native12_GLOBAL__N_135CatArrayBatchedCopy_alignedK_contigINS1_10OpaqueTypeILj1EEEjLi2ELi64ELi64ELi8EEEvPT_NS1_25CatArrInputTensorMetadataIS5_T0_XT2_EXT3_EEENS1_16TensorSizeStrideIS8_Lj4EEEiS8_.kd
    .uniform_work_group_size: 1
    .uses_dynamic_stack: false
    .vgpr_count:     48
    .vgpr_spill_count: 0
    .wavefront_size: 64
  - .agpr_count:     0
    .args:
      - .address_space:  global
        .offset:         0
        .size:           8
        .value_kind:     global_buffer
      - .offset:         8
        .size:           3392
        .value_kind:     by_value
      - .offset:         3400
        .size:           32
        .value_kind:     by_value
      - .offset:         3432
        .size:           4
        .value_kind:     by_value
      - .offset:         3436
        .size:           4
        .value_kind:     by_value
      - .offset:         3440
        .size:           4
        .value_kind:     hidden_block_count_x
      - .offset:         3444
        .size:           4
        .value_kind:     hidden_block_count_y
      - .offset:         3448
        .size:           4
        .value_kind:     hidden_block_count_z
      - .offset:         3452
        .size:           2
        .value_kind:     hidden_group_size_x
      - .offset:         3454
        .size:           2
        .value_kind:     hidden_group_size_y
      - .offset:         3456
        .size:           2
        .value_kind:     hidden_group_size_z
      - .offset:         3458
        .size:           2
        .value_kind:     hidden_remainder_x
      - .offset:         3460
        .size:           2
        .value_kind:     hidden_remainder_y
      - .offset:         3462
        .size:           2
        .value_kind:     hidden_remainder_z
      - .offset:         3480
        .size:           8
        .value_kind:     hidden_global_offset_x
      - .offset:         3488
        .size:           8
        .value_kind:     hidden_global_offset_y
      - .offset:         3496
        .size:           8
        .value_kind:     hidden_global_offset_z
      - .offset:         3504
        .size:           2
        .value_kind:     hidden_grid_dims
    .group_segment_fixed_size: 0
    .kernarg_segment_align: 8
    .kernarg_segment_size: 3696
    .language:       OpenCL C
    .language_version:
      - 2
      - 0
    .max_flat_workgroup_size: 1024
    .name:           _ZN2at6native12_GLOBAL__N_126CatArrayBatchedCopy_contigINS1_10OpaqueTypeILj1EEEjLi2ELi64ELi64EEEvPT_NS1_25CatArrInputTensorMetadataIS5_T0_XT2_EXT3_EEENS1_16TensorSizeStrideIS8_Lj4EEEiS8_
    .private_segment_fixed_size: 0
    .sgpr_count:     24
    .sgpr_spill_count: 0
    .symbol:         _ZN2at6native12_GLOBAL__N_126CatArrayBatchedCopy_contigINS1_10OpaqueTypeILj1EEEjLi2ELi64ELi64EEEvPT_NS1_25CatArrInputTensorMetadataIS5_T0_XT2_EXT3_EEENS1_16TensorSizeStrideIS8_Lj4EEEiS8_.kd
    .uniform_work_group_size: 1
    .uses_dynamic_stack: false
    .vgpr_count:     8
    .vgpr_spill_count: 0
    .wavefront_size: 64
  - .agpr_count:     0
    .args:
      - .address_space:  global
        .offset:         0
        .size:           8
        .value_kind:     global_buffer
      - .offset:         8
        .size:           3392
        .value_kind:     by_value
      - .offset:         3400
        .size:           32
        .value_kind:     by_value
      - .offset:         3432
        .size:           4
        .value_kind:     by_value
      - .offset:         3436
        .size:           4
        .value_kind:     by_value
      - .offset:         3440
        .size:           4
        .value_kind:     hidden_block_count_x
      - .offset:         3444
        .size:           4
        .value_kind:     hidden_block_count_y
      - .offset:         3448
        .size:           4
        .value_kind:     hidden_block_count_z
      - .offset:         3452
        .size:           2
        .value_kind:     hidden_group_size_x
      - .offset:         3454
        .size:           2
        .value_kind:     hidden_group_size_y
      - .offset:         3456
        .size:           2
        .value_kind:     hidden_group_size_z
      - .offset:         3458
        .size:           2
        .value_kind:     hidden_remainder_x
      - .offset:         3460
        .size:           2
        .value_kind:     hidden_remainder_y
      - .offset:         3462
        .size:           2
        .value_kind:     hidden_remainder_z
      - .offset:         3480
        .size:           8
        .value_kind:     hidden_global_offset_x
      - .offset:         3488
        .size:           8
        .value_kind:     hidden_global_offset_y
      - .offset:         3496
        .size:           8
        .value_kind:     hidden_global_offset_z
      - .offset:         3504
        .size:           2
        .value_kind:     hidden_grid_dims
    .group_segment_fixed_size: 0
    .kernarg_segment_align: 8
    .kernarg_segment_size: 3696
    .language:       OpenCL C
    .language_version:
      - 2
      - 0
    .max_flat_workgroup_size: 1024
    .name:           _ZN2at6native12_GLOBAL__N_119CatArrayBatchedCopyINS1_10OpaqueTypeILj1EEEjLi2ELi64ELi64EEEvPT_NS1_25CatArrInputTensorMetadataIS5_T0_XT2_EXT3_EEENS1_16TensorSizeStrideIS8_Lj4EEEiS8_
    .private_segment_fixed_size: 0
    .sgpr_count:     31
    .sgpr_spill_count: 0
    .symbol:         _ZN2at6native12_GLOBAL__N_119CatArrayBatchedCopyINS1_10OpaqueTypeILj1EEEjLi2ELi64ELi64EEEvPT_NS1_25CatArrInputTensorMetadataIS5_T0_XT2_EXT3_EEENS1_16TensorSizeStrideIS8_Lj4EEEiS8_.kd
    .uniform_work_group_size: 1
    .uses_dynamic_stack: false
    .vgpr_count:     9
    .vgpr_spill_count: 0
    .wavefront_size: 64
  - .agpr_count:     0
    .args:
      - .address_space:  global
        .offset:         0
        .size:           8
        .value_kind:     global_buffer
      - .offset:         8
        .size:           3392
        .value_kind:     by_value
      - .offset:         3400
        .size:           32
        .value_kind:     by_value
      - .offset:         3432
        .size:           4
        .value_kind:     by_value
      - .offset:         3436
        .size:           4
        .value_kind:     by_value
      - .offset:         3440
        .size:           4
        .value_kind:     hidden_block_count_x
      - .offset:         3444
        .size:           4
        .value_kind:     hidden_block_count_y
      - .offset:         3448
        .size:           4
        .value_kind:     hidden_block_count_z
      - .offset:         3452
        .size:           2
        .value_kind:     hidden_group_size_x
      - .offset:         3454
        .size:           2
        .value_kind:     hidden_group_size_y
      - .offset:         3456
        .size:           2
        .value_kind:     hidden_group_size_z
      - .offset:         3458
        .size:           2
        .value_kind:     hidden_remainder_x
      - .offset:         3460
        .size:           2
        .value_kind:     hidden_remainder_y
      - .offset:         3462
        .size:           2
        .value_kind:     hidden_remainder_z
      - .offset:         3480
        .size:           8
        .value_kind:     hidden_global_offset_x
      - .offset:         3488
        .size:           8
        .value_kind:     hidden_global_offset_y
      - .offset:         3496
        .size:           8
        .value_kind:     hidden_global_offset_z
      - .offset:         3504
        .size:           2
        .value_kind:     hidden_grid_dims
    .group_segment_fixed_size: 0
    .kernarg_segment_align: 8
    .kernarg_segment_size: 3696
    .language:       OpenCL C
    .language_version:
      - 2
      - 0
    .max_flat_workgroup_size: 1024
    .name:           _ZN2at6native12_GLOBAL__N_130CatArrayBatchedCopy_vectorizedINS1_10OpaqueTypeILj1EEEjLi3ELi64ELi64ELi16ELi16EEEvPcNS1_25CatArrInputTensorMetadataIT_T0_XT2_EXT3_EEENS1_16TensorSizeStrideIS8_Lj4EEEiS8_
    .private_segment_fixed_size: 0
    .sgpr_count:     30
    .sgpr_spill_count: 0
    .symbol:         _ZN2at6native12_GLOBAL__N_130CatArrayBatchedCopy_vectorizedINS1_10OpaqueTypeILj1EEEjLi3ELi64ELi64ELi16ELi16EEEvPcNS1_25CatArrInputTensorMetadataIT_T0_XT2_EXT3_EEENS1_16TensorSizeStrideIS8_Lj4EEEiS8_.kd
    .uniform_work_group_size: 1
    .uses_dynamic_stack: false
    .vgpr_count:     14
    .vgpr_spill_count: 0
    .wavefront_size: 64
  - .agpr_count:     0
    .args:
      - .address_space:  global
        .offset:         0
        .size:           8
        .value_kind:     global_buffer
      - .offset:         8
        .size:           3392
        .value_kind:     by_value
      - .offset:         3400
        .size:           32
        .value_kind:     by_value
      - .offset:         3432
        .size:           4
        .value_kind:     by_value
      - .offset:         3436
        .size:           4
        .value_kind:     by_value
      - .offset:         3440
        .size:           4
        .value_kind:     hidden_block_count_x
      - .offset:         3444
        .size:           4
        .value_kind:     hidden_block_count_y
      - .offset:         3448
        .size:           4
        .value_kind:     hidden_block_count_z
      - .offset:         3452
        .size:           2
        .value_kind:     hidden_group_size_x
      - .offset:         3454
        .size:           2
        .value_kind:     hidden_group_size_y
      - .offset:         3456
        .size:           2
        .value_kind:     hidden_group_size_z
      - .offset:         3458
        .size:           2
        .value_kind:     hidden_remainder_x
      - .offset:         3460
        .size:           2
        .value_kind:     hidden_remainder_y
      - .offset:         3462
        .size:           2
        .value_kind:     hidden_remainder_z
      - .offset:         3480
        .size:           8
        .value_kind:     hidden_global_offset_x
      - .offset:         3488
        .size:           8
        .value_kind:     hidden_global_offset_y
      - .offset:         3496
        .size:           8
        .value_kind:     hidden_global_offset_z
      - .offset:         3504
        .size:           2
        .value_kind:     hidden_grid_dims
    .group_segment_fixed_size: 0
    .kernarg_segment_align: 8
    .kernarg_segment_size: 3696
    .language:       OpenCL C
    .language_version:
      - 2
      - 0
    .max_flat_workgroup_size: 1024
    .name:           _ZN2at6native12_GLOBAL__N_135CatArrayBatchedCopy_alignedK_contigINS1_10OpaqueTypeILj1EEEjLi3ELi64ELi64ELi16EEEvPT_NS1_25CatArrInputTensorMetadataIS5_T0_XT2_EXT3_EEENS1_16TensorSizeStrideIS8_Lj4EEEiS8_
    .private_segment_fixed_size: 0
    .sgpr_count:     42
    .sgpr_spill_count: 0
    .symbol:         _ZN2at6native12_GLOBAL__N_135CatArrayBatchedCopy_alignedK_contigINS1_10OpaqueTypeILj1EEEjLi3ELi64ELi64ELi16EEEvPT_NS1_25CatArrInputTensorMetadataIS5_T0_XT2_EXT3_EEENS1_16TensorSizeStrideIS8_Lj4EEEiS8_.kd
    .uniform_work_group_size: 1
    .uses_dynamic_stack: false
    .vgpr_count:     53
    .vgpr_spill_count: 0
    .wavefront_size: 64
  - .agpr_count:     0
    .args:
      - .address_space:  global
        .offset:         0
        .size:           8
        .value_kind:     global_buffer
      - .offset:         8
        .size:           3392
        .value_kind:     by_value
      - .offset:         3400
        .size:           32
        .value_kind:     by_value
      - .offset:         3432
        .size:           4
        .value_kind:     by_value
      - .offset:         3436
        .size:           4
        .value_kind:     by_value
      - .offset:         3440
        .size:           4
        .value_kind:     hidden_block_count_x
      - .offset:         3444
        .size:           4
        .value_kind:     hidden_block_count_y
      - .offset:         3448
        .size:           4
        .value_kind:     hidden_block_count_z
      - .offset:         3452
        .size:           2
        .value_kind:     hidden_group_size_x
      - .offset:         3454
        .size:           2
        .value_kind:     hidden_group_size_y
      - .offset:         3456
        .size:           2
        .value_kind:     hidden_group_size_z
      - .offset:         3458
        .size:           2
        .value_kind:     hidden_remainder_x
      - .offset:         3460
        .size:           2
        .value_kind:     hidden_remainder_y
      - .offset:         3462
        .size:           2
        .value_kind:     hidden_remainder_z
      - .offset:         3480
        .size:           8
        .value_kind:     hidden_global_offset_x
      - .offset:         3488
        .size:           8
        .value_kind:     hidden_global_offset_y
      - .offset:         3496
        .size:           8
        .value_kind:     hidden_global_offset_z
      - .offset:         3504
        .size:           2
        .value_kind:     hidden_grid_dims
    .group_segment_fixed_size: 0
    .kernarg_segment_align: 8
    .kernarg_segment_size: 3696
    .language:       OpenCL C
    .language_version:
      - 2
      - 0
    .max_flat_workgroup_size: 1024
    .name:           _ZN2at6native12_GLOBAL__N_135CatArrayBatchedCopy_alignedK_contigINS1_10OpaqueTypeILj1EEEjLi3ELi64ELi64ELi8EEEvPT_NS1_25CatArrInputTensorMetadataIS5_T0_XT2_EXT3_EEENS1_16TensorSizeStrideIS8_Lj4EEEiS8_
    .private_segment_fixed_size: 0
    .sgpr_count:     42
    .sgpr_spill_count: 0
    .symbol:         _ZN2at6native12_GLOBAL__N_135CatArrayBatchedCopy_alignedK_contigINS1_10OpaqueTypeILj1EEEjLi3ELi64ELi64ELi8EEEvPT_NS1_25CatArrInputTensorMetadataIS5_T0_XT2_EXT3_EEENS1_16TensorSizeStrideIS8_Lj4EEEiS8_.kd
    .uniform_work_group_size: 1
    .uses_dynamic_stack: false
    .vgpr_count:     52
    .vgpr_spill_count: 0
    .wavefront_size: 64
  - .agpr_count:     0
    .args:
      - .address_space:  global
        .offset:         0
        .size:           8
        .value_kind:     global_buffer
      - .offset:         8
        .size:           3392
        .value_kind:     by_value
      - .offset:         3400
        .size:           32
        .value_kind:     by_value
      - .offset:         3432
        .size:           4
        .value_kind:     by_value
      - .offset:         3436
        .size:           4
        .value_kind:     by_value
      - .offset:         3440
        .size:           4
        .value_kind:     hidden_block_count_x
      - .offset:         3444
        .size:           4
        .value_kind:     hidden_block_count_y
      - .offset:         3448
        .size:           4
        .value_kind:     hidden_block_count_z
      - .offset:         3452
        .size:           2
        .value_kind:     hidden_group_size_x
      - .offset:         3454
        .size:           2
        .value_kind:     hidden_group_size_y
      - .offset:         3456
        .size:           2
        .value_kind:     hidden_group_size_z
      - .offset:         3458
        .size:           2
        .value_kind:     hidden_remainder_x
      - .offset:         3460
        .size:           2
        .value_kind:     hidden_remainder_y
      - .offset:         3462
        .size:           2
        .value_kind:     hidden_remainder_z
      - .offset:         3480
        .size:           8
        .value_kind:     hidden_global_offset_x
      - .offset:         3488
        .size:           8
        .value_kind:     hidden_global_offset_y
      - .offset:         3496
        .size:           8
        .value_kind:     hidden_global_offset_z
      - .offset:         3504
        .size:           2
        .value_kind:     hidden_grid_dims
    .group_segment_fixed_size: 0
    .kernarg_segment_align: 8
    .kernarg_segment_size: 3696
    .language:       OpenCL C
    .language_version:
      - 2
      - 0
    .max_flat_workgroup_size: 1024
    .name:           _ZN2at6native12_GLOBAL__N_126CatArrayBatchedCopy_contigINS1_10OpaqueTypeILj1EEEjLi3ELi64ELi64EEEvPT_NS1_25CatArrInputTensorMetadataIS5_T0_XT2_EXT3_EEENS1_16TensorSizeStrideIS8_Lj4EEEiS8_
    .private_segment_fixed_size: 0
    .sgpr_count:     30
    .sgpr_spill_count: 0
    .symbol:         _ZN2at6native12_GLOBAL__N_126CatArrayBatchedCopy_contigINS1_10OpaqueTypeILj1EEEjLi3ELi64ELi64EEEvPT_NS1_25CatArrInputTensorMetadataIS5_T0_XT2_EXT3_EEENS1_16TensorSizeStrideIS8_Lj4EEEiS8_.kd
    .uniform_work_group_size: 1
    .uses_dynamic_stack: false
    .vgpr_count:     9
    .vgpr_spill_count: 0
    .wavefront_size: 64
  - .agpr_count:     0
    .args:
      - .address_space:  global
        .offset:         0
        .size:           8
        .value_kind:     global_buffer
      - .offset:         8
        .size:           3392
        .value_kind:     by_value
      - .offset:         3400
        .size:           32
        .value_kind:     by_value
      - .offset:         3432
        .size:           4
        .value_kind:     by_value
      - .offset:         3436
        .size:           4
        .value_kind:     by_value
      - .offset:         3440
        .size:           4
        .value_kind:     hidden_block_count_x
      - .offset:         3444
        .size:           4
        .value_kind:     hidden_block_count_y
      - .offset:         3448
        .size:           4
        .value_kind:     hidden_block_count_z
      - .offset:         3452
        .size:           2
        .value_kind:     hidden_group_size_x
      - .offset:         3454
        .size:           2
        .value_kind:     hidden_group_size_y
      - .offset:         3456
        .size:           2
        .value_kind:     hidden_group_size_z
      - .offset:         3458
        .size:           2
        .value_kind:     hidden_remainder_x
      - .offset:         3460
        .size:           2
        .value_kind:     hidden_remainder_y
      - .offset:         3462
        .size:           2
        .value_kind:     hidden_remainder_z
      - .offset:         3480
        .size:           8
        .value_kind:     hidden_global_offset_x
      - .offset:         3488
        .size:           8
        .value_kind:     hidden_global_offset_y
      - .offset:         3496
        .size:           8
        .value_kind:     hidden_global_offset_z
      - .offset:         3504
        .size:           2
        .value_kind:     hidden_grid_dims
    .group_segment_fixed_size: 0
    .kernarg_segment_align: 8
    .kernarg_segment_size: 3696
    .language:       OpenCL C
    .language_version:
      - 2
      - 0
    .max_flat_workgroup_size: 1024
    .name:           _ZN2at6native12_GLOBAL__N_119CatArrayBatchedCopyINS1_10OpaqueTypeILj1EEEjLi3ELi64ELi64EEEvPT_NS1_25CatArrInputTensorMetadataIS5_T0_XT2_EXT3_EEENS1_16TensorSizeStrideIS8_Lj4EEEiS8_
    .private_segment_fixed_size: 0
    .sgpr_count:     35
    .sgpr_spill_count: 0
    .symbol:         _ZN2at6native12_GLOBAL__N_119CatArrayBatchedCopyINS1_10OpaqueTypeILj1EEEjLi3ELi64ELi64EEEvPT_NS1_25CatArrInputTensorMetadataIS5_T0_XT2_EXT3_EEENS1_16TensorSizeStrideIS8_Lj4EEEiS8_.kd
    .uniform_work_group_size: 1
    .uses_dynamic_stack: false
    .vgpr_count:     12
    .vgpr_spill_count: 0
    .wavefront_size: 64
  - .agpr_count:     0
    .args:
      - .address_space:  global
        .offset:         0
        .size:           8
        .value_kind:     global_buffer
      - .offset:         8
        .size:           3392
        .value_kind:     by_value
      - .offset:         3400
        .size:           32
        .value_kind:     by_value
      - .offset:         3432
        .size:           4
        .value_kind:     by_value
      - .offset:         3436
        .size:           4
        .value_kind:     by_value
      - .offset:         3440
        .size:           4
        .value_kind:     hidden_block_count_x
      - .offset:         3444
        .size:           4
        .value_kind:     hidden_block_count_y
      - .offset:         3448
        .size:           4
        .value_kind:     hidden_block_count_z
      - .offset:         3452
        .size:           2
        .value_kind:     hidden_group_size_x
      - .offset:         3454
        .size:           2
        .value_kind:     hidden_group_size_y
      - .offset:         3456
        .size:           2
        .value_kind:     hidden_group_size_z
      - .offset:         3458
        .size:           2
        .value_kind:     hidden_remainder_x
      - .offset:         3460
        .size:           2
        .value_kind:     hidden_remainder_y
      - .offset:         3462
        .size:           2
        .value_kind:     hidden_remainder_z
      - .offset:         3480
        .size:           8
        .value_kind:     hidden_global_offset_x
      - .offset:         3488
        .size:           8
        .value_kind:     hidden_global_offset_y
      - .offset:         3496
        .size:           8
        .value_kind:     hidden_global_offset_z
      - .offset:         3504
        .size:           2
        .value_kind:     hidden_grid_dims
    .group_segment_fixed_size: 0
    .kernarg_segment_align: 8
    .kernarg_segment_size: 3696
    .language:       OpenCL C
    .language_version:
      - 2
      - 0
    .max_flat_workgroup_size: 1024
    .name:           _ZN2at6native12_GLOBAL__N_130CatArrayBatchedCopy_vectorizedINS1_10OpaqueTypeILj1EEEjLi4ELi64ELi64ELi16ELi16EEEvPcNS1_25CatArrInputTensorMetadataIT_T0_XT2_EXT3_EEENS1_16TensorSizeStrideIS8_Lj4EEEiS8_
    .private_segment_fixed_size: 0
    .sgpr_count:     30
    .sgpr_spill_count: 0
    .symbol:         _ZN2at6native12_GLOBAL__N_130CatArrayBatchedCopy_vectorizedINS1_10OpaqueTypeILj1EEEjLi4ELi64ELi64ELi16ELi16EEEvPcNS1_25CatArrInputTensorMetadataIT_T0_XT2_EXT3_EEENS1_16TensorSizeStrideIS8_Lj4EEEiS8_.kd
    .uniform_work_group_size: 1
    .uses_dynamic_stack: false
    .vgpr_count:     16
    .vgpr_spill_count: 0
    .wavefront_size: 64
  - .agpr_count:     0
    .args:
      - .address_space:  global
        .offset:         0
        .size:           8
        .value_kind:     global_buffer
      - .offset:         8
        .size:           3392
        .value_kind:     by_value
      - .offset:         3400
        .size:           32
        .value_kind:     by_value
      - .offset:         3432
        .size:           4
        .value_kind:     by_value
      - .offset:         3436
        .size:           4
        .value_kind:     by_value
      - .offset:         3440
        .size:           4
        .value_kind:     hidden_block_count_x
      - .offset:         3444
        .size:           4
        .value_kind:     hidden_block_count_y
      - .offset:         3448
        .size:           4
        .value_kind:     hidden_block_count_z
      - .offset:         3452
        .size:           2
        .value_kind:     hidden_group_size_x
      - .offset:         3454
        .size:           2
        .value_kind:     hidden_group_size_y
      - .offset:         3456
        .size:           2
        .value_kind:     hidden_group_size_z
      - .offset:         3458
        .size:           2
        .value_kind:     hidden_remainder_x
      - .offset:         3460
        .size:           2
        .value_kind:     hidden_remainder_y
      - .offset:         3462
        .size:           2
        .value_kind:     hidden_remainder_z
      - .offset:         3480
        .size:           8
        .value_kind:     hidden_global_offset_x
      - .offset:         3488
        .size:           8
        .value_kind:     hidden_global_offset_y
      - .offset:         3496
        .size:           8
        .value_kind:     hidden_global_offset_z
      - .offset:         3504
        .size:           2
        .value_kind:     hidden_grid_dims
    .group_segment_fixed_size: 0
    .kernarg_segment_align: 8
    .kernarg_segment_size: 3696
    .language:       OpenCL C
    .language_version:
      - 2
      - 0
    .max_flat_workgroup_size: 1024
    .name:           _ZN2at6native12_GLOBAL__N_135CatArrayBatchedCopy_alignedK_contigINS1_10OpaqueTypeILj1EEEjLi4ELi64ELi64ELi16EEEvPT_NS1_25CatArrInputTensorMetadataIS5_T0_XT2_EXT3_EEENS1_16TensorSizeStrideIS8_Lj4EEEiS8_
    .private_segment_fixed_size: 0
    .sgpr_count:     36
    .sgpr_spill_count: 0
    .symbol:         _ZN2at6native12_GLOBAL__N_135CatArrayBatchedCopy_alignedK_contigINS1_10OpaqueTypeILj1EEEjLi4ELi64ELi64ELi16EEEvPT_NS1_25CatArrInputTensorMetadataIS5_T0_XT2_EXT3_EEENS1_16TensorSizeStrideIS8_Lj4EEEiS8_.kd
    .uniform_work_group_size: 1
    .uses_dynamic_stack: false
    .vgpr_count:     50
    .vgpr_spill_count: 0
    .wavefront_size: 64
  - .agpr_count:     0
    .args:
      - .address_space:  global
        .offset:         0
        .size:           8
        .value_kind:     global_buffer
      - .offset:         8
        .size:           3392
        .value_kind:     by_value
      - .offset:         3400
        .size:           32
        .value_kind:     by_value
      - .offset:         3432
        .size:           4
        .value_kind:     by_value
      - .offset:         3436
        .size:           4
        .value_kind:     by_value
      - .offset:         3440
        .size:           4
        .value_kind:     hidden_block_count_x
      - .offset:         3444
        .size:           4
        .value_kind:     hidden_block_count_y
      - .offset:         3448
        .size:           4
        .value_kind:     hidden_block_count_z
      - .offset:         3452
        .size:           2
        .value_kind:     hidden_group_size_x
      - .offset:         3454
        .size:           2
        .value_kind:     hidden_group_size_y
      - .offset:         3456
        .size:           2
        .value_kind:     hidden_group_size_z
      - .offset:         3458
        .size:           2
        .value_kind:     hidden_remainder_x
      - .offset:         3460
        .size:           2
        .value_kind:     hidden_remainder_y
      - .offset:         3462
        .size:           2
        .value_kind:     hidden_remainder_z
      - .offset:         3480
        .size:           8
        .value_kind:     hidden_global_offset_x
      - .offset:         3488
        .size:           8
        .value_kind:     hidden_global_offset_y
      - .offset:         3496
        .size:           8
        .value_kind:     hidden_global_offset_z
      - .offset:         3504
        .size:           2
        .value_kind:     hidden_grid_dims
    .group_segment_fixed_size: 0
    .kernarg_segment_align: 8
    .kernarg_segment_size: 3696
    .language:       OpenCL C
    .language_version:
      - 2
      - 0
    .max_flat_workgroup_size: 1024
    .name:           _ZN2at6native12_GLOBAL__N_135CatArrayBatchedCopy_alignedK_contigINS1_10OpaqueTypeILj1EEEjLi4ELi64ELi64ELi8EEEvPT_NS1_25CatArrInputTensorMetadataIS5_T0_XT2_EXT3_EEENS1_16TensorSizeStrideIS8_Lj4EEEiS8_
    .private_segment_fixed_size: 0
    .sgpr_count:     35
    .sgpr_spill_count: 0
    .symbol:         _ZN2at6native12_GLOBAL__N_135CatArrayBatchedCopy_alignedK_contigINS1_10OpaqueTypeILj1EEEjLi4ELi64ELi64ELi8EEEvPT_NS1_25CatArrInputTensorMetadataIS5_T0_XT2_EXT3_EEENS1_16TensorSizeStrideIS8_Lj4EEEiS8_.kd
    .uniform_work_group_size: 1
    .uses_dynamic_stack: false
    .vgpr_count:     23
    .vgpr_spill_count: 0
    .wavefront_size: 64
  - .agpr_count:     0
    .args:
      - .address_space:  global
        .offset:         0
        .size:           8
        .value_kind:     global_buffer
      - .offset:         8
        .size:           3392
        .value_kind:     by_value
      - .offset:         3400
        .size:           32
        .value_kind:     by_value
      - .offset:         3432
        .size:           4
        .value_kind:     by_value
      - .offset:         3436
        .size:           4
        .value_kind:     by_value
      - .offset:         3440
        .size:           4
        .value_kind:     hidden_block_count_x
      - .offset:         3444
        .size:           4
        .value_kind:     hidden_block_count_y
      - .offset:         3448
        .size:           4
        .value_kind:     hidden_block_count_z
      - .offset:         3452
        .size:           2
        .value_kind:     hidden_group_size_x
      - .offset:         3454
        .size:           2
        .value_kind:     hidden_group_size_y
      - .offset:         3456
        .size:           2
        .value_kind:     hidden_group_size_z
      - .offset:         3458
        .size:           2
        .value_kind:     hidden_remainder_x
      - .offset:         3460
        .size:           2
        .value_kind:     hidden_remainder_y
      - .offset:         3462
        .size:           2
        .value_kind:     hidden_remainder_z
      - .offset:         3480
        .size:           8
        .value_kind:     hidden_global_offset_x
      - .offset:         3488
        .size:           8
        .value_kind:     hidden_global_offset_y
      - .offset:         3496
        .size:           8
        .value_kind:     hidden_global_offset_z
      - .offset:         3504
        .size:           2
        .value_kind:     hidden_grid_dims
    .group_segment_fixed_size: 0
    .kernarg_segment_align: 8
    .kernarg_segment_size: 3696
    .language:       OpenCL C
    .language_version:
      - 2
      - 0
    .max_flat_workgroup_size: 1024
    .name:           _ZN2at6native12_GLOBAL__N_126CatArrayBatchedCopy_contigINS1_10OpaqueTypeILj1EEEjLi4ELi64ELi64EEEvPT_NS1_25CatArrInputTensorMetadataIS5_T0_XT2_EXT3_EEENS1_16TensorSizeStrideIS8_Lj4EEEiS8_
    .private_segment_fixed_size: 0
    .sgpr_count:     33
    .sgpr_spill_count: 0
    .symbol:         _ZN2at6native12_GLOBAL__N_126CatArrayBatchedCopy_contigINS1_10OpaqueTypeILj1EEEjLi4ELi64ELi64EEEvPT_NS1_25CatArrInputTensorMetadataIS5_T0_XT2_EXT3_EEENS1_16TensorSizeStrideIS8_Lj4EEEiS8_.kd
    .uniform_work_group_size: 1
    .uses_dynamic_stack: false
    .vgpr_count:     12
    .vgpr_spill_count: 0
    .wavefront_size: 64
  - .agpr_count:     0
    .args:
      - .address_space:  global
        .offset:         0
        .size:           8
        .value_kind:     global_buffer
      - .offset:         8
        .size:           3392
        .value_kind:     by_value
      - .offset:         3400
        .size:           32
        .value_kind:     by_value
      - .offset:         3432
        .size:           4
        .value_kind:     by_value
      - .offset:         3436
        .size:           4
        .value_kind:     by_value
      - .offset:         3440
        .size:           4
        .value_kind:     hidden_block_count_x
      - .offset:         3444
        .size:           4
        .value_kind:     hidden_block_count_y
      - .offset:         3448
        .size:           4
        .value_kind:     hidden_block_count_z
      - .offset:         3452
        .size:           2
        .value_kind:     hidden_group_size_x
      - .offset:         3454
        .size:           2
        .value_kind:     hidden_group_size_y
      - .offset:         3456
        .size:           2
        .value_kind:     hidden_group_size_z
      - .offset:         3458
        .size:           2
        .value_kind:     hidden_remainder_x
      - .offset:         3460
        .size:           2
        .value_kind:     hidden_remainder_y
      - .offset:         3462
        .size:           2
        .value_kind:     hidden_remainder_z
      - .offset:         3480
        .size:           8
        .value_kind:     hidden_global_offset_x
      - .offset:         3488
        .size:           8
        .value_kind:     hidden_global_offset_y
      - .offset:         3496
        .size:           8
        .value_kind:     hidden_global_offset_z
      - .offset:         3504
        .size:           2
        .value_kind:     hidden_grid_dims
    .group_segment_fixed_size: 0
    .kernarg_segment_align: 8
    .kernarg_segment_size: 3696
    .language:       OpenCL C
    .language_version:
      - 2
      - 0
    .max_flat_workgroup_size: 1024
    .name:           _ZN2at6native12_GLOBAL__N_119CatArrayBatchedCopyINS1_10OpaqueTypeILj1EEEjLi4ELi64ELi64EEEvPT_NS1_25CatArrInputTensorMetadataIS5_T0_XT2_EXT3_EEENS1_16TensorSizeStrideIS8_Lj4EEEiS8_
    .private_segment_fixed_size: 0
    .sgpr_count:     38
    .sgpr_spill_count: 0
    .symbol:         _ZN2at6native12_GLOBAL__N_119CatArrayBatchedCopyINS1_10OpaqueTypeILj1EEEjLi4ELi64ELi64EEEvPT_NS1_25CatArrInputTensorMetadataIS5_T0_XT2_EXT3_EEENS1_16TensorSizeStrideIS8_Lj4EEEiS8_.kd
    .uniform_work_group_size: 1
    .uses_dynamic_stack: false
    .vgpr_count:     15
    .vgpr_spill_count: 0
    .wavefront_size: 64
  - .agpr_count:     0
    .args:
      - .address_space:  global
        .offset:         0
        .size:           8
        .value_kind:     global_buffer
      - .offset:         8
        .size:           3392
        .value_kind:     by_value
      - .offset:         3400
        .size:           32
        .value_kind:     by_value
      - .offset:         3432
        .size:           4
        .value_kind:     by_value
      - .offset:         3436
        .size:           4
        .value_kind:     by_value
      - .offset:         3440
        .size:           4
        .value_kind:     hidden_block_count_x
      - .offset:         3444
        .size:           4
        .value_kind:     hidden_block_count_y
      - .offset:         3448
        .size:           4
        .value_kind:     hidden_block_count_z
      - .offset:         3452
        .size:           2
        .value_kind:     hidden_group_size_x
      - .offset:         3454
        .size:           2
        .value_kind:     hidden_group_size_y
      - .offset:         3456
        .size:           2
        .value_kind:     hidden_group_size_z
      - .offset:         3458
        .size:           2
        .value_kind:     hidden_remainder_x
      - .offset:         3460
        .size:           2
        .value_kind:     hidden_remainder_y
      - .offset:         3462
        .size:           2
        .value_kind:     hidden_remainder_z
      - .offset:         3480
        .size:           8
        .value_kind:     hidden_global_offset_x
      - .offset:         3488
        .size:           8
        .value_kind:     hidden_global_offset_y
      - .offset:         3496
        .size:           8
        .value_kind:     hidden_global_offset_z
      - .offset:         3504
        .size:           2
        .value_kind:     hidden_grid_dims
    .group_segment_fixed_size: 0
    .kernarg_segment_align: 8
    .kernarg_segment_size: 3696
    .language:       OpenCL C
    .language_version:
      - 2
      - 0
    .max_flat_workgroup_size: 1024
    .name:           _ZN2at6native12_GLOBAL__N_130CatArrayBatchedCopy_vectorizedINS1_10OpaqueTypeILj2EEEjLi1ELi64ELi64ELi16ELi8EEEvPcNS1_25CatArrInputTensorMetadataIT_T0_XT2_EXT3_EEENS1_16TensorSizeStrideIS8_Lj4EEEiS8_
    .private_segment_fixed_size: 0
    .sgpr_count:     25
    .sgpr_spill_count: 0
    .symbol:         _ZN2at6native12_GLOBAL__N_130CatArrayBatchedCopy_vectorizedINS1_10OpaqueTypeILj2EEEjLi1ELi64ELi64ELi16ELi8EEEvPcNS1_25CatArrInputTensorMetadataIT_T0_XT2_EXT3_EEENS1_16TensorSizeStrideIS8_Lj4EEEiS8_.kd
    .uniform_work_group_size: 1
    .uses_dynamic_stack: false
    .vgpr_count:     10
    .vgpr_spill_count: 0
    .wavefront_size: 64
  - .agpr_count:     0
    .args:
      - .address_space:  global
        .offset:         0
        .size:           8
        .value_kind:     global_buffer
      - .offset:         8
        .size:           3392
        .value_kind:     by_value
      - .offset:         3400
        .size:           32
        .value_kind:     by_value
      - .offset:         3432
        .size:           4
        .value_kind:     by_value
      - .offset:         3436
        .size:           4
        .value_kind:     by_value
      - .offset:         3440
        .size:           4
        .value_kind:     hidden_block_count_x
      - .offset:         3444
        .size:           4
        .value_kind:     hidden_block_count_y
      - .offset:         3448
        .size:           4
        .value_kind:     hidden_block_count_z
      - .offset:         3452
        .size:           2
        .value_kind:     hidden_group_size_x
      - .offset:         3454
        .size:           2
        .value_kind:     hidden_group_size_y
      - .offset:         3456
        .size:           2
        .value_kind:     hidden_group_size_z
      - .offset:         3458
        .size:           2
        .value_kind:     hidden_remainder_x
      - .offset:         3460
        .size:           2
        .value_kind:     hidden_remainder_y
      - .offset:         3462
        .size:           2
        .value_kind:     hidden_remainder_z
      - .offset:         3480
        .size:           8
        .value_kind:     hidden_global_offset_x
      - .offset:         3488
        .size:           8
        .value_kind:     hidden_global_offset_y
      - .offset:         3496
        .size:           8
        .value_kind:     hidden_global_offset_z
      - .offset:         3504
        .size:           2
        .value_kind:     hidden_grid_dims
    .group_segment_fixed_size: 0
    .kernarg_segment_align: 8
    .kernarg_segment_size: 3696
    .language:       OpenCL C
    .language_version:
      - 2
      - 0
    .max_flat_workgroup_size: 1024
    .name:           _ZN2at6native12_GLOBAL__N_135CatArrayBatchedCopy_alignedK_contigINS1_10OpaqueTypeILj2EEEjLi1ELi64ELi64ELi16EEEvPT_NS1_25CatArrInputTensorMetadataIS5_T0_XT2_EXT3_EEENS1_16TensorSizeStrideIS8_Lj4EEEiS8_
    .private_segment_fixed_size: 0
    .sgpr_count:     23
    .sgpr_spill_count: 0
    .symbol:         _ZN2at6native12_GLOBAL__N_135CatArrayBatchedCopy_alignedK_contigINS1_10OpaqueTypeILj2EEEjLi1ELi64ELi64ELi16EEEvPT_NS1_25CatArrInputTensorMetadataIS5_T0_XT2_EXT3_EEENS1_16TensorSizeStrideIS8_Lj4EEEiS8_.kd
    .uniform_work_group_size: 1
    .uses_dynamic_stack: false
    .vgpr_count:     31
    .vgpr_spill_count: 0
    .wavefront_size: 64
  - .agpr_count:     0
    .args:
      - .address_space:  global
        .offset:         0
        .size:           8
        .value_kind:     global_buffer
      - .offset:         8
        .size:           3392
        .value_kind:     by_value
      - .offset:         3400
        .size:           32
        .value_kind:     by_value
      - .offset:         3432
        .size:           4
        .value_kind:     by_value
      - .offset:         3436
        .size:           4
        .value_kind:     by_value
      - .offset:         3440
        .size:           4
        .value_kind:     hidden_block_count_x
      - .offset:         3444
        .size:           4
        .value_kind:     hidden_block_count_y
      - .offset:         3448
        .size:           4
        .value_kind:     hidden_block_count_z
      - .offset:         3452
        .size:           2
        .value_kind:     hidden_group_size_x
      - .offset:         3454
        .size:           2
        .value_kind:     hidden_group_size_y
      - .offset:         3456
        .size:           2
        .value_kind:     hidden_group_size_z
      - .offset:         3458
        .size:           2
        .value_kind:     hidden_remainder_x
      - .offset:         3460
        .size:           2
        .value_kind:     hidden_remainder_y
      - .offset:         3462
        .size:           2
        .value_kind:     hidden_remainder_z
      - .offset:         3480
        .size:           8
        .value_kind:     hidden_global_offset_x
      - .offset:         3488
        .size:           8
        .value_kind:     hidden_global_offset_y
      - .offset:         3496
        .size:           8
        .value_kind:     hidden_global_offset_z
      - .offset:         3504
        .size:           2
        .value_kind:     hidden_grid_dims
    .group_segment_fixed_size: 0
    .kernarg_segment_align: 8
    .kernarg_segment_size: 3696
    .language:       OpenCL C
    .language_version:
      - 2
      - 0
    .max_flat_workgroup_size: 1024
    .name:           _ZN2at6native12_GLOBAL__N_135CatArrayBatchedCopy_alignedK_contigINS1_10OpaqueTypeILj2EEEjLi1ELi64ELi64ELi8EEEvPT_NS1_25CatArrInputTensorMetadataIS5_T0_XT2_EXT3_EEENS1_16TensorSizeStrideIS8_Lj4EEEiS8_
    .private_segment_fixed_size: 0
    .sgpr_count:     23
    .sgpr_spill_count: 0
    .symbol:         _ZN2at6native12_GLOBAL__N_135CatArrayBatchedCopy_alignedK_contigINS1_10OpaqueTypeILj2EEEjLi1ELi64ELi64ELi8EEEvPT_NS1_25CatArrInputTensorMetadataIS5_T0_XT2_EXT3_EEENS1_16TensorSizeStrideIS8_Lj4EEEiS8_.kd
    .uniform_work_group_size: 1
    .uses_dynamic_stack: false
    .vgpr_count:     17
    .vgpr_spill_count: 0
    .wavefront_size: 64
  - .agpr_count:     0
    .args:
      - .address_space:  global
        .offset:         0
        .size:           8
        .value_kind:     global_buffer
      - .offset:         8
        .size:           3392
        .value_kind:     by_value
      - .offset:         3400
        .size:           32
        .value_kind:     by_value
      - .offset:         3432
        .size:           4
        .value_kind:     by_value
      - .offset:         3436
        .size:           4
        .value_kind:     by_value
      - .offset:         3440
        .size:           4
        .value_kind:     hidden_block_count_x
      - .offset:         3444
        .size:           4
        .value_kind:     hidden_block_count_y
      - .offset:         3448
        .size:           4
        .value_kind:     hidden_block_count_z
      - .offset:         3452
        .size:           2
        .value_kind:     hidden_group_size_x
      - .offset:         3454
        .size:           2
        .value_kind:     hidden_group_size_y
      - .offset:         3456
        .size:           2
        .value_kind:     hidden_group_size_z
      - .offset:         3458
        .size:           2
        .value_kind:     hidden_remainder_x
      - .offset:         3460
        .size:           2
        .value_kind:     hidden_remainder_y
      - .offset:         3462
        .size:           2
        .value_kind:     hidden_remainder_z
      - .offset:         3480
        .size:           8
        .value_kind:     hidden_global_offset_x
      - .offset:         3488
        .size:           8
        .value_kind:     hidden_global_offset_y
      - .offset:         3496
        .size:           8
        .value_kind:     hidden_global_offset_z
      - .offset:         3504
        .size:           2
        .value_kind:     hidden_grid_dims
    .group_segment_fixed_size: 0
    .kernarg_segment_align: 8
    .kernarg_segment_size: 3696
    .language:       OpenCL C
    .language_version:
      - 2
      - 0
    .max_flat_workgroup_size: 1024
    .name:           _ZN2at6native12_GLOBAL__N_126CatArrayBatchedCopy_contigINS1_10OpaqueTypeILj2EEEjLi1ELi64ELi64EEEvPT_NS1_25CatArrInputTensorMetadataIS5_T0_XT2_EXT3_EEENS1_16TensorSizeStrideIS8_Lj4EEEiS8_
    .private_segment_fixed_size: 0
    .sgpr_count:     22
    .sgpr_spill_count: 0
    .symbol:         _ZN2at6native12_GLOBAL__N_126CatArrayBatchedCopy_contigINS1_10OpaqueTypeILj2EEEjLi1ELi64ELi64EEEvPT_NS1_25CatArrInputTensorMetadataIS5_T0_XT2_EXT3_EEENS1_16TensorSizeStrideIS8_Lj4EEEiS8_.kd
    .uniform_work_group_size: 1
    .uses_dynamic_stack: false
    .vgpr_count:     7
    .vgpr_spill_count: 0
    .wavefront_size: 64
  - .agpr_count:     0
    .args:
      - .address_space:  global
        .offset:         0
        .size:           8
        .value_kind:     global_buffer
      - .offset:         8
        .size:           3392
        .value_kind:     by_value
      - .offset:         3400
        .size:           32
        .value_kind:     by_value
      - .offset:         3432
        .size:           4
        .value_kind:     by_value
      - .offset:         3436
        .size:           4
        .value_kind:     by_value
      - .offset:         3440
        .size:           4
        .value_kind:     hidden_block_count_x
      - .offset:         3444
        .size:           4
        .value_kind:     hidden_block_count_y
      - .offset:         3448
        .size:           4
        .value_kind:     hidden_block_count_z
      - .offset:         3452
        .size:           2
        .value_kind:     hidden_group_size_x
      - .offset:         3454
        .size:           2
        .value_kind:     hidden_group_size_y
      - .offset:         3456
        .size:           2
        .value_kind:     hidden_group_size_z
      - .offset:         3458
        .size:           2
        .value_kind:     hidden_remainder_x
      - .offset:         3460
        .size:           2
        .value_kind:     hidden_remainder_y
      - .offset:         3462
        .size:           2
        .value_kind:     hidden_remainder_z
      - .offset:         3480
        .size:           8
        .value_kind:     hidden_global_offset_x
      - .offset:         3488
        .size:           8
        .value_kind:     hidden_global_offset_y
      - .offset:         3496
        .size:           8
        .value_kind:     hidden_global_offset_z
      - .offset:         3504
        .size:           2
        .value_kind:     hidden_grid_dims
    .group_segment_fixed_size: 0
    .kernarg_segment_align: 8
    .kernarg_segment_size: 3696
    .language:       OpenCL C
    .language_version:
      - 2
      - 0
    .max_flat_workgroup_size: 1024
    .name:           _ZN2at6native12_GLOBAL__N_119CatArrayBatchedCopyINS1_10OpaqueTypeILj2EEEjLi1ELi64ELi64EEEvPT_NS1_25CatArrInputTensorMetadataIS5_T0_XT2_EXT3_EEENS1_16TensorSizeStrideIS8_Lj4EEEiS8_
    .private_segment_fixed_size: 0
    .sgpr_count:     25
    .sgpr_spill_count: 0
    .symbol:         _ZN2at6native12_GLOBAL__N_119CatArrayBatchedCopyINS1_10OpaqueTypeILj2EEEjLi1ELi64ELi64EEEvPT_NS1_25CatArrInputTensorMetadataIS5_T0_XT2_EXT3_EEENS1_16TensorSizeStrideIS8_Lj4EEEiS8_.kd
    .uniform_work_group_size: 1
    .uses_dynamic_stack: false
    .vgpr_count:     8
    .vgpr_spill_count: 0
    .wavefront_size: 64
  - .agpr_count:     0
    .args:
      - .address_space:  global
        .offset:         0
        .size:           8
        .value_kind:     global_buffer
      - .offset:         8
        .size:           3392
        .value_kind:     by_value
      - .offset:         3400
        .size:           32
        .value_kind:     by_value
      - .offset:         3432
        .size:           4
        .value_kind:     by_value
      - .offset:         3436
        .size:           4
        .value_kind:     by_value
      - .offset:         3440
        .size:           4
        .value_kind:     hidden_block_count_x
      - .offset:         3444
        .size:           4
        .value_kind:     hidden_block_count_y
      - .offset:         3448
        .size:           4
        .value_kind:     hidden_block_count_z
      - .offset:         3452
        .size:           2
        .value_kind:     hidden_group_size_x
      - .offset:         3454
        .size:           2
        .value_kind:     hidden_group_size_y
      - .offset:         3456
        .size:           2
        .value_kind:     hidden_group_size_z
      - .offset:         3458
        .size:           2
        .value_kind:     hidden_remainder_x
      - .offset:         3460
        .size:           2
        .value_kind:     hidden_remainder_y
      - .offset:         3462
        .size:           2
        .value_kind:     hidden_remainder_z
      - .offset:         3480
        .size:           8
        .value_kind:     hidden_global_offset_x
      - .offset:         3488
        .size:           8
        .value_kind:     hidden_global_offset_y
      - .offset:         3496
        .size:           8
        .value_kind:     hidden_global_offset_z
      - .offset:         3504
        .size:           2
        .value_kind:     hidden_grid_dims
    .group_segment_fixed_size: 0
    .kernarg_segment_align: 8
    .kernarg_segment_size: 3696
    .language:       OpenCL C
    .language_version:
      - 2
      - 0
    .max_flat_workgroup_size: 1024
    .name:           _ZN2at6native12_GLOBAL__N_130CatArrayBatchedCopy_vectorizedINS1_10OpaqueTypeILj2EEEjLi2ELi64ELi64ELi16ELi8EEEvPcNS1_25CatArrInputTensorMetadataIT_T0_XT2_EXT3_EEENS1_16TensorSizeStrideIS8_Lj4EEEiS8_
    .private_segment_fixed_size: 0
    .sgpr_count:     24
    .sgpr_spill_count: 0
    .symbol:         _ZN2at6native12_GLOBAL__N_130CatArrayBatchedCopy_vectorizedINS1_10OpaqueTypeILj2EEEjLi2ELi64ELi64ELi16ELi8EEEvPcNS1_25CatArrInputTensorMetadataIT_T0_XT2_EXT3_EEENS1_16TensorSizeStrideIS8_Lj4EEEiS8_.kd
    .uniform_work_group_size: 1
    .uses_dynamic_stack: false
    .vgpr_count:     12
    .vgpr_spill_count: 0
    .wavefront_size: 64
  - .agpr_count:     0
    .args:
      - .address_space:  global
        .offset:         0
        .size:           8
        .value_kind:     global_buffer
      - .offset:         8
        .size:           3392
        .value_kind:     by_value
      - .offset:         3400
        .size:           32
        .value_kind:     by_value
      - .offset:         3432
        .size:           4
        .value_kind:     by_value
      - .offset:         3436
        .size:           4
        .value_kind:     by_value
      - .offset:         3440
        .size:           4
        .value_kind:     hidden_block_count_x
      - .offset:         3444
        .size:           4
        .value_kind:     hidden_block_count_y
      - .offset:         3448
        .size:           4
        .value_kind:     hidden_block_count_z
      - .offset:         3452
        .size:           2
        .value_kind:     hidden_group_size_x
      - .offset:         3454
        .size:           2
        .value_kind:     hidden_group_size_y
      - .offset:         3456
        .size:           2
        .value_kind:     hidden_group_size_z
      - .offset:         3458
        .size:           2
        .value_kind:     hidden_remainder_x
      - .offset:         3460
        .size:           2
        .value_kind:     hidden_remainder_y
      - .offset:         3462
        .size:           2
        .value_kind:     hidden_remainder_z
      - .offset:         3480
        .size:           8
        .value_kind:     hidden_global_offset_x
      - .offset:         3488
        .size:           8
        .value_kind:     hidden_global_offset_y
      - .offset:         3496
        .size:           8
        .value_kind:     hidden_global_offset_z
      - .offset:         3504
        .size:           2
        .value_kind:     hidden_grid_dims
    .group_segment_fixed_size: 0
    .kernarg_segment_align: 8
    .kernarg_segment_size: 3696
    .language:       OpenCL C
    .language_version:
      - 2
      - 0
    .max_flat_workgroup_size: 1024
    .name:           _ZN2at6native12_GLOBAL__N_135CatArrayBatchedCopy_alignedK_contigINS1_10OpaqueTypeILj2EEEjLi2ELi64ELi64ELi16EEEvPT_NS1_25CatArrInputTensorMetadataIS5_T0_XT2_EXT3_EEENS1_16TensorSizeStrideIS8_Lj4EEEiS8_
    .private_segment_fixed_size: 0
    .sgpr_count:     38
    .sgpr_spill_count: 0
    .symbol:         _ZN2at6native12_GLOBAL__N_135CatArrayBatchedCopy_alignedK_contigINS1_10OpaqueTypeILj2EEEjLi2ELi64ELi64ELi16EEEvPT_NS1_25CatArrInputTensorMetadataIS5_T0_XT2_EXT3_EEENS1_16TensorSizeStrideIS8_Lj4EEEiS8_.kd
    .uniform_work_group_size: 1
    .uses_dynamic_stack: false
    .vgpr_count:     47
    .vgpr_spill_count: 0
    .wavefront_size: 64
  - .agpr_count:     0
    .args:
      - .address_space:  global
        .offset:         0
        .size:           8
        .value_kind:     global_buffer
      - .offset:         8
        .size:           3392
        .value_kind:     by_value
      - .offset:         3400
        .size:           32
        .value_kind:     by_value
      - .offset:         3432
        .size:           4
        .value_kind:     by_value
      - .offset:         3436
        .size:           4
        .value_kind:     by_value
      - .offset:         3440
        .size:           4
        .value_kind:     hidden_block_count_x
      - .offset:         3444
        .size:           4
        .value_kind:     hidden_block_count_y
      - .offset:         3448
        .size:           4
        .value_kind:     hidden_block_count_z
      - .offset:         3452
        .size:           2
        .value_kind:     hidden_group_size_x
      - .offset:         3454
        .size:           2
        .value_kind:     hidden_group_size_y
      - .offset:         3456
        .size:           2
        .value_kind:     hidden_group_size_z
      - .offset:         3458
        .size:           2
        .value_kind:     hidden_remainder_x
      - .offset:         3460
        .size:           2
        .value_kind:     hidden_remainder_y
      - .offset:         3462
        .size:           2
        .value_kind:     hidden_remainder_z
      - .offset:         3480
        .size:           8
        .value_kind:     hidden_global_offset_x
      - .offset:         3488
        .size:           8
        .value_kind:     hidden_global_offset_y
      - .offset:         3496
        .size:           8
        .value_kind:     hidden_global_offset_z
      - .offset:         3504
        .size:           2
        .value_kind:     hidden_grid_dims
    .group_segment_fixed_size: 0
    .kernarg_segment_align: 8
    .kernarg_segment_size: 3696
    .language:       OpenCL C
    .language_version:
      - 2
      - 0
    .max_flat_workgroup_size: 1024
    .name:           _ZN2at6native12_GLOBAL__N_135CatArrayBatchedCopy_alignedK_contigINS1_10OpaqueTypeILj2EEEjLi2ELi64ELi64ELi8EEEvPT_NS1_25CatArrInputTensorMetadataIS5_T0_XT2_EXT3_EEENS1_16TensorSizeStrideIS8_Lj4EEEiS8_
    .private_segment_fixed_size: 0
    .sgpr_count:     32
    .sgpr_spill_count: 0
    .symbol:         _ZN2at6native12_GLOBAL__N_135CatArrayBatchedCopy_alignedK_contigINS1_10OpaqueTypeILj2EEEjLi2ELi64ELi64ELi8EEEvPT_NS1_25CatArrInputTensorMetadataIS5_T0_XT2_EXT3_EEENS1_16TensorSizeStrideIS8_Lj4EEEiS8_.kd
    .uniform_work_group_size: 1
    .uses_dynamic_stack: false
    .vgpr_count:     33
    .vgpr_spill_count: 0
    .wavefront_size: 64
  - .agpr_count:     0
    .args:
      - .address_space:  global
        .offset:         0
        .size:           8
        .value_kind:     global_buffer
      - .offset:         8
        .size:           3392
        .value_kind:     by_value
      - .offset:         3400
        .size:           32
        .value_kind:     by_value
      - .offset:         3432
        .size:           4
        .value_kind:     by_value
      - .offset:         3436
        .size:           4
        .value_kind:     by_value
      - .offset:         3440
        .size:           4
        .value_kind:     hidden_block_count_x
      - .offset:         3444
        .size:           4
        .value_kind:     hidden_block_count_y
      - .offset:         3448
        .size:           4
        .value_kind:     hidden_block_count_z
      - .offset:         3452
        .size:           2
        .value_kind:     hidden_group_size_x
      - .offset:         3454
        .size:           2
        .value_kind:     hidden_group_size_y
      - .offset:         3456
        .size:           2
        .value_kind:     hidden_group_size_z
      - .offset:         3458
        .size:           2
        .value_kind:     hidden_remainder_x
      - .offset:         3460
        .size:           2
        .value_kind:     hidden_remainder_y
      - .offset:         3462
        .size:           2
        .value_kind:     hidden_remainder_z
      - .offset:         3480
        .size:           8
        .value_kind:     hidden_global_offset_x
      - .offset:         3488
        .size:           8
        .value_kind:     hidden_global_offset_y
      - .offset:         3496
        .size:           8
        .value_kind:     hidden_global_offset_z
      - .offset:         3504
        .size:           2
        .value_kind:     hidden_grid_dims
    .group_segment_fixed_size: 0
    .kernarg_segment_align: 8
    .kernarg_segment_size: 3696
    .language:       OpenCL C
    .language_version:
      - 2
      - 0
    .max_flat_workgroup_size: 1024
    .name:           _ZN2at6native12_GLOBAL__N_126CatArrayBatchedCopy_contigINS1_10OpaqueTypeILj2EEEjLi2ELi64ELi64EEEvPT_NS1_25CatArrInputTensorMetadataIS5_T0_XT2_EXT3_EEENS1_16TensorSizeStrideIS8_Lj4EEEiS8_
    .private_segment_fixed_size: 0
    .sgpr_count:     24
    .sgpr_spill_count: 0
    .symbol:         _ZN2at6native12_GLOBAL__N_126CatArrayBatchedCopy_contigINS1_10OpaqueTypeILj2EEEjLi2ELi64ELi64EEEvPT_NS1_25CatArrInputTensorMetadataIS5_T0_XT2_EXT3_EEENS1_16TensorSizeStrideIS8_Lj4EEEiS8_.kd
    .uniform_work_group_size: 1
    .uses_dynamic_stack: false
    .vgpr_count:     10
    .vgpr_spill_count: 0
    .wavefront_size: 64
  - .agpr_count:     0
    .args:
      - .address_space:  global
        .offset:         0
        .size:           8
        .value_kind:     global_buffer
      - .offset:         8
        .size:           3392
        .value_kind:     by_value
      - .offset:         3400
        .size:           32
        .value_kind:     by_value
      - .offset:         3432
        .size:           4
        .value_kind:     by_value
      - .offset:         3436
        .size:           4
        .value_kind:     by_value
      - .offset:         3440
        .size:           4
        .value_kind:     hidden_block_count_x
      - .offset:         3444
        .size:           4
        .value_kind:     hidden_block_count_y
      - .offset:         3448
        .size:           4
        .value_kind:     hidden_block_count_z
      - .offset:         3452
        .size:           2
        .value_kind:     hidden_group_size_x
      - .offset:         3454
        .size:           2
        .value_kind:     hidden_group_size_y
      - .offset:         3456
        .size:           2
        .value_kind:     hidden_group_size_z
      - .offset:         3458
        .size:           2
        .value_kind:     hidden_remainder_x
      - .offset:         3460
        .size:           2
        .value_kind:     hidden_remainder_y
      - .offset:         3462
        .size:           2
        .value_kind:     hidden_remainder_z
      - .offset:         3480
        .size:           8
        .value_kind:     hidden_global_offset_x
      - .offset:         3488
        .size:           8
        .value_kind:     hidden_global_offset_y
      - .offset:         3496
        .size:           8
        .value_kind:     hidden_global_offset_z
      - .offset:         3504
        .size:           2
        .value_kind:     hidden_grid_dims
    .group_segment_fixed_size: 0
    .kernarg_segment_align: 8
    .kernarg_segment_size: 3696
    .language:       OpenCL C
    .language_version:
      - 2
      - 0
    .max_flat_workgroup_size: 1024
    .name:           _ZN2at6native12_GLOBAL__N_119CatArrayBatchedCopyINS1_10OpaqueTypeILj2EEEjLi2ELi64ELi64EEEvPT_NS1_25CatArrInputTensorMetadataIS5_T0_XT2_EXT3_EEENS1_16TensorSizeStrideIS8_Lj4EEEiS8_
    .private_segment_fixed_size: 0
    .sgpr_count:     31
    .sgpr_spill_count: 0
    .symbol:         _ZN2at6native12_GLOBAL__N_119CatArrayBatchedCopyINS1_10OpaqueTypeILj2EEEjLi2ELi64ELi64EEEvPT_NS1_25CatArrInputTensorMetadataIS5_T0_XT2_EXT3_EEENS1_16TensorSizeStrideIS8_Lj4EEEiS8_.kd
    .uniform_work_group_size: 1
    .uses_dynamic_stack: false
    .vgpr_count:     9
    .vgpr_spill_count: 0
    .wavefront_size: 64
  - .agpr_count:     0
    .args:
      - .address_space:  global
        .offset:         0
        .size:           8
        .value_kind:     global_buffer
      - .offset:         8
        .size:           3392
        .value_kind:     by_value
      - .offset:         3400
        .size:           32
        .value_kind:     by_value
      - .offset:         3432
        .size:           4
        .value_kind:     by_value
      - .offset:         3436
        .size:           4
        .value_kind:     by_value
      - .offset:         3440
        .size:           4
        .value_kind:     hidden_block_count_x
      - .offset:         3444
        .size:           4
        .value_kind:     hidden_block_count_y
      - .offset:         3448
        .size:           4
        .value_kind:     hidden_block_count_z
      - .offset:         3452
        .size:           2
        .value_kind:     hidden_group_size_x
      - .offset:         3454
        .size:           2
        .value_kind:     hidden_group_size_y
      - .offset:         3456
        .size:           2
        .value_kind:     hidden_group_size_z
      - .offset:         3458
        .size:           2
        .value_kind:     hidden_remainder_x
      - .offset:         3460
        .size:           2
        .value_kind:     hidden_remainder_y
      - .offset:         3462
        .size:           2
        .value_kind:     hidden_remainder_z
      - .offset:         3480
        .size:           8
        .value_kind:     hidden_global_offset_x
      - .offset:         3488
        .size:           8
        .value_kind:     hidden_global_offset_y
      - .offset:         3496
        .size:           8
        .value_kind:     hidden_global_offset_z
      - .offset:         3504
        .size:           2
        .value_kind:     hidden_grid_dims
    .group_segment_fixed_size: 0
    .kernarg_segment_align: 8
    .kernarg_segment_size: 3696
    .language:       OpenCL C
    .language_version:
      - 2
      - 0
    .max_flat_workgroup_size: 1024
    .name:           _ZN2at6native12_GLOBAL__N_130CatArrayBatchedCopy_vectorizedINS1_10OpaqueTypeILj2EEEjLi3ELi64ELi64ELi16ELi8EEEvPcNS1_25CatArrInputTensorMetadataIT_T0_XT2_EXT3_EEENS1_16TensorSizeStrideIS8_Lj4EEEiS8_
    .private_segment_fixed_size: 0
    .sgpr_count:     32
    .sgpr_spill_count: 0
    .symbol:         _ZN2at6native12_GLOBAL__N_130CatArrayBatchedCopy_vectorizedINS1_10OpaqueTypeILj2EEEjLi3ELi64ELi64ELi16ELi8EEEvPcNS1_25CatArrInputTensorMetadataIT_T0_XT2_EXT3_EEENS1_16TensorSizeStrideIS8_Lj4EEEiS8_.kd
    .uniform_work_group_size: 1
    .uses_dynamic_stack: false
    .vgpr_count:     14
    .vgpr_spill_count: 0
    .wavefront_size: 64
  - .agpr_count:     0
    .args:
      - .address_space:  global
        .offset:         0
        .size:           8
        .value_kind:     global_buffer
      - .offset:         8
        .size:           3392
        .value_kind:     by_value
      - .offset:         3400
        .size:           32
        .value_kind:     by_value
      - .offset:         3432
        .size:           4
        .value_kind:     by_value
      - .offset:         3436
        .size:           4
        .value_kind:     by_value
      - .offset:         3440
        .size:           4
        .value_kind:     hidden_block_count_x
      - .offset:         3444
        .size:           4
        .value_kind:     hidden_block_count_y
      - .offset:         3448
        .size:           4
        .value_kind:     hidden_block_count_z
      - .offset:         3452
        .size:           2
        .value_kind:     hidden_group_size_x
      - .offset:         3454
        .size:           2
        .value_kind:     hidden_group_size_y
      - .offset:         3456
        .size:           2
        .value_kind:     hidden_group_size_z
      - .offset:         3458
        .size:           2
        .value_kind:     hidden_remainder_x
      - .offset:         3460
        .size:           2
        .value_kind:     hidden_remainder_y
      - .offset:         3462
        .size:           2
        .value_kind:     hidden_remainder_z
      - .offset:         3480
        .size:           8
        .value_kind:     hidden_global_offset_x
      - .offset:         3488
        .size:           8
        .value_kind:     hidden_global_offset_y
      - .offset:         3496
        .size:           8
        .value_kind:     hidden_global_offset_z
      - .offset:         3504
        .size:           2
        .value_kind:     hidden_grid_dims
    .group_segment_fixed_size: 0
    .kernarg_segment_align: 8
    .kernarg_segment_size: 3696
    .language:       OpenCL C
    .language_version:
      - 2
      - 0
    .max_flat_workgroup_size: 1024
    .name:           _ZN2at6native12_GLOBAL__N_135CatArrayBatchedCopy_alignedK_contigINS1_10OpaqueTypeILj2EEEjLi3ELi64ELi64ELi16EEEvPT_NS1_25CatArrInputTensorMetadataIS5_T0_XT2_EXT3_EEENS1_16TensorSizeStrideIS8_Lj4EEEiS8_
    .private_segment_fixed_size: 0
    .sgpr_count:     44
    .sgpr_spill_count: 0
    .symbol:         _ZN2at6native12_GLOBAL__N_135CatArrayBatchedCopy_alignedK_contigINS1_10OpaqueTypeILj2EEEjLi3ELi64ELi64ELi16EEEvPT_NS1_25CatArrInputTensorMetadataIS5_T0_XT2_EXT3_EEENS1_16TensorSizeStrideIS8_Lj4EEEiS8_.kd
    .uniform_work_group_size: 1
    .uses_dynamic_stack: false
    .vgpr_count:     57
    .vgpr_spill_count: 0
    .wavefront_size: 64
  - .agpr_count:     0
    .args:
      - .address_space:  global
        .offset:         0
        .size:           8
        .value_kind:     global_buffer
      - .offset:         8
        .size:           3392
        .value_kind:     by_value
      - .offset:         3400
        .size:           32
        .value_kind:     by_value
      - .offset:         3432
        .size:           4
        .value_kind:     by_value
      - .offset:         3436
        .size:           4
        .value_kind:     by_value
      - .offset:         3440
        .size:           4
        .value_kind:     hidden_block_count_x
      - .offset:         3444
        .size:           4
        .value_kind:     hidden_block_count_y
      - .offset:         3448
        .size:           4
        .value_kind:     hidden_block_count_z
      - .offset:         3452
        .size:           2
        .value_kind:     hidden_group_size_x
      - .offset:         3454
        .size:           2
        .value_kind:     hidden_group_size_y
      - .offset:         3456
        .size:           2
        .value_kind:     hidden_group_size_z
      - .offset:         3458
        .size:           2
        .value_kind:     hidden_remainder_x
      - .offset:         3460
        .size:           2
        .value_kind:     hidden_remainder_y
      - .offset:         3462
        .size:           2
        .value_kind:     hidden_remainder_z
      - .offset:         3480
        .size:           8
        .value_kind:     hidden_global_offset_x
      - .offset:         3488
        .size:           8
        .value_kind:     hidden_global_offset_y
      - .offset:         3496
        .size:           8
        .value_kind:     hidden_global_offset_z
      - .offset:         3504
        .size:           2
        .value_kind:     hidden_grid_dims
    .group_segment_fixed_size: 0
    .kernarg_segment_align: 8
    .kernarg_segment_size: 3696
    .language:       OpenCL C
    .language_version:
      - 2
      - 0
    .max_flat_workgroup_size: 1024
    .name:           _ZN2at6native12_GLOBAL__N_135CatArrayBatchedCopy_alignedK_contigINS1_10OpaqueTypeILj2EEEjLi3ELi64ELi64ELi8EEEvPT_NS1_25CatArrInputTensorMetadataIS5_T0_XT2_EXT3_EEENS1_16TensorSizeStrideIS8_Lj4EEEiS8_
    .private_segment_fixed_size: 0
    .sgpr_count:     36
    .sgpr_spill_count: 0
    .symbol:         _ZN2at6native12_GLOBAL__N_135CatArrayBatchedCopy_alignedK_contigINS1_10OpaqueTypeILj2EEEjLi3ELi64ELi64ELi8EEEvPT_NS1_25CatArrInputTensorMetadataIS5_T0_XT2_EXT3_EEENS1_16TensorSizeStrideIS8_Lj4EEEiS8_.kd
    .uniform_work_group_size: 1
    .uses_dynamic_stack: false
    .vgpr_count:     35
    .vgpr_spill_count: 0
    .wavefront_size: 64
  - .agpr_count:     0
    .args:
      - .address_space:  global
        .offset:         0
        .size:           8
        .value_kind:     global_buffer
      - .offset:         8
        .size:           3392
        .value_kind:     by_value
      - .offset:         3400
        .size:           32
        .value_kind:     by_value
      - .offset:         3432
        .size:           4
        .value_kind:     by_value
      - .offset:         3436
        .size:           4
        .value_kind:     by_value
      - .offset:         3440
        .size:           4
        .value_kind:     hidden_block_count_x
      - .offset:         3444
        .size:           4
        .value_kind:     hidden_block_count_y
      - .offset:         3448
        .size:           4
        .value_kind:     hidden_block_count_z
      - .offset:         3452
        .size:           2
        .value_kind:     hidden_group_size_x
      - .offset:         3454
        .size:           2
        .value_kind:     hidden_group_size_y
      - .offset:         3456
        .size:           2
        .value_kind:     hidden_group_size_z
      - .offset:         3458
        .size:           2
        .value_kind:     hidden_remainder_x
      - .offset:         3460
        .size:           2
        .value_kind:     hidden_remainder_y
      - .offset:         3462
        .size:           2
        .value_kind:     hidden_remainder_z
      - .offset:         3480
        .size:           8
        .value_kind:     hidden_global_offset_x
      - .offset:         3488
        .size:           8
        .value_kind:     hidden_global_offset_y
      - .offset:         3496
        .size:           8
        .value_kind:     hidden_global_offset_z
      - .offset:         3504
        .size:           2
        .value_kind:     hidden_grid_dims
    .group_segment_fixed_size: 0
    .kernarg_segment_align: 8
    .kernarg_segment_size: 3696
    .language:       OpenCL C
    .language_version:
      - 2
      - 0
    .max_flat_workgroup_size: 1024
    .name:           _ZN2at6native12_GLOBAL__N_126CatArrayBatchedCopy_contigINS1_10OpaqueTypeILj2EEEjLi3ELi64ELi64EEEvPT_NS1_25CatArrInputTensorMetadataIS5_T0_XT2_EXT3_EEENS1_16TensorSizeStrideIS8_Lj4EEEiS8_
    .private_segment_fixed_size: 0
    .sgpr_count:     30
    .sgpr_spill_count: 0
    .symbol:         _ZN2at6native12_GLOBAL__N_126CatArrayBatchedCopy_contigINS1_10OpaqueTypeILj2EEEjLi3ELi64ELi64EEEvPT_NS1_25CatArrInputTensorMetadataIS5_T0_XT2_EXT3_EEENS1_16TensorSizeStrideIS8_Lj4EEEiS8_.kd
    .uniform_work_group_size: 1
    .uses_dynamic_stack: false
    .vgpr_count:     11
    .vgpr_spill_count: 0
    .wavefront_size: 64
  - .agpr_count:     0
    .args:
      - .address_space:  global
        .offset:         0
        .size:           8
        .value_kind:     global_buffer
      - .offset:         8
        .size:           3392
        .value_kind:     by_value
      - .offset:         3400
        .size:           32
        .value_kind:     by_value
      - .offset:         3432
        .size:           4
        .value_kind:     by_value
      - .offset:         3436
        .size:           4
        .value_kind:     by_value
      - .offset:         3440
        .size:           4
        .value_kind:     hidden_block_count_x
      - .offset:         3444
        .size:           4
        .value_kind:     hidden_block_count_y
      - .offset:         3448
        .size:           4
        .value_kind:     hidden_block_count_z
      - .offset:         3452
        .size:           2
        .value_kind:     hidden_group_size_x
      - .offset:         3454
        .size:           2
        .value_kind:     hidden_group_size_y
      - .offset:         3456
        .size:           2
        .value_kind:     hidden_group_size_z
      - .offset:         3458
        .size:           2
        .value_kind:     hidden_remainder_x
      - .offset:         3460
        .size:           2
        .value_kind:     hidden_remainder_y
      - .offset:         3462
        .size:           2
        .value_kind:     hidden_remainder_z
      - .offset:         3480
        .size:           8
        .value_kind:     hidden_global_offset_x
      - .offset:         3488
        .size:           8
        .value_kind:     hidden_global_offset_y
      - .offset:         3496
        .size:           8
        .value_kind:     hidden_global_offset_z
      - .offset:         3504
        .size:           2
        .value_kind:     hidden_grid_dims
    .group_segment_fixed_size: 0
    .kernarg_segment_align: 8
    .kernarg_segment_size: 3696
    .language:       OpenCL C
    .language_version:
      - 2
      - 0
    .max_flat_workgroup_size: 1024
    .name:           _ZN2at6native12_GLOBAL__N_119CatArrayBatchedCopyINS1_10OpaqueTypeILj2EEEjLi3ELi64ELi64EEEvPT_NS1_25CatArrInputTensorMetadataIS5_T0_XT2_EXT3_EEENS1_16TensorSizeStrideIS8_Lj4EEEiS8_
    .private_segment_fixed_size: 0
    .sgpr_count:     35
    .sgpr_spill_count: 0
    .symbol:         _ZN2at6native12_GLOBAL__N_119CatArrayBatchedCopyINS1_10OpaqueTypeILj2EEEjLi3ELi64ELi64EEEvPT_NS1_25CatArrInputTensorMetadataIS5_T0_XT2_EXT3_EEENS1_16TensorSizeStrideIS8_Lj4EEEiS8_.kd
    .uniform_work_group_size: 1
    .uses_dynamic_stack: false
    .vgpr_count:     12
    .vgpr_spill_count: 0
    .wavefront_size: 64
  - .agpr_count:     0
    .args:
      - .address_space:  global
        .offset:         0
        .size:           8
        .value_kind:     global_buffer
      - .offset:         8
        .size:           3392
        .value_kind:     by_value
      - .offset:         3400
        .size:           32
        .value_kind:     by_value
      - .offset:         3432
        .size:           4
        .value_kind:     by_value
      - .offset:         3436
        .size:           4
        .value_kind:     by_value
      - .offset:         3440
        .size:           4
        .value_kind:     hidden_block_count_x
      - .offset:         3444
        .size:           4
        .value_kind:     hidden_block_count_y
      - .offset:         3448
        .size:           4
        .value_kind:     hidden_block_count_z
      - .offset:         3452
        .size:           2
        .value_kind:     hidden_group_size_x
      - .offset:         3454
        .size:           2
        .value_kind:     hidden_group_size_y
      - .offset:         3456
        .size:           2
        .value_kind:     hidden_group_size_z
      - .offset:         3458
        .size:           2
        .value_kind:     hidden_remainder_x
      - .offset:         3460
        .size:           2
        .value_kind:     hidden_remainder_y
      - .offset:         3462
        .size:           2
        .value_kind:     hidden_remainder_z
      - .offset:         3480
        .size:           8
        .value_kind:     hidden_global_offset_x
      - .offset:         3488
        .size:           8
        .value_kind:     hidden_global_offset_y
      - .offset:         3496
        .size:           8
        .value_kind:     hidden_global_offset_z
      - .offset:         3504
        .size:           2
        .value_kind:     hidden_grid_dims
    .group_segment_fixed_size: 0
    .kernarg_segment_align: 8
    .kernarg_segment_size: 3696
    .language:       OpenCL C
    .language_version:
      - 2
      - 0
    .max_flat_workgroup_size: 1024
    .name:           _ZN2at6native12_GLOBAL__N_130CatArrayBatchedCopy_vectorizedINS1_10OpaqueTypeILj2EEEjLi4ELi64ELi64ELi16ELi8EEEvPcNS1_25CatArrInputTensorMetadataIT_T0_XT2_EXT3_EEENS1_16TensorSizeStrideIS8_Lj4EEEiS8_
    .private_segment_fixed_size: 0
    .sgpr_count:     32
    .sgpr_spill_count: 0
    .symbol:         _ZN2at6native12_GLOBAL__N_130CatArrayBatchedCopy_vectorizedINS1_10OpaqueTypeILj2EEEjLi4ELi64ELi64ELi16ELi8EEEvPcNS1_25CatArrInputTensorMetadataIT_T0_XT2_EXT3_EEENS1_16TensorSizeStrideIS8_Lj4EEEiS8_.kd
    .uniform_work_group_size: 1
    .uses_dynamic_stack: false
    .vgpr_count:     16
    .vgpr_spill_count: 0
    .wavefront_size: 64
  - .agpr_count:     0
    .args:
      - .address_space:  global
        .offset:         0
        .size:           8
        .value_kind:     global_buffer
      - .offset:         8
        .size:           3392
        .value_kind:     by_value
      - .offset:         3400
        .size:           32
        .value_kind:     by_value
      - .offset:         3432
        .size:           4
        .value_kind:     by_value
      - .offset:         3436
        .size:           4
        .value_kind:     by_value
      - .offset:         3440
        .size:           4
        .value_kind:     hidden_block_count_x
      - .offset:         3444
        .size:           4
        .value_kind:     hidden_block_count_y
      - .offset:         3448
        .size:           4
        .value_kind:     hidden_block_count_z
      - .offset:         3452
        .size:           2
        .value_kind:     hidden_group_size_x
      - .offset:         3454
        .size:           2
        .value_kind:     hidden_group_size_y
      - .offset:         3456
        .size:           2
        .value_kind:     hidden_group_size_z
      - .offset:         3458
        .size:           2
        .value_kind:     hidden_remainder_x
      - .offset:         3460
        .size:           2
        .value_kind:     hidden_remainder_y
      - .offset:         3462
        .size:           2
        .value_kind:     hidden_remainder_z
      - .offset:         3480
        .size:           8
        .value_kind:     hidden_global_offset_x
      - .offset:         3488
        .size:           8
        .value_kind:     hidden_global_offset_y
      - .offset:         3496
        .size:           8
        .value_kind:     hidden_global_offset_z
      - .offset:         3504
        .size:           2
        .value_kind:     hidden_grid_dims
    .group_segment_fixed_size: 0
    .kernarg_segment_align: 8
    .kernarg_segment_size: 3696
    .language:       OpenCL C
    .language_version:
      - 2
      - 0
    .max_flat_workgroup_size: 1024
    .name:           _ZN2at6native12_GLOBAL__N_135CatArrayBatchedCopy_alignedK_contigINS1_10OpaqueTypeILj2EEEjLi4ELi64ELi64ELi16EEEvPT_NS1_25CatArrInputTensorMetadataIS5_T0_XT2_EXT3_EEENS1_16TensorSizeStrideIS8_Lj4EEEiS8_
    .private_segment_fixed_size: 0
    .sgpr_count:     35
    .sgpr_spill_count: 0
    .symbol:         _ZN2at6native12_GLOBAL__N_135CatArrayBatchedCopy_alignedK_contigINS1_10OpaqueTypeILj2EEEjLi4ELi64ELi64ELi16EEEvPT_NS1_25CatArrInputTensorMetadataIS5_T0_XT2_EXT3_EEENS1_16TensorSizeStrideIS8_Lj4EEEiS8_.kd
    .uniform_work_group_size: 1
    .uses_dynamic_stack: false
    .vgpr_count:     36
    .vgpr_spill_count: 0
    .wavefront_size: 64
  - .agpr_count:     0
    .args:
      - .address_space:  global
        .offset:         0
        .size:           8
        .value_kind:     global_buffer
      - .offset:         8
        .size:           3392
        .value_kind:     by_value
      - .offset:         3400
        .size:           32
        .value_kind:     by_value
      - .offset:         3432
        .size:           4
        .value_kind:     by_value
      - .offset:         3436
        .size:           4
        .value_kind:     by_value
      - .offset:         3440
        .size:           4
        .value_kind:     hidden_block_count_x
      - .offset:         3444
        .size:           4
        .value_kind:     hidden_block_count_y
      - .offset:         3448
        .size:           4
        .value_kind:     hidden_block_count_z
      - .offset:         3452
        .size:           2
        .value_kind:     hidden_group_size_x
      - .offset:         3454
        .size:           2
        .value_kind:     hidden_group_size_y
      - .offset:         3456
        .size:           2
        .value_kind:     hidden_group_size_z
      - .offset:         3458
        .size:           2
        .value_kind:     hidden_remainder_x
      - .offset:         3460
        .size:           2
        .value_kind:     hidden_remainder_y
      - .offset:         3462
        .size:           2
        .value_kind:     hidden_remainder_z
      - .offset:         3480
        .size:           8
        .value_kind:     hidden_global_offset_x
      - .offset:         3488
        .size:           8
        .value_kind:     hidden_global_offset_y
      - .offset:         3496
        .size:           8
        .value_kind:     hidden_global_offset_z
      - .offset:         3504
        .size:           2
        .value_kind:     hidden_grid_dims
    .group_segment_fixed_size: 0
    .kernarg_segment_align: 8
    .kernarg_segment_size: 3696
    .language:       OpenCL C
    .language_version:
      - 2
      - 0
    .max_flat_workgroup_size: 1024
    .name:           _ZN2at6native12_GLOBAL__N_135CatArrayBatchedCopy_alignedK_contigINS1_10OpaqueTypeILj2EEEjLi4ELi64ELi64ELi8EEEvPT_NS1_25CatArrInputTensorMetadataIS5_T0_XT2_EXT3_EEENS1_16TensorSizeStrideIS8_Lj4EEEiS8_
    .private_segment_fixed_size: 0
    .sgpr_count:     38
    .sgpr_spill_count: 0
    .symbol:         _ZN2at6native12_GLOBAL__N_135CatArrayBatchedCopy_alignedK_contigINS1_10OpaqueTypeILj2EEEjLi4ELi64ELi64ELi8EEEvPT_NS1_25CatArrInputTensorMetadataIS5_T0_XT2_EXT3_EEENS1_16TensorSizeStrideIS8_Lj4EEEiS8_.kd
    .uniform_work_group_size: 1
    .uses_dynamic_stack: false
    .vgpr_count:     38
    .vgpr_spill_count: 0
    .wavefront_size: 64
  - .agpr_count:     0
    .args:
      - .address_space:  global
        .offset:         0
        .size:           8
        .value_kind:     global_buffer
      - .offset:         8
        .size:           3392
        .value_kind:     by_value
      - .offset:         3400
        .size:           32
        .value_kind:     by_value
      - .offset:         3432
        .size:           4
        .value_kind:     by_value
      - .offset:         3436
        .size:           4
        .value_kind:     by_value
      - .offset:         3440
        .size:           4
        .value_kind:     hidden_block_count_x
      - .offset:         3444
        .size:           4
        .value_kind:     hidden_block_count_y
      - .offset:         3448
        .size:           4
        .value_kind:     hidden_block_count_z
      - .offset:         3452
        .size:           2
        .value_kind:     hidden_group_size_x
      - .offset:         3454
        .size:           2
        .value_kind:     hidden_group_size_y
      - .offset:         3456
        .size:           2
        .value_kind:     hidden_group_size_z
      - .offset:         3458
        .size:           2
        .value_kind:     hidden_remainder_x
      - .offset:         3460
        .size:           2
        .value_kind:     hidden_remainder_y
      - .offset:         3462
        .size:           2
        .value_kind:     hidden_remainder_z
      - .offset:         3480
        .size:           8
        .value_kind:     hidden_global_offset_x
      - .offset:         3488
        .size:           8
        .value_kind:     hidden_global_offset_y
      - .offset:         3496
        .size:           8
        .value_kind:     hidden_global_offset_z
      - .offset:         3504
        .size:           2
        .value_kind:     hidden_grid_dims
    .group_segment_fixed_size: 0
    .kernarg_segment_align: 8
    .kernarg_segment_size: 3696
    .language:       OpenCL C
    .language_version:
      - 2
      - 0
    .max_flat_workgroup_size: 1024
    .name:           _ZN2at6native12_GLOBAL__N_126CatArrayBatchedCopy_contigINS1_10OpaqueTypeILj2EEEjLi4ELi64ELi64EEEvPT_NS1_25CatArrInputTensorMetadataIS5_T0_XT2_EXT3_EEENS1_16TensorSizeStrideIS8_Lj4EEEiS8_
    .private_segment_fixed_size: 0
    .sgpr_count:     33
    .sgpr_spill_count: 0
    .symbol:         _ZN2at6native12_GLOBAL__N_126CatArrayBatchedCopy_contigINS1_10OpaqueTypeILj2EEEjLi4ELi64ELi64EEEvPT_NS1_25CatArrInputTensorMetadataIS5_T0_XT2_EXT3_EEENS1_16TensorSizeStrideIS8_Lj4EEEiS8_.kd
    .uniform_work_group_size: 1
    .uses_dynamic_stack: false
    .vgpr_count:     14
    .vgpr_spill_count: 0
    .wavefront_size: 64
  - .agpr_count:     0
    .args:
      - .address_space:  global
        .offset:         0
        .size:           8
        .value_kind:     global_buffer
      - .offset:         8
        .size:           3392
        .value_kind:     by_value
      - .offset:         3400
        .size:           32
        .value_kind:     by_value
      - .offset:         3432
        .size:           4
        .value_kind:     by_value
      - .offset:         3436
        .size:           4
        .value_kind:     by_value
      - .offset:         3440
        .size:           4
        .value_kind:     hidden_block_count_x
      - .offset:         3444
        .size:           4
        .value_kind:     hidden_block_count_y
      - .offset:         3448
        .size:           4
        .value_kind:     hidden_block_count_z
      - .offset:         3452
        .size:           2
        .value_kind:     hidden_group_size_x
      - .offset:         3454
        .size:           2
        .value_kind:     hidden_group_size_y
      - .offset:         3456
        .size:           2
        .value_kind:     hidden_group_size_z
      - .offset:         3458
        .size:           2
        .value_kind:     hidden_remainder_x
      - .offset:         3460
        .size:           2
        .value_kind:     hidden_remainder_y
      - .offset:         3462
        .size:           2
        .value_kind:     hidden_remainder_z
      - .offset:         3480
        .size:           8
        .value_kind:     hidden_global_offset_x
      - .offset:         3488
        .size:           8
        .value_kind:     hidden_global_offset_y
      - .offset:         3496
        .size:           8
        .value_kind:     hidden_global_offset_z
      - .offset:         3504
        .size:           2
        .value_kind:     hidden_grid_dims
    .group_segment_fixed_size: 0
    .kernarg_segment_align: 8
    .kernarg_segment_size: 3696
    .language:       OpenCL C
    .language_version:
      - 2
      - 0
    .max_flat_workgroup_size: 1024
    .name:           _ZN2at6native12_GLOBAL__N_119CatArrayBatchedCopyINS1_10OpaqueTypeILj2EEEjLi4ELi64ELi64EEEvPT_NS1_25CatArrInputTensorMetadataIS5_T0_XT2_EXT3_EEENS1_16TensorSizeStrideIS8_Lj4EEEiS8_
    .private_segment_fixed_size: 0
    .sgpr_count:     38
    .sgpr_spill_count: 0
    .symbol:         _ZN2at6native12_GLOBAL__N_119CatArrayBatchedCopyINS1_10OpaqueTypeILj2EEEjLi4ELi64ELi64EEEvPT_NS1_25CatArrInputTensorMetadataIS5_T0_XT2_EXT3_EEENS1_16TensorSizeStrideIS8_Lj4EEEiS8_.kd
    .uniform_work_group_size: 1
    .uses_dynamic_stack: false
    .vgpr_count:     15
    .vgpr_spill_count: 0
    .wavefront_size: 64
  - .agpr_count:     0
    .args:
      - .address_space:  global
        .offset:         0
        .size:           8
        .value_kind:     global_buffer
      - .offset:         8
        .size:           3392
        .value_kind:     by_value
      - .offset:         3400
        .size:           32
        .value_kind:     by_value
      - .offset:         3432
        .size:           4
        .value_kind:     by_value
      - .offset:         3436
        .size:           4
        .value_kind:     by_value
      - .offset:         3440
        .size:           4
        .value_kind:     hidden_block_count_x
      - .offset:         3444
        .size:           4
        .value_kind:     hidden_block_count_y
      - .offset:         3448
        .size:           4
        .value_kind:     hidden_block_count_z
      - .offset:         3452
        .size:           2
        .value_kind:     hidden_group_size_x
      - .offset:         3454
        .size:           2
        .value_kind:     hidden_group_size_y
      - .offset:         3456
        .size:           2
        .value_kind:     hidden_group_size_z
      - .offset:         3458
        .size:           2
        .value_kind:     hidden_remainder_x
      - .offset:         3460
        .size:           2
        .value_kind:     hidden_remainder_y
      - .offset:         3462
        .size:           2
        .value_kind:     hidden_remainder_z
      - .offset:         3480
        .size:           8
        .value_kind:     hidden_global_offset_x
      - .offset:         3488
        .size:           8
        .value_kind:     hidden_global_offset_y
      - .offset:         3496
        .size:           8
        .value_kind:     hidden_global_offset_z
      - .offset:         3504
        .size:           2
        .value_kind:     hidden_grid_dims
    .group_segment_fixed_size: 0
    .kernarg_segment_align: 8
    .kernarg_segment_size: 3696
    .language:       OpenCL C
    .language_version:
      - 2
      - 0
    .max_flat_workgroup_size: 1024
    .name:           _ZN2at6native12_GLOBAL__N_130CatArrayBatchedCopy_vectorizedINS1_10OpaqueTypeILj4EEEjLi1ELi64ELi64ELi16ELi4EEEvPcNS1_25CatArrInputTensorMetadataIT_T0_XT2_EXT3_EEENS1_16TensorSizeStrideIS8_Lj4EEEiS8_
    .private_segment_fixed_size: 0
    .sgpr_count:     25
    .sgpr_spill_count: 0
    .symbol:         _ZN2at6native12_GLOBAL__N_130CatArrayBatchedCopy_vectorizedINS1_10OpaqueTypeILj4EEEjLi1ELi64ELi64ELi16ELi4EEEvPcNS1_25CatArrInputTensorMetadataIT_T0_XT2_EXT3_EEENS1_16TensorSizeStrideIS8_Lj4EEEiS8_.kd
    .uniform_work_group_size: 1
    .uses_dynamic_stack: false
    .vgpr_count:     10
    .vgpr_spill_count: 0
    .wavefront_size: 64
  - .agpr_count:     0
    .args:
      - .address_space:  global
        .offset:         0
        .size:           8
        .value_kind:     global_buffer
      - .offset:         8
        .size:           3392
        .value_kind:     by_value
      - .offset:         3400
        .size:           32
        .value_kind:     by_value
      - .offset:         3432
        .size:           4
        .value_kind:     by_value
      - .offset:         3436
        .size:           4
        .value_kind:     by_value
      - .offset:         3440
        .size:           4
        .value_kind:     hidden_block_count_x
      - .offset:         3444
        .size:           4
        .value_kind:     hidden_block_count_y
      - .offset:         3448
        .size:           4
        .value_kind:     hidden_block_count_z
      - .offset:         3452
        .size:           2
        .value_kind:     hidden_group_size_x
      - .offset:         3454
        .size:           2
        .value_kind:     hidden_group_size_y
      - .offset:         3456
        .size:           2
        .value_kind:     hidden_group_size_z
      - .offset:         3458
        .size:           2
        .value_kind:     hidden_remainder_x
      - .offset:         3460
        .size:           2
        .value_kind:     hidden_remainder_y
      - .offset:         3462
        .size:           2
        .value_kind:     hidden_remainder_z
      - .offset:         3480
        .size:           8
        .value_kind:     hidden_global_offset_x
      - .offset:         3488
        .size:           8
        .value_kind:     hidden_global_offset_y
      - .offset:         3496
        .size:           8
        .value_kind:     hidden_global_offset_z
      - .offset:         3504
        .size:           2
        .value_kind:     hidden_grid_dims
    .group_segment_fixed_size: 0
    .kernarg_segment_align: 8
    .kernarg_segment_size: 3696
    .language:       OpenCL C
    .language_version:
      - 2
      - 0
    .max_flat_workgroup_size: 1024
    .name:           _ZN2at6native12_GLOBAL__N_135CatArrayBatchedCopy_alignedK_contigINS1_10OpaqueTypeILj4EEEjLi1ELi64ELi64ELi16EEEvPT_NS1_25CatArrInputTensorMetadataIS5_T0_XT2_EXT3_EEENS1_16TensorSizeStrideIS8_Lj4EEEiS8_
    .private_segment_fixed_size: 0
    .sgpr_count:     23
    .sgpr_spill_count: 0
    .symbol:         _ZN2at6native12_GLOBAL__N_135CatArrayBatchedCopy_alignedK_contigINS1_10OpaqueTypeILj4EEEjLi1ELi64ELi64ELi16EEEvPT_NS1_25CatArrInputTensorMetadataIS5_T0_XT2_EXT3_EEENS1_16TensorSizeStrideIS8_Lj4EEEiS8_.kd
    .uniform_work_group_size: 1
    .uses_dynamic_stack: false
    .vgpr_count:     19
    .vgpr_spill_count: 0
    .wavefront_size: 64
  - .agpr_count:     0
    .args:
      - .address_space:  global
        .offset:         0
        .size:           8
        .value_kind:     global_buffer
      - .offset:         8
        .size:           3392
        .value_kind:     by_value
      - .offset:         3400
        .size:           32
        .value_kind:     by_value
      - .offset:         3432
        .size:           4
        .value_kind:     by_value
      - .offset:         3436
        .size:           4
        .value_kind:     by_value
      - .offset:         3440
        .size:           4
        .value_kind:     hidden_block_count_x
      - .offset:         3444
        .size:           4
        .value_kind:     hidden_block_count_y
      - .offset:         3448
        .size:           4
        .value_kind:     hidden_block_count_z
      - .offset:         3452
        .size:           2
        .value_kind:     hidden_group_size_x
      - .offset:         3454
        .size:           2
        .value_kind:     hidden_group_size_y
      - .offset:         3456
        .size:           2
        .value_kind:     hidden_group_size_z
      - .offset:         3458
        .size:           2
        .value_kind:     hidden_remainder_x
      - .offset:         3460
        .size:           2
        .value_kind:     hidden_remainder_y
      - .offset:         3462
        .size:           2
        .value_kind:     hidden_remainder_z
      - .offset:         3480
        .size:           8
        .value_kind:     hidden_global_offset_x
      - .offset:         3488
        .size:           8
        .value_kind:     hidden_global_offset_y
      - .offset:         3496
        .size:           8
        .value_kind:     hidden_global_offset_z
      - .offset:         3504
        .size:           2
        .value_kind:     hidden_grid_dims
    .group_segment_fixed_size: 0
    .kernarg_segment_align: 8
    .kernarg_segment_size: 3696
    .language:       OpenCL C
    .language_version:
      - 2
      - 0
    .max_flat_workgroup_size: 1024
    .name:           _ZN2at6native12_GLOBAL__N_135CatArrayBatchedCopy_alignedK_contigINS1_10OpaqueTypeILj4EEEjLi1ELi64ELi64ELi8EEEvPT_NS1_25CatArrInputTensorMetadataIS5_T0_XT2_EXT3_EEENS1_16TensorSizeStrideIS8_Lj4EEEiS8_
    .private_segment_fixed_size: 0
    .sgpr_count:     23
    .sgpr_spill_count: 0
    .symbol:         _ZN2at6native12_GLOBAL__N_135CatArrayBatchedCopy_alignedK_contigINS1_10OpaqueTypeILj4EEEjLi1ELi64ELi64ELi8EEEvPT_NS1_25CatArrInputTensorMetadataIS5_T0_XT2_EXT3_EEENS1_16TensorSizeStrideIS8_Lj4EEEiS8_.kd
    .uniform_work_group_size: 1
    .uses_dynamic_stack: false
    .vgpr_count:     11
    .vgpr_spill_count: 0
    .wavefront_size: 64
  - .agpr_count:     0
    .args:
      - .address_space:  global
        .offset:         0
        .size:           8
        .value_kind:     global_buffer
      - .offset:         8
        .size:           3392
        .value_kind:     by_value
      - .offset:         3400
        .size:           32
        .value_kind:     by_value
      - .offset:         3432
        .size:           4
        .value_kind:     by_value
      - .offset:         3436
        .size:           4
        .value_kind:     by_value
      - .offset:         3440
        .size:           4
        .value_kind:     hidden_block_count_x
      - .offset:         3444
        .size:           4
        .value_kind:     hidden_block_count_y
      - .offset:         3448
        .size:           4
        .value_kind:     hidden_block_count_z
      - .offset:         3452
        .size:           2
        .value_kind:     hidden_group_size_x
      - .offset:         3454
        .size:           2
        .value_kind:     hidden_group_size_y
      - .offset:         3456
        .size:           2
        .value_kind:     hidden_group_size_z
      - .offset:         3458
        .size:           2
        .value_kind:     hidden_remainder_x
      - .offset:         3460
        .size:           2
        .value_kind:     hidden_remainder_y
      - .offset:         3462
        .size:           2
        .value_kind:     hidden_remainder_z
      - .offset:         3480
        .size:           8
        .value_kind:     hidden_global_offset_x
      - .offset:         3488
        .size:           8
        .value_kind:     hidden_global_offset_y
      - .offset:         3496
        .size:           8
        .value_kind:     hidden_global_offset_z
      - .offset:         3504
        .size:           2
        .value_kind:     hidden_grid_dims
    .group_segment_fixed_size: 0
    .kernarg_segment_align: 8
    .kernarg_segment_size: 3696
    .language:       OpenCL C
    .language_version:
      - 2
      - 0
    .max_flat_workgroup_size: 1024
    .name:           _ZN2at6native12_GLOBAL__N_126CatArrayBatchedCopy_contigINS1_10OpaqueTypeILj4EEEjLi1ELi64ELi64EEEvPT_NS1_25CatArrInputTensorMetadataIS5_T0_XT2_EXT3_EEENS1_16TensorSizeStrideIS8_Lj4EEEiS8_
    .private_segment_fixed_size: 0
    .sgpr_count:     22
    .sgpr_spill_count: 0
    .symbol:         _ZN2at6native12_GLOBAL__N_126CatArrayBatchedCopy_contigINS1_10OpaqueTypeILj4EEEjLi1ELi64ELi64EEEvPT_NS1_25CatArrInputTensorMetadataIS5_T0_XT2_EXT3_EEENS1_16TensorSizeStrideIS8_Lj4EEEiS8_.kd
    .uniform_work_group_size: 1
    .uses_dynamic_stack: false
    .vgpr_count:     7
    .vgpr_spill_count: 0
    .wavefront_size: 64
  - .agpr_count:     0
    .args:
      - .address_space:  global
        .offset:         0
        .size:           8
        .value_kind:     global_buffer
      - .offset:         8
        .size:           3392
        .value_kind:     by_value
      - .offset:         3400
        .size:           32
        .value_kind:     by_value
      - .offset:         3432
        .size:           4
        .value_kind:     by_value
      - .offset:         3436
        .size:           4
        .value_kind:     by_value
      - .offset:         3440
        .size:           4
        .value_kind:     hidden_block_count_x
      - .offset:         3444
        .size:           4
        .value_kind:     hidden_block_count_y
      - .offset:         3448
        .size:           4
        .value_kind:     hidden_block_count_z
      - .offset:         3452
        .size:           2
        .value_kind:     hidden_group_size_x
      - .offset:         3454
        .size:           2
        .value_kind:     hidden_group_size_y
      - .offset:         3456
        .size:           2
        .value_kind:     hidden_group_size_z
      - .offset:         3458
        .size:           2
        .value_kind:     hidden_remainder_x
      - .offset:         3460
        .size:           2
        .value_kind:     hidden_remainder_y
      - .offset:         3462
        .size:           2
        .value_kind:     hidden_remainder_z
      - .offset:         3480
        .size:           8
        .value_kind:     hidden_global_offset_x
      - .offset:         3488
        .size:           8
        .value_kind:     hidden_global_offset_y
      - .offset:         3496
        .size:           8
        .value_kind:     hidden_global_offset_z
      - .offset:         3504
        .size:           2
        .value_kind:     hidden_grid_dims
    .group_segment_fixed_size: 0
    .kernarg_segment_align: 8
    .kernarg_segment_size: 3696
    .language:       OpenCL C
    .language_version:
      - 2
      - 0
    .max_flat_workgroup_size: 1024
    .name:           _ZN2at6native12_GLOBAL__N_119CatArrayBatchedCopyINS1_10OpaqueTypeILj4EEEjLi1ELi64ELi64EEEvPT_NS1_25CatArrInputTensorMetadataIS5_T0_XT2_EXT3_EEENS1_16TensorSizeStrideIS8_Lj4EEEiS8_
    .private_segment_fixed_size: 0
    .sgpr_count:     25
    .sgpr_spill_count: 0
    .symbol:         _ZN2at6native12_GLOBAL__N_119CatArrayBatchedCopyINS1_10OpaqueTypeILj4EEEjLi1ELi64ELi64EEEvPT_NS1_25CatArrInputTensorMetadataIS5_T0_XT2_EXT3_EEENS1_16TensorSizeStrideIS8_Lj4EEEiS8_.kd
    .uniform_work_group_size: 1
    .uses_dynamic_stack: false
    .vgpr_count:     8
    .vgpr_spill_count: 0
    .wavefront_size: 64
  - .agpr_count:     0
    .args:
      - .address_space:  global
        .offset:         0
        .size:           8
        .value_kind:     global_buffer
      - .offset:         8
        .size:           3392
        .value_kind:     by_value
      - .offset:         3400
        .size:           32
        .value_kind:     by_value
      - .offset:         3432
        .size:           4
        .value_kind:     by_value
      - .offset:         3436
        .size:           4
        .value_kind:     by_value
      - .offset:         3440
        .size:           4
        .value_kind:     hidden_block_count_x
      - .offset:         3444
        .size:           4
        .value_kind:     hidden_block_count_y
      - .offset:         3448
        .size:           4
        .value_kind:     hidden_block_count_z
      - .offset:         3452
        .size:           2
        .value_kind:     hidden_group_size_x
      - .offset:         3454
        .size:           2
        .value_kind:     hidden_group_size_y
      - .offset:         3456
        .size:           2
        .value_kind:     hidden_group_size_z
      - .offset:         3458
        .size:           2
        .value_kind:     hidden_remainder_x
      - .offset:         3460
        .size:           2
        .value_kind:     hidden_remainder_y
      - .offset:         3462
        .size:           2
        .value_kind:     hidden_remainder_z
      - .offset:         3480
        .size:           8
        .value_kind:     hidden_global_offset_x
      - .offset:         3488
        .size:           8
        .value_kind:     hidden_global_offset_y
      - .offset:         3496
        .size:           8
        .value_kind:     hidden_global_offset_z
      - .offset:         3504
        .size:           2
        .value_kind:     hidden_grid_dims
    .group_segment_fixed_size: 0
    .kernarg_segment_align: 8
    .kernarg_segment_size: 3696
    .language:       OpenCL C
    .language_version:
      - 2
      - 0
    .max_flat_workgroup_size: 1024
    .name:           _ZN2at6native12_GLOBAL__N_130CatArrayBatchedCopy_vectorizedINS1_10OpaqueTypeILj4EEEjLi2ELi64ELi64ELi16ELi4EEEvPcNS1_25CatArrInputTensorMetadataIT_T0_XT2_EXT3_EEENS1_16TensorSizeStrideIS8_Lj4EEEiS8_
    .private_segment_fixed_size: 0
    .sgpr_count:     24
    .sgpr_spill_count: 0
    .symbol:         _ZN2at6native12_GLOBAL__N_130CatArrayBatchedCopy_vectorizedINS1_10OpaqueTypeILj4EEEjLi2ELi64ELi64ELi16ELi4EEEvPcNS1_25CatArrInputTensorMetadataIT_T0_XT2_EXT3_EEENS1_16TensorSizeStrideIS8_Lj4EEEiS8_.kd
    .uniform_work_group_size: 1
    .uses_dynamic_stack: false
    .vgpr_count:     12
    .vgpr_spill_count: 0
    .wavefront_size: 64
  - .agpr_count:     0
    .args:
      - .address_space:  global
        .offset:         0
        .size:           8
        .value_kind:     global_buffer
      - .offset:         8
        .size:           3392
        .value_kind:     by_value
      - .offset:         3400
        .size:           32
        .value_kind:     by_value
      - .offset:         3432
        .size:           4
        .value_kind:     by_value
      - .offset:         3436
        .size:           4
        .value_kind:     by_value
      - .offset:         3440
        .size:           4
        .value_kind:     hidden_block_count_x
      - .offset:         3444
        .size:           4
        .value_kind:     hidden_block_count_y
      - .offset:         3448
        .size:           4
        .value_kind:     hidden_block_count_z
      - .offset:         3452
        .size:           2
        .value_kind:     hidden_group_size_x
      - .offset:         3454
        .size:           2
        .value_kind:     hidden_group_size_y
      - .offset:         3456
        .size:           2
        .value_kind:     hidden_group_size_z
      - .offset:         3458
        .size:           2
        .value_kind:     hidden_remainder_x
      - .offset:         3460
        .size:           2
        .value_kind:     hidden_remainder_y
      - .offset:         3462
        .size:           2
        .value_kind:     hidden_remainder_z
      - .offset:         3480
        .size:           8
        .value_kind:     hidden_global_offset_x
      - .offset:         3488
        .size:           8
        .value_kind:     hidden_global_offset_y
      - .offset:         3496
        .size:           8
        .value_kind:     hidden_global_offset_z
      - .offset:         3504
        .size:           2
        .value_kind:     hidden_grid_dims
    .group_segment_fixed_size: 0
    .kernarg_segment_align: 8
    .kernarg_segment_size: 3696
    .language:       OpenCL C
    .language_version:
      - 2
      - 0
    .max_flat_workgroup_size: 1024
    .name:           _ZN2at6native12_GLOBAL__N_135CatArrayBatchedCopy_alignedK_contigINS1_10OpaqueTypeILj4EEEjLi2ELi64ELi64ELi16EEEvPT_NS1_25CatArrInputTensorMetadataIS5_T0_XT2_EXT3_EEENS1_16TensorSizeStrideIS8_Lj4EEEiS8_
    .private_segment_fixed_size: 0
    .sgpr_count:     32
    .sgpr_spill_count: 0
    .symbol:         _ZN2at6native12_GLOBAL__N_135CatArrayBatchedCopy_alignedK_contigINS1_10OpaqueTypeILj4EEEjLi2ELi64ELi64ELi16EEEvPT_NS1_25CatArrInputTensorMetadataIS5_T0_XT2_EXT3_EEENS1_16TensorSizeStrideIS8_Lj4EEEiS8_.kd
    .uniform_work_group_size: 1
    .uses_dynamic_stack: false
    .vgpr_count:     35
    .vgpr_spill_count: 0
    .wavefront_size: 64
  - .agpr_count:     0
    .args:
      - .address_space:  global
        .offset:         0
        .size:           8
        .value_kind:     global_buffer
      - .offset:         8
        .size:           3392
        .value_kind:     by_value
      - .offset:         3400
        .size:           32
        .value_kind:     by_value
      - .offset:         3432
        .size:           4
        .value_kind:     by_value
      - .offset:         3436
        .size:           4
        .value_kind:     by_value
      - .offset:         3440
        .size:           4
        .value_kind:     hidden_block_count_x
      - .offset:         3444
        .size:           4
        .value_kind:     hidden_block_count_y
      - .offset:         3448
        .size:           4
        .value_kind:     hidden_block_count_z
      - .offset:         3452
        .size:           2
        .value_kind:     hidden_group_size_x
      - .offset:         3454
        .size:           2
        .value_kind:     hidden_group_size_y
      - .offset:         3456
        .size:           2
        .value_kind:     hidden_group_size_z
      - .offset:         3458
        .size:           2
        .value_kind:     hidden_remainder_x
      - .offset:         3460
        .size:           2
        .value_kind:     hidden_remainder_y
      - .offset:         3462
        .size:           2
        .value_kind:     hidden_remainder_z
      - .offset:         3480
        .size:           8
        .value_kind:     hidden_global_offset_x
      - .offset:         3488
        .size:           8
        .value_kind:     hidden_global_offset_y
      - .offset:         3496
        .size:           8
        .value_kind:     hidden_global_offset_z
      - .offset:         3504
        .size:           2
        .value_kind:     hidden_grid_dims
    .group_segment_fixed_size: 0
    .kernarg_segment_align: 8
    .kernarg_segment_size: 3696
    .language:       OpenCL C
    .language_version:
      - 2
      - 0
    .max_flat_workgroup_size: 1024
    .name:           _ZN2at6native12_GLOBAL__N_135CatArrayBatchedCopy_alignedK_contigINS1_10OpaqueTypeILj4EEEjLi2ELi64ELi64ELi8EEEvPT_NS1_25CatArrInputTensorMetadataIS5_T0_XT2_EXT3_EEENS1_16TensorSizeStrideIS8_Lj4EEEiS8_
    .private_segment_fixed_size: 0
    .sgpr_count:     28
    .sgpr_spill_count: 0
    .symbol:         _ZN2at6native12_GLOBAL__N_135CatArrayBatchedCopy_alignedK_contigINS1_10OpaqueTypeILj4EEEjLi2ELi64ELi64ELi8EEEvPT_NS1_25CatArrInputTensorMetadataIS5_T0_XT2_EXT3_EEENS1_16TensorSizeStrideIS8_Lj4EEEiS8_.kd
    .uniform_work_group_size: 1
    .uses_dynamic_stack: false
    .vgpr_count:     19
    .vgpr_spill_count: 0
    .wavefront_size: 64
  - .agpr_count:     0
    .args:
      - .address_space:  global
        .offset:         0
        .size:           8
        .value_kind:     global_buffer
      - .offset:         8
        .size:           3392
        .value_kind:     by_value
      - .offset:         3400
        .size:           32
        .value_kind:     by_value
      - .offset:         3432
        .size:           4
        .value_kind:     by_value
      - .offset:         3436
        .size:           4
        .value_kind:     by_value
      - .offset:         3440
        .size:           4
        .value_kind:     hidden_block_count_x
      - .offset:         3444
        .size:           4
        .value_kind:     hidden_block_count_y
      - .offset:         3448
        .size:           4
        .value_kind:     hidden_block_count_z
      - .offset:         3452
        .size:           2
        .value_kind:     hidden_group_size_x
      - .offset:         3454
        .size:           2
        .value_kind:     hidden_group_size_y
      - .offset:         3456
        .size:           2
        .value_kind:     hidden_group_size_z
      - .offset:         3458
        .size:           2
        .value_kind:     hidden_remainder_x
      - .offset:         3460
        .size:           2
        .value_kind:     hidden_remainder_y
      - .offset:         3462
        .size:           2
        .value_kind:     hidden_remainder_z
      - .offset:         3480
        .size:           8
        .value_kind:     hidden_global_offset_x
      - .offset:         3488
        .size:           8
        .value_kind:     hidden_global_offset_y
      - .offset:         3496
        .size:           8
        .value_kind:     hidden_global_offset_z
      - .offset:         3504
        .size:           2
        .value_kind:     hidden_grid_dims
    .group_segment_fixed_size: 0
    .kernarg_segment_align: 8
    .kernarg_segment_size: 3696
    .language:       OpenCL C
    .language_version:
      - 2
      - 0
    .max_flat_workgroup_size: 1024
    .name:           _ZN2at6native12_GLOBAL__N_126CatArrayBatchedCopy_contigINS1_10OpaqueTypeILj4EEEjLi2ELi64ELi64EEEvPT_NS1_25CatArrInputTensorMetadataIS5_T0_XT2_EXT3_EEENS1_16TensorSizeStrideIS8_Lj4EEEiS8_
    .private_segment_fixed_size: 0
    .sgpr_count:     24
    .sgpr_spill_count: 0
    .symbol:         _ZN2at6native12_GLOBAL__N_126CatArrayBatchedCopy_contigINS1_10OpaqueTypeILj4EEEjLi2ELi64ELi64EEEvPT_NS1_25CatArrInputTensorMetadataIS5_T0_XT2_EXT3_EEENS1_16TensorSizeStrideIS8_Lj4EEEiS8_.kd
    .uniform_work_group_size: 1
    .uses_dynamic_stack: false
    .vgpr_count:     10
    .vgpr_spill_count: 0
    .wavefront_size: 64
  - .agpr_count:     0
    .args:
      - .address_space:  global
        .offset:         0
        .size:           8
        .value_kind:     global_buffer
      - .offset:         8
        .size:           3392
        .value_kind:     by_value
      - .offset:         3400
        .size:           32
        .value_kind:     by_value
      - .offset:         3432
        .size:           4
        .value_kind:     by_value
      - .offset:         3436
        .size:           4
        .value_kind:     by_value
      - .offset:         3440
        .size:           4
        .value_kind:     hidden_block_count_x
      - .offset:         3444
        .size:           4
        .value_kind:     hidden_block_count_y
      - .offset:         3448
        .size:           4
        .value_kind:     hidden_block_count_z
      - .offset:         3452
        .size:           2
        .value_kind:     hidden_group_size_x
      - .offset:         3454
        .size:           2
        .value_kind:     hidden_group_size_y
      - .offset:         3456
        .size:           2
        .value_kind:     hidden_group_size_z
      - .offset:         3458
        .size:           2
        .value_kind:     hidden_remainder_x
      - .offset:         3460
        .size:           2
        .value_kind:     hidden_remainder_y
      - .offset:         3462
        .size:           2
        .value_kind:     hidden_remainder_z
      - .offset:         3480
        .size:           8
        .value_kind:     hidden_global_offset_x
      - .offset:         3488
        .size:           8
        .value_kind:     hidden_global_offset_y
      - .offset:         3496
        .size:           8
        .value_kind:     hidden_global_offset_z
      - .offset:         3504
        .size:           2
        .value_kind:     hidden_grid_dims
    .group_segment_fixed_size: 0
    .kernarg_segment_align: 8
    .kernarg_segment_size: 3696
    .language:       OpenCL C
    .language_version:
      - 2
      - 0
    .max_flat_workgroup_size: 1024
    .name:           _ZN2at6native12_GLOBAL__N_119CatArrayBatchedCopyINS1_10OpaqueTypeILj4EEEjLi2ELi64ELi64EEEvPT_NS1_25CatArrInputTensorMetadataIS5_T0_XT2_EXT3_EEENS1_16TensorSizeStrideIS8_Lj4EEEiS8_
    .private_segment_fixed_size: 0
    .sgpr_count:     31
    .sgpr_spill_count: 0
    .symbol:         _ZN2at6native12_GLOBAL__N_119CatArrayBatchedCopyINS1_10OpaqueTypeILj4EEEjLi2ELi64ELi64EEEvPT_NS1_25CatArrInputTensorMetadataIS5_T0_XT2_EXT3_EEENS1_16TensorSizeStrideIS8_Lj4EEEiS8_.kd
    .uniform_work_group_size: 1
    .uses_dynamic_stack: false
    .vgpr_count:     9
    .vgpr_spill_count: 0
    .wavefront_size: 64
  - .agpr_count:     0
    .args:
      - .address_space:  global
        .offset:         0
        .size:           8
        .value_kind:     global_buffer
      - .offset:         8
        .size:           3392
        .value_kind:     by_value
      - .offset:         3400
        .size:           32
        .value_kind:     by_value
      - .offset:         3432
        .size:           4
        .value_kind:     by_value
      - .offset:         3436
        .size:           4
        .value_kind:     by_value
      - .offset:         3440
        .size:           4
        .value_kind:     hidden_block_count_x
      - .offset:         3444
        .size:           4
        .value_kind:     hidden_block_count_y
      - .offset:         3448
        .size:           4
        .value_kind:     hidden_block_count_z
      - .offset:         3452
        .size:           2
        .value_kind:     hidden_group_size_x
      - .offset:         3454
        .size:           2
        .value_kind:     hidden_group_size_y
      - .offset:         3456
        .size:           2
        .value_kind:     hidden_group_size_z
      - .offset:         3458
        .size:           2
        .value_kind:     hidden_remainder_x
      - .offset:         3460
        .size:           2
        .value_kind:     hidden_remainder_y
      - .offset:         3462
        .size:           2
        .value_kind:     hidden_remainder_z
      - .offset:         3480
        .size:           8
        .value_kind:     hidden_global_offset_x
      - .offset:         3488
        .size:           8
        .value_kind:     hidden_global_offset_y
      - .offset:         3496
        .size:           8
        .value_kind:     hidden_global_offset_z
      - .offset:         3504
        .size:           2
        .value_kind:     hidden_grid_dims
    .group_segment_fixed_size: 0
    .kernarg_segment_align: 8
    .kernarg_segment_size: 3696
    .language:       OpenCL C
    .language_version:
      - 2
      - 0
    .max_flat_workgroup_size: 1024
    .name:           _ZN2at6native12_GLOBAL__N_130CatArrayBatchedCopy_vectorizedINS1_10OpaqueTypeILj4EEEjLi3ELi64ELi64ELi16ELi4EEEvPcNS1_25CatArrInputTensorMetadataIT_T0_XT2_EXT3_EEENS1_16TensorSizeStrideIS8_Lj4EEEiS8_
    .private_segment_fixed_size: 0
    .sgpr_count:     32
    .sgpr_spill_count: 0
    .symbol:         _ZN2at6native12_GLOBAL__N_130CatArrayBatchedCopy_vectorizedINS1_10OpaqueTypeILj4EEEjLi3ELi64ELi64ELi16ELi4EEEvPcNS1_25CatArrInputTensorMetadataIT_T0_XT2_EXT3_EEENS1_16TensorSizeStrideIS8_Lj4EEEiS8_.kd
    .uniform_work_group_size: 1
    .uses_dynamic_stack: false
    .vgpr_count:     14
    .vgpr_spill_count: 0
    .wavefront_size: 64
  - .agpr_count:     0
    .args:
      - .address_space:  global
        .offset:         0
        .size:           8
        .value_kind:     global_buffer
      - .offset:         8
        .size:           3392
        .value_kind:     by_value
      - .offset:         3400
        .size:           32
        .value_kind:     by_value
      - .offset:         3432
        .size:           4
        .value_kind:     by_value
      - .offset:         3436
        .size:           4
        .value_kind:     by_value
      - .offset:         3440
        .size:           4
        .value_kind:     hidden_block_count_x
      - .offset:         3444
        .size:           4
        .value_kind:     hidden_block_count_y
      - .offset:         3448
        .size:           4
        .value_kind:     hidden_block_count_z
      - .offset:         3452
        .size:           2
        .value_kind:     hidden_group_size_x
      - .offset:         3454
        .size:           2
        .value_kind:     hidden_group_size_y
      - .offset:         3456
        .size:           2
        .value_kind:     hidden_group_size_z
      - .offset:         3458
        .size:           2
        .value_kind:     hidden_remainder_x
      - .offset:         3460
        .size:           2
        .value_kind:     hidden_remainder_y
      - .offset:         3462
        .size:           2
        .value_kind:     hidden_remainder_z
      - .offset:         3480
        .size:           8
        .value_kind:     hidden_global_offset_x
      - .offset:         3488
        .size:           8
        .value_kind:     hidden_global_offset_y
      - .offset:         3496
        .size:           8
        .value_kind:     hidden_global_offset_z
      - .offset:         3504
        .size:           2
        .value_kind:     hidden_grid_dims
    .group_segment_fixed_size: 0
    .kernarg_segment_align: 8
    .kernarg_segment_size: 3696
    .language:       OpenCL C
    .language_version:
      - 2
      - 0
    .max_flat_workgroup_size: 1024
    .name:           _ZN2at6native12_GLOBAL__N_135CatArrayBatchedCopy_alignedK_contigINS1_10OpaqueTypeILj4EEEjLi3ELi64ELi64ELi16EEEvPT_NS1_25CatArrInputTensorMetadataIS5_T0_XT2_EXT3_EEENS1_16TensorSizeStrideIS8_Lj4EEEiS8_
    .private_segment_fixed_size: 0
    .sgpr_count:     36
    .sgpr_spill_count: 0
    .symbol:         _ZN2at6native12_GLOBAL__N_135CatArrayBatchedCopy_alignedK_contigINS1_10OpaqueTypeILj4EEEjLi3ELi64ELi64ELi16EEEvPT_NS1_25CatArrInputTensorMetadataIS5_T0_XT2_EXT3_EEENS1_16TensorSizeStrideIS8_Lj4EEEiS8_.kd
    .uniform_work_group_size: 1
    .uses_dynamic_stack: false
    .vgpr_count:     37
    .vgpr_spill_count: 0
    .wavefront_size: 64
  - .agpr_count:     0
    .args:
      - .address_space:  global
        .offset:         0
        .size:           8
        .value_kind:     global_buffer
      - .offset:         8
        .size:           3392
        .value_kind:     by_value
      - .offset:         3400
        .size:           32
        .value_kind:     by_value
      - .offset:         3432
        .size:           4
        .value_kind:     by_value
      - .offset:         3436
        .size:           4
        .value_kind:     by_value
      - .offset:         3440
        .size:           4
        .value_kind:     hidden_block_count_x
      - .offset:         3444
        .size:           4
        .value_kind:     hidden_block_count_y
      - .offset:         3448
        .size:           4
        .value_kind:     hidden_block_count_z
      - .offset:         3452
        .size:           2
        .value_kind:     hidden_group_size_x
      - .offset:         3454
        .size:           2
        .value_kind:     hidden_group_size_y
      - .offset:         3456
        .size:           2
        .value_kind:     hidden_group_size_z
      - .offset:         3458
        .size:           2
        .value_kind:     hidden_remainder_x
      - .offset:         3460
        .size:           2
        .value_kind:     hidden_remainder_y
      - .offset:         3462
        .size:           2
        .value_kind:     hidden_remainder_z
      - .offset:         3480
        .size:           8
        .value_kind:     hidden_global_offset_x
      - .offset:         3488
        .size:           8
        .value_kind:     hidden_global_offset_y
      - .offset:         3496
        .size:           8
        .value_kind:     hidden_global_offset_z
      - .offset:         3504
        .size:           2
        .value_kind:     hidden_grid_dims
    .group_segment_fixed_size: 0
    .kernarg_segment_align: 8
    .kernarg_segment_size: 3696
    .language:       OpenCL C
    .language_version:
      - 2
      - 0
    .max_flat_workgroup_size: 1024
    .name:           _ZN2at6native12_GLOBAL__N_135CatArrayBatchedCopy_alignedK_contigINS1_10OpaqueTypeILj4EEEjLi3ELi64ELi64ELi8EEEvPT_NS1_25CatArrInputTensorMetadataIS5_T0_XT2_EXT3_EEENS1_16TensorSizeStrideIS8_Lj4EEEiS8_
    .private_segment_fixed_size: 0
    .sgpr_count:     32
    .sgpr_spill_count: 0
    .symbol:         _ZN2at6native12_GLOBAL__N_135CatArrayBatchedCopy_alignedK_contigINS1_10OpaqueTypeILj4EEEjLi3ELi64ELi64ELi8EEEvPT_NS1_25CatArrInputTensorMetadataIS5_T0_XT2_EXT3_EEENS1_16TensorSizeStrideIS8_Lj4EEEiS8_.kd
    .uniform_work_group_size: 1
    .uses_dynamic_stack: false
    .vgpr_count:     21
    .vgpr_spill_count: 0
    .wavefront_size: 64
  - .agpr_count:     0
    .args:
      - .address_space:  global
        .offset:         0
        .size:           8
        .value_kind:     global_buffer
      - .offset:         8
        .size:           3392
        .value_kind:     by_value
      - .offset:         3400
        .size:           32
        .value_kind:     by_value
      - .offset:         3432
        .size:           4
        .value_kind:     by_value
      - .offset:         3436
        .size:           4
        .value_kind:     by_value
      - .offset:         3440
        .size:           4
        .value_kind:     hidden_block_count_x
      - .offset:         3444
        .size:           4
        .value_kind:     hidden_block_count_y
      - .offset:         3448
        .size:           4
        .value_kind:     hidden_block_count_z
      - .offset:         3452
        .size:           2
        .value_kind:     hidden_group_size_x
      - .offset:         3454
        .size:           2
        .value_kind:     hidden_group_size_y
      - .offset:         3456
        .size:           2
        .value_kind:     hidden_group_size_z
      - .offset:         3458
        .size:           2
        .value_kind:     hidden_remainder_x
      - .offset:         3460
        .size:           2
        .value_kind:     hidden_remainder_y
      - .offset:         3462
        .size:           2
        .value_kind:     hidden_remainder_z
      - .offset:         3480
        .size:           8
        .value_kind:     hidden_global_offset_x
      - .offset:         3488
        .size:           8
        .value_kind:     hidden_global_offset_y
      - .offset:         3496
        .size:           8
        .value_kind:     hidden_global_offset_z
      - .offset:         3504
        .size:           2
        .value_kind:     hidden_grid_dims
    .group_segment_fixed_size: 0
    .kernarg_segment_align: 8
    .kernarg_segment_size: 3696
    .language:       OpenCL C
    .language_version:
      - 2
      - 0
    .max_flat_workgroup_size: 1024
    .name:           _ZN2at6native12_GLOBAL__N_126CatArrayBatchedCopy_contigINS1_10OpaqueTypeILj4EEEjLi3ELi64ELi64EEEvPT_NS1_25CatArrInputTensorMetadataIS5_T0_XT2_EXT3_EEENS1_16TensorSizeStrideIS8_Lj4EEEiS8_
    .private_segment_fixed_size: 0
    .sgpr_count:     30
    .sgpr_spill_count: 0
    .symbol:         _ZN2at6native12_GLOBAL__N_126CatArrayBatchedCopy_contigINS1_10OpaqueTypeILj4EEEjLi3ELi64ELi64EEEvPT_NS1_25CatArrInputTensorMetadataIS5_T0_XT2_EXT3_EEENS1_16TensorSizeStrideIS8_Lj4EEEiS8_.kd
    .uniform_work_group_size: 1
    .uses_dynamic_stack: false
    .vgpr_count:     11
    .vgpr_spill_count: 0
    .wavefront_size: 64
  - .agpr_count:     0
    .args:
      - .address_space:  global
        .offset:         0
        .size:           8
        .value_kind:     global_buffer
      - .offset:         8
        .size:           3392
        .value_kind:     by_value
      - .offset:         3400
        .size:           32
        .value_kind:     by_value
      - .offset:         3432
        .size:           4
        .value_kind:     by_value
      - .offset:         3436
        .size:           4
        .value_kind:     by_value
      - .offset:         3440
        .size:           4
        .value_kind:     hidden_block_count_x
      - .offset:         3444
        .size:           4
        .value_kind:     hidden_block_count_y
      - .offset:         3448
        .size:           4
        .value_kind:     hidden_block_count_z
      - .offset:         3452
        .size:           2
        .value_kind:     hidden_group_size_x
      - .offset:         3454
        .size:           2
        .value_kind:     hidden_group_size_y
      - .offset:         3456
        .size:           2
        .value_kind:     hidden_group_size_z
      - .offset:         3458
        .size:           2
        .value_kind:     hidden_remainder_x
      - .offset:         3460
        .size:           2
        .value_kind:     hidden_remainder_y
      - .offset:         3462
        .size:           2
        .value_kind:     hidden_remainder_z
      - .offset:         3480
        .size:           8
        .value_kind:     hidden_global_offset_x
      - .offset:         3488
        .size:           8
        .value_kind:     hidden_global_offset_y
      - .offset:         3496
        .size:           8
        .value_kind:     hidden_global_offset_z
      - .offset:         3504
        .size:           2
        .value_kind:     hidden_grid_dims
    .group_segment_fixed_size: 0
    .kernarg_segment_align: 8
    .kernarg_segment_size: 3696
    .language:       OpenCL C
    .language_version:
      - 2
      - 0
    .max_flat_workgroup_size: 1024
    .name:           _ZN2at6native12_GLOBAL__N_119CatArrayBatchedCopyINS1_10OpaqueTypeILj4EEEjLi3ELi64ELi64EEEvPT_NS1_25CatArrInputTensorMetadataIS5_T0_XT2_EXT3_EEENS1_16TensorSizeStrideIS8_Lj4EEEiS8_
    .private_segment_fixed_size: 0
    .sgpr_count:     35
    .sgpr_spill_count: 0
    .symbol:         _ZN2at6native12_GLOBAL__N_119CatArrayBatchedCopyINS1_10OpaqueTypeILj4EEEjLi3ELi64ELi64EEEvPT_NS1_25CatArrInputTensorMetadataIS5_T0_XT2_EXT3_EEENS1_16TensorSizeStrideIS8_Lj4EEEiS8_.kd
    .uniform_work_group_size: 1
    .uses_dynamic_stack: false
    .vgpr_count:     12
    .vgpr_spill_count: 0
    .wavefront_size: 64
  - .agpr_count:     0
    .args:
      - .address_space:  global
        .offset:         0
        .size:           8
        .value_kind:     global_buffer
      - .offset:         8
        .size:           3392
        .value_kind:     by_value
      - .offset:         3400
        .size:           32
        .value_kind:     by_value
      - .offset:         3432
        .size:           4
        .value_kind:     by_value
      - .offset:         3436
        .size:           4
        .value_kind:     by_value
      - .offset:         3440
        .size:           4
        .value_kind:     hidden_block_count_x
      - .offset:         3444
        .size:           4
        .value_kind:     hidden_block_count_y
      - .offset:         3448
        .size:           4
        .value_kind:     hidden_block_count_z
      - .offset:         3452
        .size:           2
        .value_kind:     hidden_group_size_x
      - .offset:         3454
        .size:           2
        .value_kind:     hidden_group_size_y
      - .offset:         3456
        .size:           2
        .value_kind:     hidden_group_size_z
      - .offset:         3458
        .size:           2
        .value_kind:     hidden_remainder_x
      - .offset:         3460
        .size:           2
        .value_kind:     hidden_remainder_y
      - .offset:         3462
        .size:           2
        .value_kind:     hidden_remainder_z
      - .offset:         3480
        .size:           8
        .value_kind:     hidden_global_offset_x
      - .offset:         3488
        .size:           8
        .value_kind:     hidden_global_offset_y
      - .offset:         3496
        .size:           8
        .value_kind:     hidden_global_offset_z
      - .offset:         3504
        .size:           2
        .value_kind:     hidden_grid_dims
    .group_segment_fixed_size: 0
    .kernarg_segment_align: 8
    .kernarg_segment_size: 3696
    .language:       OpenCL C
    .language_version:
      - 2
      - 0
    .max_flat_workgroup_size: 1024
    .name:           _ZN2at6native12_GLOBAL__N_130CatArrayBatchedCopy_vectorizedINS1_10OpaqueTypeILj4EEEjLi4ELi64ELi64ELi16ELi4EEEvPcNS1_25CatArrInputTensorMetadataIT_T0_XT2_EXT3_EEENS1_16TensorSizeStrideIS8_Lj4EEEiS8_
    .private_segment_fixed_size: 0
    .sgpr_count:     32
    .sgpr_spill_count: 0
    .symbol:         _ZN2at6native12_GLOBAL__N_130CatArrayBatchedCopy_vectorizedINS1_10OpaqueTypeILj4EEEjLi4ELi64ELi64ELi16ELi4EEEvPcNS1_25CatArrInputTensorMetadataIT_T0_XT2_EXT3_EEENS1_16TensorSizeStrideIS8_Lj4EEEiS8_.kd
    .uniform_work_group_size: 1
    .uses_dynamic_stack: false
    .vgpr_count:     16
    .vgpr_spill_count: 0
    .wavefront_size: 64
  - .agpr_count:     0
    .args:
      - .address_space:  global
        .offset:         0
        .size:           8
        .value_kind:     global_buffer
      - .offset:         8
        .size:           3392
        .value_kind:     by_value
      - .offset:         3400
        .size:           32
        .value_kind:     by_value
      - .offset:         3432
        .size:           4
        .value_kind:     by_value
      - .offset:         3436
        .size:           4
        .value_kind:     by_value
      - .offset:         3440
        .size:           4
        .value_kind:     hidden_block_count_x
      - .offset:         3444
        .size:           4
        .value_kind:     hidden_block_count_y
      - .offset:         3448
        .size:           4
        .value_kind:     hidden_block_count_z
      - .offset:         3452
        .size:           2
        .value_kind:     hidden_group_size_x
      - .offset:         3454
        .size:           2
        .value_kind:     hidden_group_size_y
      - .offset:         3456
        .size:           2
        .value_kind:     hidden_group_size_z
      - .offset:         3458
        .size:           2
        .value_kind:     hidden_remainder_x
      - .offset:         3460
        .size:           2
        .value_kind:     hidden_remainder_y
      - .offset:         3462
        .size:           2
        .value_kind:     hidden_remainder_z
      - .offset:         3480
        .size:           8
        .value_kind:     hidden_global_offset_x
      - .offset:         3488
        .size:           8
        .value_kind:     hidden_global_offset_y
      - .offset:         3496
        .size:           8
        .value_kind:     hidden_global_offset_z
      - .offset:         3504
        .size:           2
        .value_kind:     hidden_grid_dims
    .group_segment_fixed_size: 0
    .kernarg_segment_align: 8
    .kernarg_segment_size: 3696
    .language:       OpenCL C
    .language_version:
      - 2
      - 0
    .max_flat_workgroup_size: 1024
    .name:           _ZN2at6native12_GLOBAL__N_135CatArrayBatchedCopy_alignedK_contigINS1_10OpaqueTypeILj4EEEjLi4ELi64ELi64ELi16EEEvPT_NS1_25CatArrInputTensorMetadataIS5_T0_XT2_EXT3_EEENS1_16TensorSizeStrideIS8_Lj4EEEiS8_
    .private_segment_fixed_size: 0
    .sgpr_count:     38
    .sgpr_spill_count: 0
    .symbol:         _ZN2at6native12_GLOBAL__N_135CatArrayBatchedCopy_alignedK_contigINS1_10OpaqueTypeILj4EEEjLi4ELi64ELi64ELi16EEEvPT_NS1_25CatArrInputTensorMetadataIS5_T0_XT2_EXT3_EEENS1_16TensorSizeStrideIS8_Lj4EEEiS8_.kd
    .uniform_work_group_size: 1
    .uses_dynamic_stack: false
    .vgpr_count:     40
    .vgpr_spill_count: 0
    .wavefront_size: 64
  - .agpr_count:     0
    .args:
      - .address_space:  global
        .offset:         0
        .size:           8
        .value_kind:     global_buffer
      - .offset:         8
        .size:           3392
        .value_kind:     by_value
      - .offset:         3400
        .size:           32
        .value_kind:     by_value
      - .offset:         3432
        .size:           4
        .value_kind:     by_value
      - .offset:         3436
        .size:           4
        .value_kind:     by_value
      - .offset:         3440
        .size:           4
        .value_kind:     hidden_block_count_x
      - .offset:         3444
        .size:           4
        .value_kind:     hidden_block_count_y
      - .offset:         3448
        .size:           4
        .value_kind:     hidden_block_count_z
      - .offset:         3452
        .size:           2
        .value_kind:     hidden_group_size_x
      - .offset:         3454
        .size:           2
        .value_kind:     hidden_group_size_y
      - .offset:         3456
        .size:           2
        .value_kind:     hidden_group_size_z
      - .offset:         3458
        .size:           2
        .value_kind:     hidden_remainder_x
      - .offset:         3460
        .size:           2
        .value_kind:     hidden_remainder_y
      - .offset:         3462
        .size:           2
        .value_kind:     hidden_remainder_z
      - .offset:         3480
        .size:           8
        .value_kind:     hidden_global_offset_x
      - .offset:         3488
        .size:           8
        .value_kind:     hidden_global_offset_y
      - .offset:         3496
        .size:           8
        .value_kind:     hidden_global_offset_z
      - .offset:         3504
        .size:           2
        .value_kind:     hidden_grid_dims
    .group_segment_fixed_size: 0
    .kernarg_segment_align: 8
    .kernarg_segment_size: 3696
    .language:       OpenCL C
    .language_version:
      - 2
      - 0
    .max_flat_workgroup_size: 1024
    .name:           _ZN2at6native12_GLOBAL__N_135CatArrayBatchedCopy_alignedK_contigINS1_10OpaqueTypeILj4EEEjLi4ELi64ELi64ELi8EEEvPT_NS1_25CatArrInputTensorMetadataIS5_T0_XT2_EXT3_EEENS1_16TensorSizeStrideIS8_Lj4EEEiS8_
    .private_segment_fixed_size: 0
    .sgpr_count:     34
    .sgpr_spill_count: 0
    .symbol:         _ZN2at6native12_GLOBAL__N_135CatArrayBatchedCopy_alignedK_contigINS1_10OpaqueTypeILj4EEEjLi4ELi64ELi64ELi8EEEvPT_NS1_25CatArrInputTensorMetadataIS5_T0_XT2_EXT3_EEENS1_16TensorSizeStrideIS8_Lj4EEEiS8_.kd
    .uniform_work_group_size: 1
    .uses_dynamic_stack: false
    .vgpr_count:     22
    .vgpr_spill_count: 0
    .wavefront_size: 64
  - .agpr_count:     0
    .args:
      - .address_space:  global
        .offset:         0
        .size:           8
        .value_kind:     global_buffer
      - .offset:         8
        .size:           3392
        .value_kind:     by_value
      - .offset:         3400
        .size:           32
        .value_kind:     by_value
      - .offset:         3432
        .size:           4
        .value_kind:     by_value
      - .offset:         3436
        .size:           4
        .value_kind:     by_value
      - .offset:         3440
        .size:           4
        .value_kind:     hidden_block_count_x
      - .offset:         3444
        .size:           4
        .value_kind:     hidden_block_count_y
      - .offset:         3448
        .size:           4
        .value_kind:     hidden_block_count_z
      - .offset:         3452
        .size:           2
        .value_kind:     hidden_group_size_x
      - .offset:         3454
        .size:           2
        .value_kind:     hidden_group_size_y
      - .offset:         3456
        .size:           2
        .value_kind:     hidden_group_size_z
      - .offset:         3458
        .size:           2
        .value_kind:     hidden_remainder_x
      - .offset:         3460
        .size:           2
        .value_kind:     hidden_remainder_y
      - .offset:         3462
        .size:           2
        .value_kind:     hidden_remainder_z
      - .offset:         3480
        .size:           8
        .value_kind:     hidden_global_offset_x
      - .offset:         3488
        .size:           8
        .value_kind:     hidden_global_offset_y
      - .offset:         3496
        .size:           8
        .value_kind:     hidden_global_offset_z
      - .offset:         3504
        .size:           2
        .value_kind:     hidden_grid_dims
    .group_segment_fixed_size: 0
    .kernarg_segment_align: 8
    .kernarg_segment_size: 3696
    .language:       OpenCL C
    .language_version:
      - 2
      - 0
    .max_flat_workgroup_size: 1024
    .name:           _ZN2at6native12_GLOBAL__N_126CatArrayBatchedCopy_contigINS1_10OpaqueTypeILj4EEEjLi4ELi64ELi64EEEvPT_NS1_25CatArrInputTensorMetadataIS5_T0_XT2_EXT3_EEENS1_16TensorSizeStrideIS8_Lj4EEEiS8_
    .private_segment_fixed_size: 0
    .sgpr_count:     33
    .sgpr_spill_count: 0
    .symbol:         _ZN2at6native12_GLOBAL__N_126CatArrayBatchedCopy_contigINS1_10OpaqueTypeILj4EEEjLi4ELi64ELi64EEEvPT_NS1_25CatArrInputTensorMetadataIS5_T0_XT2_EXT3_EEENS1_16TensorSizeStrideIS8_Lj4EEEiS8_.kd
    .uniform_work_group_size: 1
    .uses_dynamic_stack: false
    .vgpr_count:     14
    .vgpr_spill_count: 0
    .wavefront_size: 64
  - .agpr_count:     0
    .args:
      - .address_space:  global
        .offset:         0
        .size:           8
        .value_kind:     global_buffer
      - .offset:         8
        .size:           3392
        .value_kind:     by_value
      - .offset:         3400
        .size:           32
        .value_kind:     by_value
      - .offset:         3432
        .size:           4
        .value_kind:     by_value
      - .offset:         3436
        .size:           4
        .value_kind:     by_value
      - .offset:         3440
        .size:           4
        .value_kind:     hidden_block_count_x
      - .offset:         3444
        .size:           4
        .value_kind:     hidden_block_count_y
      - .offset:         3448
        .size:           4
        .value_kind:     hidden_block_count_z
      - .offset:         3452
        .size:           2
        .value_kind:     hidden_group_size_x
      - .offset:         3454
        .size:           2
        .value_kind:     hidden_group_size_y
      - .offset:         3456
        .size:           2
        .value_kind:     hidden_group_size_z
      - .offset:         3458
        .size:           2
        .value_kind:     hidden_remainder_x
      - .offset:         3460
        .size:           2
        .value_kind:     hidden_remainder_y
      - .offset:         3462
        .size:           2
        .value_kind:     hidden_remainder_z
      - .offset:         3480
        .size:           8
        .value_kind:     hidden_global_offset_x
      - .offset:         3488
        .size:           8
        .value_kind:     hidden_global_offset_y
      - .offset:         3496
        .size:           8
        .value_kind:     hidden_global_offset_z
      - .offset:         3504
        .size:           2
        .value_kind:     hidden_grid_dims
    .group_segment_fixed_size: 0
    .kernarg_segment_align: 8
    .kernarg_segment_size: 3696
    .language:       OpenCL C
    .language_version:
      - 2
      - 0
    .max_flat_workgroup_size: 1024
    .name:           _ZN2at6native12_GLOBAL__N_119CatArrayBatchedCopyINS1_10OpaqueTypeILj4EEEjLi4ELi64ELi64EEEvPT_NS1_25CatArrInputTensorMetadataIS5_T0_XT2_EXT3_EEENS1_16TensorSizeStrideIS8_Lj4EEEiS8_
    .private_segment_fixed_size: 0
    .sgpr_count:     38
    .sgpr_spill_count: 0
    .symbol:         _ZN2at6native12_GLOBAL__N_119CatArrayBatchedCopyINS1_10OpaqueTypeILj4EEEjLi4ELi64ELi64EEEvPT_NS1_25CatArrInputTensorMetadataIS5_T0_XT2_EXT3_EEENS1_16TensorSizeStrideIS8_Lj4EEEiS8_.kd
    .uniform_work_group_size: 1
    .uses_dynamic_stack: false
    .vgpr_count:     15
    .vgpr_spill_count: 0
    .wavefront_size: 64
  - .agpr_count:     0
    .args:
      - .address_space:  global
        .offset:         0
        .size:           8
        .value_kind:     global_buffer
      - .offset:         8
        .size:           3392
        .value_kind:     by_value
      - .offset:         3400
        .size:           32
        .value_kind:     by_value
      - .offset:         3432
        .size:           4
        .value_kind:     by_value
      - .offset:         3436
        .size:           4
        .value_kind:     by_value
      - .offset:         3440
        .size:           4
        .value_kind:     hidden_block_count_x
      - .offset:         3444
        .size:           4
        .value_kind:     hidden_block_count_y
      - .offset:         3448
        .size:           4
        .value_kind:     hidden_block_count_z
      - .offset:         3452
        .size:           2
        .value_kind:     hidden_group_size_x
      - .offset:         3454
        .size:           2
        .value_kind:     hidden_group_size_y
      - .offset:         3456
        .size:           2
        .value_kind:     hidden_group_size_z
      - .offset:         3458
        .size:           2
        .value_kind:     hidden_remainder_x
      - .offset:         3460
        .size:           2
        .value_kind:     hidden_remainder_y
      - .offset:         3462
        .size:           2
        .value_kind:     hidden_remainder_z
      - .offset:         3480
        .size:           8
        .value_kind:     hidden_global_offset_x
      - .offset:         3488
        .size:           8
        .value_kind:     hidden_global_offset_y
      - .offset:         3496
        .size:           8
        .value_kind:     hidden_global_offset_z
      - .offset:         3504
        .size:           2
        .value_kind:     hidden_grid_dims
    .group_segment_fixed_size: 0
    .kernarg_segment_align: 8
    .kernarg_segment_size: 3696
    .language:       OpenCL C
    .language_version:
      - 2
      - 0
    .max_flat_workgroup_size: 1024
    .name:           _ZN2at6native12_GLOBAL__N_130CatArrayBatchedCopy_vectorizedINS1_10OpaqueTypeILj8EEEjLi1ELi64ELi64ELi16ELi2EEEvPcNS1_25CatArrInputTensorMetadataIT_T0_XT2_EXT3_EEENS1_16TensorSizeStrideIS8_Lj4EEEiS8_
    .private_segment_fixed_size: 0
    .sgpr_count:     25
    .sgpr_spill_count: 0
    .symbol:         _ZN2at6native12_GLOBAL__N_130CatArrayBatchedCopy_vectorizedINS1_10OpaqueTypeILj8EEEjLi1ELi64ELi64ELi16ELi2EEEvPcNS1_25CatArrInputTensorMetadataIT_T0_XT2_EXT3_EEENS1_16TensorSizeStrideIS8_Lj4EEEiS8_.kd
    .uniform_work_group_size: 1
    .uses_dynamic_stack: false
    .vgpr_count:     10
    .vgpr_spill_count: 0
    .wavefront_size: 64
  - .agpr_count:     0
    .args:
      - .address_space:  global
        .offset:         0
        .size:           8
        .value_kind:     global_buffer
      - .offset:         8
        .size:           3392
        .value_kind:     by_value
      - .offset:         3400
        .size:           32
        .value_kind:     by_value
      - .offset:         3432
        .size:           4
        .value_kind:     by_value
      - .offset:         3436
        .size:           4
        .value_kind:     by_value
      - .offset:         3440
        .size:           4
        .value_kind:     hidden_block_count_x
      - .offset:         3444
        .size:           4
        .value_kind:     hidden_block_count_y
      - .offset:         3448
        .size:           4
        .value_kind:     hidden_block_count_z
      - .offset:         3452
        .size:           2
        .value_kind:     hidden_group_size_x
      - .offset:         3454
        .size:           2
        .value_kind:     hidden_group_size_y
      - .offset:         3456
        .size:           2
        .value_kind:     hidden_group_size_z
      - .offset:         3458
        .size:           2
        .value_kind:     hidden_remainder_x
      - .offset:         3460
        .size:           2
        .value_kind:     hidden_remainder_y
      - .offset:         3462
        .size:           2
        .value_kind:     hidden_remainder_z
      - .offset:         3480
        .size:           8
        .value_kind:     hidden_global_offset_x
      - .offset:         3488
        .size:           8
        .value_kind:     hidden_global_offset_y
      - .offset:         3496
        .size:           8
        .value_kind:     hidden_global_offset_z
      - .offset:         3504
        .size:           2
        .value_kind:     hidden_grid_dims
    .group_segment_fixed_size: 0
    .kernarg_segment_align: 8
    .kernarg_segment_size: 3696
    .language:       OpenCL C
    .language_version:
      - 2
      - 0
    .max_flat_workgroup_size: 1024
    .name:           _ZN2at6native12_GLOBAL__N_135CatArrayBatchedCopy_alignedK_contigINS1_10OpaqueTypeILj8EEEjLi1ELi64ELi64ELi16EEEvPT_NS1_25CatArrInputTensorMetadataIS5_T0_XT2_EXT3_EEENS1_16TensorSizeStrideIS8_Lj4EEEiS8_
    .private_segment_fixed_size: 0
    .sgpr_count:     23
    .sgpr_spill_count: 0
    .symbol:         _ZN2at6native12_GLOBAL__N_135CatArrayBatchedCopy_alignedK_contigINS1_10OpaqueTypeILj8EEEjLi1ELi64ELi64ELi16EEEvPT_NS1_25CatArrInputTensorMetadataIS5_T0_XT2_EXT3_EEENS1_16TensorSizeStrideIS8_Lj4EEEiS8_.kd
    .uniform_work_group_size: 1
    .uses_dynamic_stack: false
    .vgpr_count:     13
    .vgpr_spill_count: 0
    .wavefront_size: 64
  - .agpr_count:     0
    .args:
      - .address_space:  global
        .offset:         0
        .size:           8
        .value_kind:     global_buffer
      - .offset:         8
        .size:           3392
        .value_kind:     by_value
      - .offset:         3400
        .size:           32
        .value_kind:     by_value
      - .offset:         3432
        .size:           4
        .value_kind:     by_value
      - .offset:         3436
        .size:           4
        .value_kind:     by_value
      - .offset:         3440
        .size:           4
        .value_kind:     hidden_block_count_x
      - .offset:         3444
        .size:           4
        .value_kind:     hidden_block_count_y
      - .offset:         3448
        .size:           4
        .value_kind:     hidden_block_count_z
      - .offset:         3452
        .size:           2
        .value_kind:     hidden_group_size_x
      - .offset:         3454
        .size:           2
        .value_kind:     hidden_group_size_y
      - .offset:         3456
        .size:           2
        .value_kind:     hidden_group_size_z
      - .offset:         3458
        .size:           2
        .value_kind:     hidden_remainder_x
      - .offset:         3460
        .size:           2
        .value_kind:     hidden_remainder_y
      - .offset:         3462
        .size:           2
        .value_kind:     hidden_remainder_z
      - .offset:         3480
        .size:           8
        .value_kind:     hidden_global_offset_x
      - .offset:         3488
        .size:           8
        .value_kind:     hidden_global_offset_y
      - .offset:         3496
        .size:           8
        .value_kind:     hidden_global_offset_z
      - .offset:         3504
        .size:           2
        .value_kind:     hidden_grid_dims
    .group_segment_fixed_size: 0
    .kernarg_segment_align: 8
    .kernarg_segment_size: 3696
    .language:       OpenCL C
    .language_version:
      - 2
      - 0
    .max_flat_workgroup_size: 1024
    .name:           _ZN2at6native12_GLOBAL__N_135CatArrayBatchedCopy_alignedK_contigINS1_10OpaqueTypeILj8EEEjLi1ELi64ELi64ELi8EEEvPT_NS1_25CatArrInputTensorMetadataIS5_T0_XT2_EXT3_EEENS1_16TensorSizeStrideIS8_Lj4EEEiS8_
    .private_segment_fixed_size: 0
    .sgpr_count:     22
    .sgpr_spill_count: 0
    .symbol:         _ZN2at6native12_GLOBAL__N_135CatArrayBatchedCopy_alignedK_contigINS1_10OpaqueTypeILj8EEEjLi1ELi64ELi64ELi8EEEvPT_NS1_25CatArrInputTensorMetadataIS5_T0_XT2_EXT3_EEENS1_16TensorSizeStrideIS8_Lj4EEEiS8_.kd
    .uniform_work_group_size: 1
    .uses_dynamic_stack: false
    .vgpr_count:     10
    .vgpr_spill_count: 0
    .wavefront_size: 64
  - .agpr_count:     0
    .args:
      - .address_space:  global
        .offset:         0
        .size:           8
        .value_kind:     global_buffer
      - .offset:         8
        .size:           3392
        .value_kind:     by_value
      - .offset:         3400
        .size:           32
        .value_kind:     by_value
      - .offset:         3432
        .size:           4
        .value_kind:     by_value
      - .offset:         3436
        .size:           4
        .value_kind:     by_value
      - .offset:         3440
        .size:           4
        .value_kind:     hidden_block_count_x
      - .offset:         3444
        .size:           4
        .value_kind:     hidden_block_count_y
      - .offset:         3448
        .size:           4
        .value_kind:     hidden_block_count_z
      - .offset:         3452
        .size:           2
        .value_kind:     hidden_group_size_x
      - .offset:         3454
        .size:           2
        .value_kind:     hidden_group_size_y
      - .offset:         3456
        .size:           2
        .value_kind:     hidden_group_size_z
      - .offset:         3458
        .size:           2
        .value_kind:     hidden_remainder_x
      - .offset:         3460
        .size:           2
        .value_kind:     hidden_remainder_y
      - .offset:         3462
        .size:           2
        .value_kind:     hidden_remainder_z
      - .offset:         3480
        .size:           8
        .value_kind:     hidden_global_offset_x
      - .offset:         3488
        .size:           8
        .value_kind:     hidden_global_offset_y
      - .offset:         3496
        .size:           8
        .value_kind:     hidden_global_offset_z
      - .offset:         3504
        .size:           2
        .value_kind:     hidden_grid_dims
    .group_segment_fixed_size: 0
    .kernarg_segment_align: 8
    .kernarg_segment_size: 3696
    .language:       OpenCL C
    .language_version:
      - 2
      - 0
    .max_flat_workgroup_size: 1024
    .name:           _ZN2at6native12_GLOBAL__N_126CatArrayBatchedCopy_contigINS1_10OpaqueTypeILj8EEEjLi1ELi64ELi64EEEvPT_NS1_25CatArrInputTensorMetadataIS5_T0_XT2_EXT3_EEENS1_16TensorSizeStrideIS8_Lj4EEEiS8_
    .private_segment_fixed_size: 0
    .sgpr_count:     22
    .sgpr_spill_count: 0
    .symbol:         _ZN2at6native12_GLOBAL__N_126CatArrayBatchedCopy_contigINS1_10OpaqueTypeILj8EEEjLi1ELi64ELi64EEEvPT_NS1_25CatArrInputTensorMetadataIS5_T0_XT2_EXT3_EEENS1_16TensorSizeStrideIS8_Lj4EEEiS8_.kd
    .uniform_work_group_size: 1
    .uses_dynamic_stack: false
    .vgpr_count:     8
    .vgpr_spill_count: 0
    .wavefront_size: 64
  - .agpr_count:     0
    .args:
      - .address_space:  global
        .offset:         0
        .size:           8
        .value_kind:     global_buffer
      - .offset:         8
        .size:           3392
        .value_kind:     by_value
      - .offset:         3400
        .size:           32
        .value_kind:     by_value
      - .offset:         3432
        .size:           4
        .value_kind:     by_value
      - .offset:         3436
        .size:           4
        .value_kind:     by_value
      - .offset:         3440
        .size:           4
        .value_kind:     hidden_block_count_x
      - .offset:         3444
        .size:           4
        .value_kind:     hidden_block_count_y
      - .offset:         3448
        .size:           4
        .value_kind:     hidden_block_count_z
      - .offset:         3452
        .size:           2
        .value_kind:     hidden_group_size_x
      - .offset:         3454
        .size:           2
        .value_kind:     hidden_group_size_y
      - .offset:         3456
        .size:           2
        .value_kind:     hidden_group_size_z
      - .offset:         3458
        .size:           2
        .value_kind:     hidden_remainder_x
      - .offset:         3460
        .size:           2
        .value_kind:     hidden_remainder_y
      - .offset:         3462
        .size:           2
        .value_kind:     hidden_remainder_z
      - .offset:         3480
        .size:           8
        .value_kind:     hidden_global_offset_x
      - .offset:         3488
        .size:           8
        .value_kind:     hidden_global_offset_y
      - .offset:         3496
        .size:           8
        .value_kind:     hidden_global_offset_z
      - .offset:         3504
        .size:           2
        .value_kind:     hidden_grid_dims
    .group_segment_fixed_size: 0
    .kernarg_segment_align: 8
    .kernarg_segment_size: 3696
    .language:       OpenCL C
    .language_version:
      - 2
      - 0
    .max_flat_workgroup_size: 1024
    .name:           _ZN2at6native12_GLOBAL__N_119CatArrayBatchedCopyINS1_10OpaqueTypeILj8EEEjLi1ELi64ELi64EEEvPT_NS1_25CatArrInputTensorMetadataIS5_T0_XT2_EXT3_EEENS1_16TensorSizeStrideIS8_Lj4EEEiS8_
    .private_segment_fixed_size: 0
    .sgpr_count:     25
    .sgpr_spill_count: 0
    .symbol:         _ZN2at6native12_GLOBAL__N_119CatArrayBatchedCopyINS1_10OpaqueTypeILj8EEEjLi1ELi64ELi64EEEvPT_NS1_25CatArrInputTensorMetadataIS5_T0_XT2_EXT3_EEENS1_16TensorSizeStrideIS8_Lj4EEEiS8_.kd
    .uniform_work_group_size: 1
    .uses_dynamic_stack: false
    .vgpr_count:     10
    .vgpr_spill_count: 0
    .wavefront_size: 64
  - .agpr_count:     0
    .args:
      - .address_space:  global
        .offset:         0
        .size:           8
        .value_kind:     global_buffer
      - .offset:         8
        .size:           3392
        .value_kind:     by_value
      - .offset:         3400
        .size:           32
        .value_kind:     by_value
      - .offset:         3432
        .size:           4
        .value_kind:     by_value
      - .offset:         3436
        .size:           4
        .value_kind:     by_value
      - .offset:         3440
        .size:           4
        .value_kind:     hidden_block_count_x
      - .offset:         3444
        .size:           4
        .value_kind:     hidden_block_count_y
      - .offset:         3448
        .size:           4
        .value_kind:     hidden_block_count_z
      - .offset:         3452
        .size:           2
        .value_kind:     hidden_group_size_x
      - .offset:         3454
        .size:           2
        .value_kind:     hidden_group_size_y
      - .offset:         3456
        .size:           2
        .value_kind:     hidden_group_size_z
      - .offset:         3458
        .size:           2
        .value_kind:     hidden_remainder_x
      - .offset:         3460
        .size:           2
        .value_kind:     hidden_remainder_y
      - .offset:         3462
        .size:           2
        .value_kind:     hidden_remainder_z
      - .offset:         3480
        .size:           8
        .value_kind:     hidden_global_offset_x
      - .offset:         3488
        .size:           8
        .value_kind:     hidden_global_offset_y
      - .offset:         3496
        .size:           8
        .value_kind:     hidden_global_offset_z
      - .offset:         3504
        .size:           2
        .value_kind:     hidden_grid_dims
    .group_segment_fixed_size: 0
    .kernarg_segment_align: 8
    .kernarg_segment_size: 3696
    .language:       OpenCL C
    .language_version:
      - 2
      - 0
    .max_flat_workgroup_size: 1024
    .name:           _ZN2at6native12_GLOBAL__N_130CatArrayBatchedCopy_vectorizedINS1_10OpaqueTypeILj8EEEjLi2ELi64ELi64ELi16ELi2EEEvPcNS1_25CatArrInputTensorMetadataIT_T0_XT2_EXT3_EEENS1_16TensorSizeStrideIS8_Lj4EEEiS8_
    .private_segment_fixed_size: 0
    .sgpr_count:     24
    .sgpr_spill_count: 0
    .symbol:         _ZN2at6native12_GLOBAL__N_130CatArrayBatchedCopy_vectorizedINS1_10OpaqueTypeILj8EEEjLi2ELi64ELi64ELi16ELi2EEEvPcNS1_25CatArrInputTensorMetadataIT_T0_XT2_EXT3_EEENS1_16TensorSizeStrideIS8_Lj4EEEiS8_.kd
    .uniform_work_group_size: 1
    .uses_dynamic_stack: false
    .vgpr_count:     12
    .vgpr_spill_count: 0
    .wavefront_size: 64
  - .agpr_count:     0
    .args:
      - .address_space:  global
        .offset:         0
        .size:           8
        .value_kind:     global_buffer
      - .offset:         8
        .size:           3392
        .value_kind:     by_value
      - .offset:         3400
        .size:           32
        .value_kind:     by_value
      - .offset:         3432
        .size:           4
        .value_kind:     by_value
      - .offset:         3436
        .size:           4
        .value_kind:     by_value
      - .offset:         3440
        .size:           4
        .value_kind:     hidden_block_count_x
      - .offset:         3444
        .size:           4
        .value_kind:     hidden_block_count_y
      - .offset:         3448
        .size:           4
        .value_kind:     hidden_block_count_z
      - .offset:         3452
        .size:           2
        .value_kind:     hidden_group_size_x
      - .offset:         3454
        .size:           2
        .value_kind:     hidden_group_size_y
      - .offset:         3456
        .size:           2
        .value_kind:     hidden_group_size_z
      - .offset:         3458
        .size:           2
        .value_kind:     hidden_remainder_x
      - .offset:         3460
        .size:           2
        .value_kind:     hidden_remainder_y
      - .offset:         3462
        .size:           2
        .value_kind:     hidden_remainder_z
      - .offset:         3480
        .size:           8
        .value_kind:     hidden_global_offset_x
      - .offset:         3488
        .size:           8
        .value_kind:     hidden_global_offset_y
      - .offset:         3496
        .size:           8
        .value_kind:     hidden_global_offset_z
      - .offset:         3504
        .size:           2
        .value_kind:     hidden_grid_dims
    .group_segment_fixed_size: 0
    .kernarg_segment_align: 8
    .kernarg_segment_size: 3696
    .language:       OpenCL C
    .language_version:
      - 2
      - 0
    .max_flat_workgroup_size: 1024
    .name:           _ZN2at6native12_GLOBAL__N_135CatArrayBatchedCopy_alignedK_contigINS1_10OpaqueTypeILj8EEEjLi2ELi64ELi64ELi16EEEvPT_NS1_25CatArrInputTensorMetadataIS5_T0_XT2_EXT3_EEENS1_16TensorSizeStrideIS8_Lj4EEEiS8_
    .private_segment_fixed_size: 0
    .sgpr_count:     28
    .sgpr_spill_count: 0
    .symbol:         _ZN2at6native12_GLOBAL__N_135CatArrayBatchedCopy_alignedK_contigINS1_10OpaqueTypeILj8EEEjLi2ELi64ELi64ELi16EEEvPT_NS1_25CatArrInputTensorMetadataIS5_T0_XT2_EXT3_EEENS1_16TensorSizeStrideIS8_Lj4EEEiS8_.kd
    .uniform_work_group_size: 1
    .uses_dynamic_stack: false
    .vgpr_count:     21
    .vgpr_spill_count: 0
    .wavefront_size: 64
  - .agpr_count:     0
    .args:
      - .address_space:  global
        .offset:         0
        .size:           8
        .value_kind:     global_buffer
      - .offset:         8
        .size:           3392
        .value_kind:     by_value
      - .offset:         3400
        .size:           32
        .value_kind:     by_value
      - .offset:         3432
        .size:           4
        .value_kind:     by_value
      - .offset:         3436
        .size:           4
        .value_kind:     by_value
      - .offset:         3440
        .size:           4
        .value_kind:     hidden_block_count_x
      - .offset:         3444
        .size:           4
        .value_kind:     hidden_block_count_y
      - .offset:         3448
        .size:           4
        .value_kind:     hidden_block_count_z
      - .offset:         3452
        .size:           2
        .value_kind:     hidden_group_size_x
      - .offset:         3454
        .size:           2
        .value_kind:     hidden_group_size_y
      - .offset:         3456
        .size:           2
        .value_kind:     hidden_group_size_z
      - .offset:         3458
        .size:           2
        .value_kind:     hidden_remainder_x
      - .offset:         3460
        .size:           2
        .value_kind:     hidden_remainder_y
      - .offset:         3462
        .size:           2
        .value_kind:     hidden_remainder_z
      - .offset:         3480
        .size:           8
        .value_kind:     hidden_global_offset_x
      - .offset:         3488
        .size:           8
        .value_kind:     hidden_global_offset_y
      - .offset:         3496
        .size:           8
        .value_kind:     hidden_global_offset_z
      - .offset:         3504
        .size:           2
        .value_kind:     hidden_grid_dims
    .group_segment_fixed_size: 0
    .kernarg_segment_align: 8
    .kernarg_segment_size: 3696
    .language:       OpenCL C
    .language_version:
      - 2
      - 0
    .max_flat_workgroup_size: 1024
    .name:           _ZN2at6native12_GLOBAL__N_135CatArrayBatchedCopy_alignedK_contigINS1_10OpaqueTypeILj8EEEjLi2ELi64ELi64ELi8EEEvPT_NS1_25CatArrInputTensorMetadataIS5_T0_XT2_EXT3_EEENS1_16TensorSizeStrideIS8_Lj4EEEiS8_
    .private_segment_fixed_size: 0
    .sgpr_count:     26
    .sgpr_spill_count: 0
    .symbol:         _ZN2at6native12_GLOBAL__N_135CatArrayBatchedCopy_alignedK_contigINS1_10OpaqueTypeILj8EEEjLi2ELi64ELi64ELi8EEEvPT_NS1_25CatArrInputTensorMetadataIS5_T0_XT2_EXT3_EEENS1_16TensorSizeStrideIS8_Lj4EEEiS8_.kd
    .uniform_work_group_size: 1
    .uses_dynamic_stack: false
    .vgpr_count:     15
    .vgpr_spill_count: 0
    .wavefront_size: 64
  - .agpr_count:     0
    .args:
      - .address_space:  global
        .offset:         0
        .size:           8
        .value_kind:     global_buffer
      - .offset:         8
        .size:           3392
        .value_kind:     by_value
      - .offset:         3400
        .size:           32
        .value_kind:     by_value
      - .offset:         3432
        .size:           4
        .value_kind:     by_value
      - .offset:         3436
        .size:           4
        .value_kind:     by_value
      - .offset:         3440
        .size:           4
        .value_kind:     hidden_block_count_x
      - .offset:         3444
        .size:           4
        .value_kind:     hidden_block_count_y
      - .offset:         3448
        .size:           4
        .value_kind:     hidden_block_count_z
      - .offset:         3452
        .size:           2
        .value_kind:     hidden_group_size_x
      - .offset:         3454
        .size:           2
        .value_kind:     hidden_group_size_y
      - .offset:         3456
        .size:           2
        .value_kind:     hidden_group_size_z
      - .offset:         3458
        .size:           2
        .value_kind:     hidden_remainder_x
      - .offset:         3460
        .size:           2
        .value_kind:     hidden_remainder_y
      - .offset:         3462
        .size:           2
        .value_kind:     hidden_remainder_z
      - .offset:         3480
        .size:           8
        .value_kind:     hidden_global_offset_x
      - .offset:         3488
        .size:           8
        .value_kind:     hidden_global_offset_y
      - .offset:         3496
        .size:           8
        .value_kind:     hidden_global_offset_z
      - .offset:         3504
        .size:           2
        .value_kind:     hidden_grid_dims
    .group_segment_fixed_size: 0
    .kernarg_segment_align: 8
    .kernarg_segment_size: 3696
    .language:       OpenCL C
    .language_version:
      - 2
      - 0
    .max_flat_workgroup_size: 1024
    .name:           _ZN2at6native12_GLOBAL__N_126CatArrayBatchedCopy_contigINS1_10OpaqueTypeILj8EEEjLi2ELi64ELi64EEEvPT_NS1_25CatArrInputTensorMetadataIS5_T0_XT2_EXT3_EEENS1_16TensorSizeStrideIS8_Lj4EEEiS8_
    .private_segment_fixed_size: 0
    .sgpr_count:     24
    .sgpr_spill_count: 0
    .symbol:         _ZN2at6native12_GLOBAL__N_126CatArrayBatchedCopy_contigINS1_10OpaqueTypeILj8EEEjLi2ELi64ELi64EEEvPT_NS1_25CatArrInputTensorMetadataIS5_T0_XT2_EXT3_EEENS1_16TensorSizeStrideIS8_Lj4EEEiS8_.kd
    .uniform_work_group_size: 1
    .uses_dynamic_stack: false
    .vgpr_count:     11
    .vgpr_spill_count: 0
    .wavefront_size: 64
  - .agpr_count:     0
    .args:
      - .address_space:  global
        .offset:         0
        .size:           8
        .value_kind:     global_buffer
      - .offset:         8
        .size:           3392
        .value_kind:     by_value
      - .offset:         3400
        .size:           32
        .value_kind:     by_value
      - .offset:         3432
        .size:           4
        .value_kind:     by_value
      - .offset:         3436
        .size:           4
        .value_kind:     by_value
      - .offset:         3440
        .size:           4
        .value_kind:     hidden_block_count_x
      - .offset:         3444
        .size:           4
        .value_kind:     hidden_block_count_y
      - .offset:         3448
        .size:           4
        .value_kind:     hidden_block_count_z
      - .offset:         3452
        .size:           2
        .value_kind:     hidden_group_size_x
      - .offset:         3454
        .size:           2
        .value_kind:     hidden_group_size_y
      - .offset:         3456
        .size:           2
        .value_kind:     hidden_group_size_z
      - .offset:         3458
        .size:           2
        .value_kind:     hidden_remainder_x
      - .offset:         3460
        .size:           2
        .value_kind:     hidden_remainder_y
      - .offset:         3462
        .size:           2
        .value_kind:     hidden_remainder_z
      - .offset:         3480
        .size:           8
        .value_kind:     hidden_global_offset_x
      - .offset:         3488
        .size:           8
        .value_kind:     hidden_global_offset_y
      - .offset:         3496
        .size:           8
        .value_kind:     hidden_global_offset_z
      - .offset:         3504
        .size:           2
        .value_kind:     hidden_grid_dims
    .group_segment_fixed_size: 0
    .kernarg_segment_align: 8
    .kernarg_segment_size: 3696
    .language:       OpenCL C
    .language_version:
      - 2
      - 0
    .max_flat_workgroup_size: 1024
    .name:           _ZN2at6native12_GLOBAL__N_119CatArrayBatchedCopyINS1_10OpaqueTypeILj8EEEjLi2ELi64ELi64EEEvPT_NS1_25CatArrInputTensorMetadataIS5_T0_XT2_EXT3_EEENS1_16TensorSizeStrideIS8_Lj4EEEiS8_
    .private_segment_fixed_size: 0
    .sgpr_count:     31
    .sgpr_spill_count: 0
    .symbol:         _ZN2at6native12_GLOBAL__N_119CatArrayBatchedCopyINS1_10OpaqueTypeILj8EEEjLi2ELi64ELi64EEEvPT_NS1_25CatArrInputTensorMetadataIS5_T0_XT2_EXT3_EEENS1_16TensorSizeStrideIS8_Lj4EEEiS8_.kd
    .uniform_work_group_size: 1
    .uses_dynamic_stack: false
    .vgpr_count:     10
    .vgpr_spill_count: 0
    .wavefront_size: 64
  - .agpr_count:     0
    .args:
      - .address_space:  global
        .offset:         0
        .size:           8
        .value_kind:     global_buffer
      - .offset:         8
        .size:           3392
        .value_kind:     by_value
      - .offset:         3400
        .size:           32
        .value_kind:     by_value
      - .offset:         3432
        .size:           4
        .value_kind:     by_value
      - .offset:         3436
        .size:           4
        .value_kind:     by_value
      - .offset:         3440
        .size:           4
        .value_kind:     hidden_block_count_x
      - .offset:         3444
        .size:           4
        .value_kind:     hidden_block_count_y
      - .offset:         3448
        .size:           4
        .value_kind:     hidden_block_count_z
      - .offset:         3452
        .size:           2
        .value_kind:     hidden_group_size_x
      - .offset:         3454
        .size:           2
        .value_kind:     hidden_group_size_y
      - .offset:         3456
        .size:           2
        .value_kind:     hidden_group_size_z
      - .offset:         3458
        .size:           2
        .value_kind:     hidden_remainder_x
      - .offset:         3460
        .size:           2
        .value_kind:     hidden_remainder_y
      - .offset:         3462
        .size:           2
        .value_kind:     hidden_remainder_z
      - .offset:         3480
        .size:           8
        .value_kind:     hidden_global_offset_x
      - .offset:         3488
        .size:           8
        .value_kind:     hidden_global_offset_y
      - .offset:         3496
        .size:           8
        .value_kind:     hidden_global_offset_z
      - .offset:         3504
        .size:           2
        .value_kind:     hidden_grid_dims
    .group_segment_fixed_size: 0
    .kernarg_segment_align: 8
    .kernarg_segment_size: 3696
    .language:       OpenCL C
    .language_version:
      - 2
      - 0
    .max_flat_workgroup_size: 1024
    .name:           _ZN2at6native12_GLOBAL__N_130CatArrayBatchedCopy_vectorizedINS1_10OpaqueTypeILj8EEEjLi3ELi64ELi64ELi16ELi2EEEvPcNS1_25CatArrInputTensorMetadataIT_T0_XT2_EXT3_EEENS1_16TensorSizeStrideIS8_Lj4EEEiS8_
    .private_segment_fixed_size: 0
    .sgpr_count:     32
    .sgpr_spill_count: 0
    .symbol:         _ZN2at6native12_GLOBAL__N_130CatArrayBatchedCopy_vectorizedINS1_10OpaqueTypeILj8EEEjLi3ELi64ELi64ELi16ELi2EEEvPcNS1_25CatArrInputTensorMetadataIT_T0_XT2_EXT3_EEENS1_16TensorSizeStrideIS8_Lj4EEEiS8_.kd
    .uniform_work_group_size: 1
    .uses_dynamic_stack: false
    .vgpr_count:     14
    .vgpr_spill_count: 0
    .wavefront_size: 64
  - .agpr_count:     0
    .args:
      - .address_space:  global
        .offset:         0
        .size:           8
        .value_kind:     global_buffer
      - .offset:         8
        .size:           3392
        .value_kind:     by_value
      - .offset:         3400
        .size:           32
        .value_kind:     by_value
      - .offset:         3432
        .size:           4
        .value_kind:     by_value
      - .offset:         3436
        .size:           4
        .value_kind:     by_value
      - .offset:         3440
        .size:           4
        .value_kind:     hidden_block_count_x
      - .offset:         3444
        .size:           4
        .value_kind:     hidden_block_count_y
      - .offset:         3448
        .size:           4
        .value_kind:     hidden_block_count_z
      - .offset:         3452
        .size:           2
        .value_kind:     hidden_group_size_x
      - .offset:         3454
        .size:           2
        .value_kind:     hidden_group_size_y
      - .offset:         3456
        .size:           2
        .value_kind:     hidden_group_size_z
      - .offset:         3458
        .size:           2
        .value_kind:     hidden_remainder_x
      - .offset:         3460
        .size:           2
        .value_kind:     hidden_remainder_y
      - .offset:         3462
        .size:           2
        .value_kind:     hidden_remainder_z
      - .offset:         3480
        .size:           8
        .value_kind:     hidden_global_offset_x
      - .offset:         3488
        .size:           8
        .value_kind:     hidden_global_offset_y
      - .offset:         3496
        .size:           8
        .value_kind:     hidden_global_offset_z
      - .offset:         3504
        .size:           2
        .value_kind:     hidden_grid_dims
    .group_segment_fixed_size: 0
    .kernarg_segment_align: 8
    .kernarg_segment_size: 3696
    .language:       OpenCL C
    .language_version:
      - 2
      - 0
    .max_flat_workgroup_size: 1024
    .name:           _ZN2at6native12_GLOBAL__N_135CatArrayBatchedCopy_alignedK_contigINS1_10OpaqueTypeILj8EEEjLi3ELi64ELi64ELi16EEEvPT_NS1_25CatArrInputTensorMetadataIS5_T0_XT2_EXT3_EEENS1_16TensorSizeStrideIS8_Lj4EEEiS8_
    .private_segment_fixed_size: 0
    .sgpr_count:     32
    .sgpr_spill_count: 0
    .symbol:         _ZN2at6native12_GLOBAL__N_135CatArrayBatchedCopy_alignedK_contigINS1_10OpaqueTypeILj8EEEjLi3ELi64ELi64ELi16EEEvPT_NS1_25CatArrInputTensorMetadataIS5_T0_XT2_EXT3_EEENS1_16TensorSizeStrideIS8_Lj4EEEiS8_.kd
    .uniform_work_group_size: 1
    .uses_dynamic_stack: false
    .vgpr_count:     23
    .vgpr_spill_count: 0
    .wavefront_size: 64
  - .agpr_count:     0
    .args:
      - .address_space:  global
        .offset:         0
        .size:           8
        .value_kind:     global_buffer
      - .offset:         8
        .size:           3392
        .value_kind:     by_value
      - .offset:         3400
        .size:           32
        .value_kind:     by_value
      - .offset:         3432
        .size:           4
        .value_kind:     by_value
      - .offset:         3436
        .size:           4
        .value_kind:     by_value
      - .offset:         3440
        .size:           4
        .value_kind:     hidden_block_count_x
      - .offset:         3444
        .size:           4
        .value_kind:     hidden_block_count_y
      - .offset:         3448
        .size:           4
        .value_kind:     hidden_block_count_z
      - .offset:         3452
        .size:           2
        .value_kind:     hidden_group_size_x
      - .offset:         3454
        .size:           2
        .value_kind:     hidden_group_size_y
      - .offset:         3456
        .size:           2
        .value_kind:     hidden_group_size_z
      - .offset:         3458
        .size:           2
        .value_kind:     hidden_remainder_x
      - .offset:         3460
        .size:           2
        .value_kind:     hidden_remainder_y
      - .offset:         3462
        .size:           2
        .value_kind:     hidden_remainder_z
      - .offset:         3480
        .size:           8
        .value_kind:     hidden_global_offset_x
      - .offset:         3488
        .size:           8
        .value_kind:     hidden_global_offset_y
      - .offset:         3496
        .size:           8
        .value_kind:     hidden_global_offset_z
      - .offset:         3504
        .size:           2
        .value_kind:     hidden_grid_dims
    .group_segment_fixed_size: 0
    .kernarg_segment_align: 8
    .kernarg_segment_size: 3696
    .language:       OpenCL C
    .language_version:
      - 2
      - 0
    .max_flat_workgroup_size: 1024
    .name:           _ZN2at6native12_GLOBAL__N_135CatArrayBatchedCopy_alignedK_contigINS1_10OpaqueTypeILj8EEEjLi3ELi64ELi64ELi8EEEvPT_NS1_25CatArrInputTensorMetadataIS5_T0_XT2_EXT3_EEENS1_16TensorSizeStrideIS8_Lj4EEEiS8_
    .private_segment_fixed_size: 0
    .sgpr_count:     30
    .sgpr_spill_count: 0
    .symbol:         _ZN2at6native12_GLOBAL__N_135CatArrayBatchedCopy_alignedK_contigINS1_10OpaqueTypeILj8EEEjLi3ELi64ELi64ELi8EEEvPT_NS1_25CatArrInputTensorMetadataIS5_T0_XT2_EXT3_EEENS1_16TensorSizeStrideIS8_Lj4EEEiS8_.kd
    .uniform_work_group_size: 1
    .uses_dynamic_stack: false
    .vgpr_count:     16
    .vgpr_spill_count: 0
    .wavefront_size: 64
  - .agpr_count:     0
    .args:
      - .address_space:  global
        .offset:         0
        .size:           8
        .value_kind:     global_buffer
      - .offset:         8
        .size:           3392
        .value_kind:     by_value
      - .offset:         3400
        .size:           32
        .value_kind:     by_value
      - .offset:         3432
        .size:           4
        .value_kind:     by_value
      - .offset:         3436
        .size:           4
        .value_kind:     by_value
      - .offset:         3440
        .size:           4
        .value_kind:     hidden_block_count_x
      - .offset:         3444
        .size:           4
        .value_kind:     hidden_block_count_y
      - .offset:         3448
        .size:           4
        .value_kind:     hidden_block_count_z
      - .offset:         3452
        .size:           2
        .value_kind:     hidden_group_size_x
      - .offset:         3454
        .size:           2
        .value_kind:     hidden_group_size_y
      - .offset:         3456
        .size:           2
        .value_kind:     hidden_group_size_z
      - .offset:         3458
        .size:           2
        .value_kind:     hidden_remainder_x
      - .offset:         3460
        .size:           2
        .value_kind:     hidden_remainder_y
      - .offset:         3462
        .size:           2
        .value_kind:     hidden_remainder_z
      - .offset:         3480
        .size:           8
        .value_kind:     hidden_global_offset_x
      - .offset:         3488
        .size:           8
        .value_kind:     hidden_global_offset_y
      - .offset:         3496
        .size:           8
        .value_kind:     hidden_global_offset_z
      - .offset:         3504
        .size:           2
        .value_kind:     hidden_grid_dims
    .group_segment_fixed_size: 0
    .kernarg_segment_align: 8
    .kernarg_segment_size: 3696
    .language:       OpenCL C
    .language_version:
      - 2
      - 0
    .max_flat_workgroup_size: 1024
    .name:           _ZN2at6native12_GLOBAL__N_126CatArrayBatchedCopy_contigINS1_10OpaqueTypeILj8EEEjLi3ELi64ELi64EEEvPT_NS1_25CatArrInputTensorMetadataIS5_T0_XT2_EXT3_EEENS1_16TensorSizeStrideIS8_Lj4EEEiS8_
    .private_segment_fixed_size: 0
    .sgpr_count:     30
    .sgpr_spill_count: 0
    .symbol:         _ZN2at6native12_GLOBAL__N_126CatArrayBatchedCopy_contigINS1_10OpaqueTypeILj8EEEjLi3ELi64ELi64EEEvPT_NS1_25CatArrInputTensorMetadataIS5_T0_XT2_EXT3_EEENS1_16TensorSizeStrideIS8_Lj4EEEiS8_.kd
    .uniform_work_group_size: 1
    .uses_dynamic_stack: false
    .vgpr_count:     12
    .vgpr_spill_count: 0
    .wavefront_size: 64
  - .agpr_count:     0
    .args:
      - .address_space:  global
        .offset:         0
        .size:           8
        .value_kind:     global_buffer
      - .offset:         8
        .size:           3392
        .value_kind:     by_value
      - .offset:         3400
        .size:           32
        .value_kind:     by_value
      - .offset:         3432
        .size:           4
        .value_kind:     by_value
      - .offset:         3436
        .size:           4
        .value_kind:     by_value
      - .offset:         3440
        .size:           4
        .value_kind:     hidden_block_count_x
      - .offset:         3444
        .size:           4
        .value_kind:     hidden_block_count_y
      - .offset:         3448
        .size:           4
        .value_kind:     hidden_block_count_z
      - .offset:         3452
        .size:           2
        .value_kind:     hidden_group_size_x
      - .offset:         3454
        .size:           2
        .value_kind:     hidden_group_size_y
      - .offset:         3456
        .size:           2
        .value_kind:     hidden_group_size_z
      - .offset:         3458
        .size:           2
        .value_kind:     hidden_remainder_x
      - .offset:         3460
        .size:           2
        .value_kind:     hidden_remainder_y
      - .offset:         3462
        .size:           2
        .value_kind:     hidden_remainder_z
      - .offset:         3480
        .size:           8
        .value_kind:     hidden_global_offset_x
      - .offset:         3488
        .size:           8
        .value_kind:     hidden_global_offset_y
      - .offset:         3496
        .size:           8
        .value_kind:     hidden_global_offset_z
      - .offset:         3504
        .size:           2
        .value_kind:     hidden_grid_dims
    .group_segment_fixed_size: 0
    .kernarg_segment_align: 8
    .kernarg_segment_size: 3696
    .language:       OpenCL C
    .language_version:
      - 2
      - 0
    .max_flat_workgroup_size: 1024
    .name:           _ZN2at6native12_GLOBAL__N_119CatArrayBatchedCopyINS1_10OpaqueTypeILj8EEEjLi3ELi64ELi64EEEvPT_NS1_25CatArrInputTensorMetadataIS5_T0_XT2_EXT3_EEENS1_16TensorSizeStrideIS8_Lj4EEEiS8_
    .private_segment_fixed_size: 0
    .sgpr_count:     35
    .sgpr_spill_count: 0
    .symbol:         _ZN2at6native12_GLOBAL__N_119CatArrayBatchedCopyINS1_10OpaqueTypeILj8EEEjLi3ELi64ELi64EEEvPT_NS1_25CatArrInputTensorMetadataIS5_T0_XT2_EXT3_EEENS1_16TensorSizeStrideIS8_Lj4EEEiS8_.kd
    .uniform_work_group_size: 1
    .uses_dynamic_stack: false
    .vgpr_count:     13
    .vgpr_spill_count: 0
    .wavefront_size: 64
  - .agpr_count:     0
    .args:
      - .address_space:  global
        .offset:         0
        .size:           8
        .value_kind:     global_buffer
      - .offset:         8
        .size:           3392
        .value_kind:     by_value
      - .offset:         3400
        .size:           32
        .value_kind:     by_value
      - .offset:         3432
        .size:           4
        .value_kind:     by_value
      - .offset:         3436
        .size:           4
        .value_kind:     by_value
      - .offset:         3440
        .size:           4
        .value_kind:     hidden_block_count_x
      - .offset:         3444
        .size:           4
        .value_kind:     hidden_block_count_y
      - .offset:         3448
        .size:           4
        .value_kind:     hidden_block_count_z
      - .offset:         3452
        .size:           2
        .value_kind:     hidden_group_size_x
      - .offset:         3454
        .size:           2
        .value_kind:     hidden_group_size_y
      - .offset:         3456
        .size:           2
        .value_kind:     hidden_group_size_z
      - .offset:         3458
        .size:           2
        .value_kind:     hidden_remainder_x
      - .offset:         3460
        .size:           2
        .value_kind:     hidden_remainder_y
      - .offset:         3462
        .size:           2
        .value_kind:     hidden_remainder_z
      - .offset:         3480
        .size:           8
        .value_kind:     hidden_global_offset_x
      - .offset:         3488
        .size:           8
        .value_kind:     hidden_global_offset_y
      - .offset:         3496
        .size:           8
        .value_kind:     hidden_global_offset_z
      - .offset:         3504
        .size:           2
        .value_kind:     hidden_grid_dims
    .group_segment_fixed_size: 0
    .kernarg_segment_align: 8
    .kernarg_segment_size: 3696
    .language:       OpenCL C
    .language_version:
      - 2
      - 0
    .max_flat_workgroup_size: 1024
    .name:           _ZN2at6native12_GLOBAL__N_130CatArrayBatchedCopy_vectorizedINS1_10OpaqueTypeILj8EEEjLi4ELi64ELi64ELi16ELi2EEEvPcNS1_25CatArrInputTensorMetadataIT_T0_XT2_EXT3_EEENS1_16TensorSizeStrideIS8_Lj4EEEiS8_
    .private_segment_fixed_size: 0
    .sgpr_count:     32
    .sgpr_spill_count: 0
    .symbol:         _ZN2at6native12_GLOBAL__N_130CatArrayBatchedCopy_vectorizedINS1_10OpaqueTypeILj8EEEjLi4ELi64ELi64ELi16ELi2EEEvPcNS1_25CatArrInputTensorMetadataIT_T0_XT2_EXT3_EEENS1_16TensorSizeStrideIS8_Lj4EEEiS8_.kd
    .uniform_work_group_size: 1
    .uses_dynamic_stack: false
    .vgpr_count:     16
    .vgpr_spill_count: 0
    .wavefront_size: 64
  - .agpr_count:     0
    .args:
      - .address_space:  global
        .offset:         0
        .size:           8
        .value_kind:     global_buffer
      - .offset:         8
        .size:           3392
        .value_kind:     by_value
      - .offset:         3400
        .size:           32
        .value_kind:     by_value
      - .offset:         3432
        .size:           4
        .value_kind:     by_value
      - .offset:         3436
        .size:           4
        .value_kind:     by_value
      - .offset:         3440
        .size:           4
        .value_kind:     hidden_block_count_x
      - .offset:         3444
        .size:           4
        .value_kind:     hidden_block_count_y
      - .offset:         3448
        .size:           4
        .value_kind:     hidden_block_count_z
      - .offset:         3452
        .size:           2
        .value_kind:     hidden_group_size_x
      - .offset:         3454
        .size:           2
        .value_kind:     hidden_group_size_y
      - .offset:         3456
        .size:           2
        .value_kind:     hidden_group_size_z
      - .offset:         3458
        .size:           2
        .value_kind:     hidden_remainder_x
      - .offset:         3460
        .size:           2
        .value_kind:     hidden_remainder_y
      - .offset:         3462
        .size:           2
        .value_kind:     hidden_remainder_z
      - .offset:         3480
        .size:           8
        .value_kind:     hidden_global_offset_x
      - .offset:         3488
        .size:           8
        .value_kind:     hidden_global_offset_y
      - .offset:         3496
        .size:           8
        .value_kind:     hidden_global_offset_z
      - .offset:         3504
        .size:           2
        .value_kind:     hidden_grid_dims
    .group_segment_fixed_size: 0
    .kernarg_segment_align: 8
    .kernarg_segment_size: 3696
    .language:       OpenCL C
    .language_version:
      - 2
      - 0
    .max_flat_workgroup_size: 1024
    .name:           _ZN2at6native12_GLOBAL__N_135CatArrayBatchedCopy_alignedK_contigINS1_10OpaqueTypeILj8EEEjLi4ELi64ELi64ELi16EEEvPT_NS1_25CatArrInputTensorMetadataIS5_T0_XT2_EXT3_EEENS1_16TensorSizeStrideIS8_Lj4EEEiS8_
    .private_segment_fixed_size: 0
    .sgpr_count:     34
    .sgpr_spill_count: 0
    .symbol:         _ZN2at6native12_GLOBAL__N_135CatArrayBatchedCopy_alignedK_contigINS1_10OpaqueTypeILj8EEEjLi4ELi64ELi64ELi16EEEvPT_NS1_25CatArrInputTensorMetadataIS5_T0_XT2_EXT3_EEENS1_16TensorSizeStrideIS8_Lj4EEEiS8_.kd
    .uniform_work_group_size: 1
    .uses_dynamic_stack: false
    .vgpr_count:     24
    .vgpr_spill_count: 0
    .wavefront_size: 64
  - .agpr_count:     0
    .args:
      - .address_space:  global
        .offset:         0
        .size:           8
        .value_kind:     global_buffer
      - .offset:         8
        .size:           3392
        .value_kind:     by_value
      - .offset:         3400
        .size:           32
        .value_kind:     by_value
      - .offset:         3432
        .size:           4
        .value_kind:     by_value
      - .offset:         3436
        .size:           4
        .value_kind:     by_value
      - .offset:         3440
        .size:           4
        .value_kind:     hidden_block_count_x
      - .offset:         3444
        .size:           4
        .value_kind:     hidden_block_count_y
      - .offset:         3448
        .size:           4
        .value_kind:     hidden_block_count_z
      - .offset:         3452
        .size:           2
        .value_kind:     hidden_group_size_x
      - .offset:         3454
        .size:           2
        .value_kind:     hidden_group_size_y
      - .offset:         3456
        .size:           2
        .value_kind:     hidden_group_size_z
      - .offset:         3458
        .size:           2
        .value_kind:     hidden_remainder_x
      - .offset:         3460
        .size:           2
        .value_kind:     hidden_remainder_y
      - .offset:         3462
        .size:           2
        .value_kind:     hidden_remainder_z
      - .offset:         3480
        .size:           8
        .value_kind:     hidden_global_offset_x
      - .offset:         3488
        .size:           8
        .value_kind:     hidden_global_offset_y
      - .offset:         3496
        .size:           8
        .value_kind:     hidden_global_offset_z
      - .offset:         3504
        .size:           2
        .value_kind:     hidden_grid_dims
    .group_segment_fixed_size: 0
    .kernarg_segment_align: 8
    .kernarg_segment_size: 3696
    .language:       OpenCL C
    .language_version:
      - 2
      - 0
    .max_flat_workgroup_size: 1024
    .name:           _ZN2at6native12_GLOBAL__N_135CatArrayBatchedCopy_alignedK_contigINS1_10OpaqueTypeILj8EEEjLi4ELi64ELi64ELi8EEEvPT_NS1_25CatArrInputTensorMetadataIS5_T0_XT2_EXT3_EEENS1_16TensorSizeStrideIS8_Lj4EEEiS8_
    .private_segment_fixed_size: 0
    .sgpr_count:     32
    .sgpr_spill_count: 0
    .symbol:         _ZN2at6native12_GLOBAL__N_135CatArrayBatchedCopy_alignedK_contigINS1_10OpaqueTypeILj8EEEjLi4ELi64ELi64ELi8EEEvPT_NS1_25CatArrInputTensorMetadataIS5_T0_XT2_EXT3_EEENS1_16TensorSizeStrideIS8_Lj4EEEiS8_.kd
    .uniform_work_group_size: 1
    .uses_dynamic_stack: false
    .vgpr_count:     19
    .vgpr_spill_count: 0
    .wavefront_size: 64
  - .agpr_count:     0
    .args:
      - .address_space:  global
        .offset:         0
        .size:           8
        .value_kind:     global_buffer
      - .offset:         8
        .size:           3392
        .value_kind:     by_value
      - .offset:         3400
        .size:           32
        .value_kind:     by_value
      - .offset:         3432
        .size:           4
        .value_kind:     by_value
      - .offset:         3436
        .size:           4
        .value_kind:     by_value
      - .offset:         3440
        .size:           4
        .value_kind:     hidden_block_count_x
      - .offset:         3444
        .size:           4
        .value_kind:     hidden_block_count_y
      - .offset:         3448
        .size:           4
        .value_kind:     hidden_block_count_z
      - .offset:         3452
        .size:           2
        .value_kind:     hidden_group_size_x
      - .offset:         3454
        .size:           2
        .value_kind:     hidden_group_size_y
      - .offset:         3456
        .size:           2
        .value_kind:     hidden_group_size_z
      - .offset:         3458
        .size:           2
        .value_kind:     hidden_remainder_x
      - .offset:         3460
        .size:           2
        .value_kind:     hidden_remainder_y
      - .offset:         3462
        .size:           2
        .value_kind:     hidden_remainder_z
      - .offset:         3480
        .size:           8
        .value_kind:     hidden_global_offset_x
      - .offset:         3488
        .size:           8
        .value_kind:     hidden_global_offset_y
      - .offset:         3496
        .size:           8
        .value_kind:     hidden_global_offset_z
      - .offset:         3504
        .size:           2
        .value_kind:     hidden_grid_dims
    .group_segment_fixed_size: 0
    .kernarg_segment_align: 8
    .kernarg_segment_size: 3696
    .language:       OpenCL C
    .language_version:
      - 2
      - 0
    .max_flat_workgroup_size: 1024
    .name:           _ZN2at6native12_GLOBAL__N_126CatArrayBatchedCopy_contigINS1_10OpaqueTypeILj8EEEjLi4ELi64ELi64EEEvPT_NS1_25CatArrInputTensorMetadataIS5_T0_XT2_EXT3_EEENS1_16TensorSizeStrideIS8_Lj4EEEiS8_
    .private_segment_fixed_size: 0
    .sgpr_count:     33
    .sgpr_spill_count: 0
    .symbol:         _ZN2at6native12_GLOBAL__N_126CatArrayBatchedCopy_contigINS1_10OpaqueTypeILj8EEEjLi4ELi64ELi64EEEvPT_NS1_25CatArrInputTensorMetadataIS5_T0_XT2_EXT3_EEENS1_16TensorSizeStrideIS8_Lj4EEEiS8_.kd
    .uniform_work_group_size: 1
    .uses_dynamic_stack: false
    .vgpr_count:     15
    .vgpr_spill_count: 0
    .wavefront_size: 64
  - .agpr_count:     0
    .args:
      - .address_space:  global
        .offset:         0
        .size:           8
        .value_kind:     global_buffer
      - .offset:         8
        .size:           3392
        .value_kind:     by_value
      - .offset:         3400
        .size:           32
        .value_kind:     by_value
      - .offset:         3432
        .size:           4
        .value_kind:     by_value
      - .offset:         3436
        .size:           4
        .value_kind:     by_value
      - .offset:         3440
        .size:           4
        .value_kind:     hidden_block_count_x
      - .offset:         3444
        .size:           4
        .value_kind:     hidden_block_count_y
      - .offset:         3448
        .size:           4
        .value_kind:     hidden_block_count_z
      - .offset:         3452
        .size:           2
        .value_kind:     hidden_group_size_x
      - .offset:         3454
        .size:           2
        .value_kind:     hidden_group_size_y
      - .offset:         3456
        .size:           2
        .value_kind:     hidden_group_size_z
      - .offset:         3458
        .size:           2
        .value_kind:     hidden_remainder_x
      - .offset:         3460
        .size:           2
        .value_kind:     hidden_remainder_y
      - .offset:         3462
        .size:           2
        .value_kind:     hidden_remainder_z
      - .offset:         3480
        .size:           8
        .value_kind:     hidden_global_offset_x
      - .offset:         3488
        .size:           8
        .value_kind:     hidden_global_offset_y
      - .offset:         3496
        .size:           8
        .value_kind:     hidden_global_offset_z
      - .offset:         3504
        .size:           2
        .value_kind:     hidden_grid_dims
    .group_segment_fixed_size: 0
    .kernarg_segment_align: 8
    .kernarg_segment_size: 3696
    .language:       OpenCL C
    .language_version:
      - 2
      - 0
    .max_flat_workgroup_size: 1024
    .name:           _ZN2at6native12_GLOBAL__N_119CatArrayBatchedCopyINS1_10OpaqueTypeILj8EEEjLi4ELi64ELi64EEEvPT_NS1_25CatArrInputTensorMetadataIS5_T0_XT2_EXT3_EEENS1_16TensorSizeStrideIS8_Lj4EEEiS8_
    .private_segment_fixed_size: 0
    .sgpr_count:     38
    .sgpr_spill_count: 0
    .symbol:         _ZN2at6native12_GLOBAL__N_119CatArrayBatchedCopyINS1_10OpaqueTypeILj8EEEjLi4ELi64ELi64EEEvPT_NS1_25CatArrInputTensorMetadataIS5_T0_XT2_EXT3_EEENS1_16TensorSizeStrideIS8_Lj4EEEiS8_.kd
    .uniform_work_group_size: 1
    .uses_dynamic_stack: false
    .vgpr_count:     16
    .vgpr_spill_count: 0
    .wavefront_size: 64
  - .agpr_count:     0
    .args:
      - .address_space:  global
        .offset:         0
        .size:           8
        .value_kind:     global_buffer
      - .offset:         8
        .size:           3392
        .value_kind:     by_value
      - .offset:         3400
        .size:           32
        .value_kind:     by_value
      - .offset:         3432
        .size:           4
        .value_kind:     by_value
      - .offset:         3436
        .size:           4
        .value_kind:     by_value
      - .offset:         3440
        .size:           4
        .value_kind:     hidden_block_count_x
      - .offset:         3444
        .size:           4
        .value_kind:     hidden_block_count_y
      - .offset:         3448
        .size:           4
        .value_kind:     hidden_block_count_z
      - .offset:         3452
        .size:           2
        .value_kind:     hidden_group_size_x
      - .offset:         3454
        .size:           2
        .value_kind:     hidden_group_size_y
      - .offset:         3456
        .size:           2
        .value_kind:     hidden_group_size_z
      - .offset:         3458
        .size:           2
        .value_kind:     hidden_remainder_x
      - .offset:         3460
        .size:           2
        .value_kind:     hidden_remainder_y
      - .offset:         3462
        .size:           2
        .value_kind:     hidden_remainder_z
      - .offset:         3480
        .size:           8
        .value_kind:     hidden_global_offset_x
      - .offset:         3488
        .size:           8
        .value_kind:     hidden_global_offset_y
      - .offset:         3496
        .size:           8
        .value_kind:     hidden_global_offset_z
      - .offset:         3504
        .size:           2
        .value_kind:     hidden_grid_dims
    .group_segment_fixed_size: 0
    .kernarg_segment_align: 8
    .kernarg_segment_size: 3696
    .language:       OpenCL C
    .language_version:
      - 2
      - 0
    .max_flat_workgroup_size: 1024
    .name:           _ZN2at6native12_GLOBAL__N_130CatArrayBatchedCopy_vectorizedINS1_10OpaqueTypeILj16EEEjLi1ELi64ELi64ELi16ELi1EEEvPcNS1_25CatArrInputTensorMetadataIT_T0_XT2_EXT3_EEENS1_16TensorSizeStrideIS8_Lj4EEEiS8_
    .private_segment_fixed_size: 0
    .sgpr_count:     23
    .sgpr_spill_count: 0
    .symbol:         _ZN2at6native12_GLOBAL__N_130CatArrayBatchedCopy_vectorizedINS1_10OpaqueTypeILj16EEEjLi1ELi64ELi64ELi16ELi1EEEvPcNS1_25CatArrInputTensorMetadataIT_T0_XT2_EXT3_EEENS1_16TensorSizeStrideIS8_Lj4EEEiS8_.kd
    .uniform_work_group_size: 1
    .uses_dynamic_stack: false
    .vgpr_count:     10
    .vgpr_spill_count: 0
    .wavefront_size: 64
  - .agpr_count:     0
    .args:
      - .address_space:  global
        .offset:         0
        .size:           8
        .value_kind:     global_buffer
      - .offset:         8
        .size:           3392
        .value_kind:     by_value
      - .offset:         3400
        .size:           32
        .value_kind:     by_value
      - .offset:         3432
        .size:           4
        .value_kind:     by_value
      - .offset:         3436
        .size:           4
        .value_kind:     by_value
      - .offset:         3440
        .size:           4
        .value_kind:     hidden_block_count_x
      - .offset:         3444
        .size:           4
        .value_kind:     hidden_block_count_y
      - .offset:         3448
        .size:           4
        .value_kind:     hidden_block_count_z
      - .offset:         3452
        .size:           2
        .value_kind:     hidden_group_size_x
      - .offset:         3454
        .size:           2
        .value_kind:     hidden_group_size_y
      - .offset:         3456
        .size:           2
        .value_kind:     hidden_group_size_z
      - .offset:         3458
        .size:           2
        .value_kind:     hidden_remainder_x
      - .offset:         3460
        .size:           2
        .value_kind:     hidden_remainder_y
      - .offset:         3462
        .size:           2
        .value_kind:     hidden_remainder_z
      - .offset:         3480
        .size:           8
        .value_kind:     hidden_global_offset_x
      - .offset:         3488
        .size:           8
        .value_kind:     hidden_global_offset_y
      - .offset:         3496
        .size:           8
        .value_kind:     hidden_global_offset_z
      - .offset:         3504
        .size:           2
        .value_kind:     hidden_grid_dims
    .group_segment_fixed_size: 0
    .kernarg_segment_align: 8
    .kernarg_segment_size: 3696
    .language:       OpenCL C
    .language_version:
      - 2
      - 0
    .max_flat_workgroup_size: 1024
    .name:           _ZN2at6native12_GLOBAL__N_135CatArrayBatchedCopy_alignedK_contigINS1_10OpaqueTypeILj16EEEjLi1ELi64ELi64ELi16EEEvPT_NS1_25CatArrInputTensorMetadataIS5_T0_XT2_EXT3_EEENS1_16TensorSizeStrideIS8_Lj4EEEiS8_
    .private_segment_fixed_size: 0
    .sgpr_count:     22
    .sgpr_spill_count: 0
    .symbol:         _ZN2at6native12_GLOBAL__N_135CatArrayBatchedCopy_alignedK_contigINS1_10OpaqueTypeILj16EEEjLi1ELi64ELi64ELi16EEEvPT_NS1_25CatArrInputTensorMetadataIS5_T0_XT2_EXT3_EEENS1_16TensorSizeStrideIS8_Lj4EEEiS8_.kd
    .uniform_work_group_size: 1
    .uses_dynamic_stack: false
    .vgpr_count:     12
    .vgpr_spill_count: 0
    .wavefront_size: 64
  - .agpr_count:     0
    .args:
      - .address_space:  global
        .offset:         0
        .size:           8
        .value_kind:     global_buffer
      - .offset:         8
        .size:           3392
        .value_kind:     by_value
      - .offset:         3400
        .size:           32
        .value_kind:     by_value
      - .offset:         3432
        .size:           4
        .value_kind:     by_value
      - .offset:         3436
        .size:           4
        .value_kind:     by_value
      - .offset:         3440
        .size:           4
        .value_kind:     hidden_block_count_x
      - .offset:         3444
        .size:           4
        .value_kind:     hidden_block_count_y
      - .offset:         3448
        .size:           4
        .value_kind:     hidden_block_count_z
      - .offset:         3452
        .size:           2
        .value_kind:     hidden_group_size_x
      - .offset:         3454
        .size:           2
        .value_kind:     hidden_group_size_y
      - .offset:         3456
        .size:           2
        .value_kind:     hidden_group_size_z
      - .offset:         3458
        .size:           2
        .value_kind:     hidden_remainder_x
      - .offset:         3460
        .size:           2
        .value_kind:     hidden_remainder_y
      - .offset:         3462
        .size:           2
        .value_kind:     hidden_remainder_z
      - .offset:         3480
        .size:           8
        .value_kind:     hidden_global_offset_x
      - .offset:         3488
        .size:           8
        .value_kind:     hidden_global_offset_y
      - .offset:         3496
        .size:           8
        .value_kind:     hidden_global_offset_z
      - .offset:         3504
        .size:           2
        .value_kind:     hidden_grid_dims
    .group_segment_fixed_size: 0
    .kernarg_segment_align: 8
    .kernarg_segment_size: 3696
    .language:       OpenCL C
    .language_version:
      - 2
      - 0
    .max_flat_workgroup_size: 1024
    .name:           _ZN2at6native12_GLOBAL__N_135CatArrayBatchedCopy_alignedK_contigINS1_10OpaqueTypeILj16EEEjLi1ELi64ELi64ELi8EEEvPT_NS1_25CatArrInputTensorMetadataIS5_T0_XT2_EXT3_EEENS1_16TensorSizeStrideIS8_Lj4EEEiS8_
    .private_segment_fixed_size: 0
    .sgpr_count:     22
    .sgpr_spill_count: 0
    .symbol:         _ZN2at6native12_GLOBAL__N_135CatArrayBatchedCopy_alignedK_contigINS1_10OpaqueTypeILj16EEEjLi1ELi64ELi64ELi8EEEvPT_NS1_25CatArrInputTensorMetadataIS5_T0_XT2_EXT3_EEENS1_16TensorSizeStrideIS8_Lj4EEEiS8_.kd
    .uniform_work_group_size: 1
    .uses_dynamic_stack: false
    .vgpr_count:     12
    .vgpr_spill_count: 0
    .wavefront_size: 64
  - .agpr_count:     0
    .args:
      - .address_space:  global
        .offset:         0
        .size:           8
        .value_kind:     global_buffer
      - .offset:         8
        .size:           3392
        .value_kind:     by_value
      - .offset:         3400
        .size:           32
        .value_kind:     by_value
      - .offset:         3432
        .size:           4
        .value_kind:     by_value
      - .offset:         3436
        .size:           4
        .value_kind:     by_value
      - .offset:         3440
        .size:           4
        .value_kind:     hidden_block_count_x
      - .offset:         3444
        .size:           4
        .value_kind:     hidden_block_count_y
      - .offset:         3448
        .size:           4
        .value_kind:     hidden_block_count_z
      - .offset:         3452
        .size:           2
        .value_kind:     hidden_group_size_x
      - .offset:         3454
        .size:           2
        .value_kind:     hidden_group_size_y
      - .offset:         3456
        .size:           2
        .value_kind:     hidden_group_size_z
      - .offset:         3458
        .size:           2
        .value_kind:     hidden_remainder_x
      - .offset:         3460
        .size:           2
        .value_kind:     hidden_remainder_y
      - .offset:         3462
        .size:           2
        .value_kind:     hidden_remainder_z
      - .offset:         3480
        .size:           8
        .value_kind:     hidden_global_offset_x
      - .offset:         3488
        .size:           8
        .value_kind:     hidden_global_offset_y
      - .offset:         3496
        .size:           8
        .value_kind:     hidden_global_offset_z
      - .offset:         3504
        .size:           2
        .value_kind:     hidden_grid_dims
    .group_segment_fixed_size: 0
    .kernarg_segment_align: 8
    .kernarg_segment_size: 3696
    .language:       OpenCL C
    .language_version:
      - 2
      - 0
    .max_flat_workgroup_size: 1024
    .name:           _ZN2at6native12_GLOBAL__N_126CatArrayBatchedCopy_contigINS1_10OpaqueTypeILj16EEEjLi1ELi64ELi64EEEvPT_NS1_25CatArrInputTensorMetadataIS5_T0_XT2_EXT3_EEENS1_16TensorSizeStrideIS8_Lj4EEEiS8_
    .private_segment_fixed_size: 0
    .sgpr_count:     22
    .sgpr_spill_count: 0
    .symbol:         _ZN2at6native12_GLOBAL__N_126CatArrayBatchedCopy_contigINS1_10OpaqueTypeILj16EEEjLi1ELi64ELi64EEEvPT_NS1_25CatArrInputTensorMetadataIS5_T0_XT2_EXT3_EEENS1_16TensorSizeStrideIS8_Lj4EEEiS8_.kd
    .uniform_work_group_size: 1
    .uses_dynamic_stack: false
    .vgpr_count:     10
    .vgpr_spill_count: 0
    .wavefront_size: 64
  - .agpr_count:     0
    .args:
      - .address_space:  global
        .offset:         0
        .size:           8
        .value_kind:     global_buffer
      - .offset:         8
        .size:           3392
        .value_kind:     by_value
      - .offset:         3400
        .size:           32
        .value_kind:     by_value
      - .offset:         3432
        .size:           4
        .value_kind:     by_value
      - .offset:         3436
        .size:           4
        .value_kind:     by_value
      - .offset:         3440
        .size:           4
        .value_kind:     hidden_block_count_x
      - .offset:         3444
        .size:           4
        .value_kind:     hidden_block_count_y
      - .offset:         3448
        .size:           4
        .value_kind:     hidden_block_count_z
      - .offset:         3452
        .size:           2
        .value_kind:     hidden_group_size_x
      - .offset:         3454
        .size:           2
        .value_kind:     hidden_group_size_y
      - .offset:         3456
        .size:           2
        .value_kind:     hidden_group_size_z
      - .offset:         3458
        .size:           2
        .value_kind:     hidden_remainder_x
      - .offset:         3460
        .size:           2
        .value_kind:     hidden_remainder_y
      - .offset:         3462
        .size:           2
        .value_kind:     hidden_remainder_z
      - .offset:         3480
        .size:           8
        .value_kind:     hidden_global_offset_x
      - .offset:         3488
        .size:           8
        .value_kind:     hidden_global_offset_y
      - .offset:         3496
        .size:           8
        .value_kind:     hidden_global_offset_z
      - .offset:         3504
        .size:           2
        .value_kind:     hidden_grid_dims
    .group_segment_fixed_size: 0
    .kernarg_segment_align: 8
    .kernarg_segment_size: 3696
    .language:       OpenCL C
    .language_version:
      - 2
      - 0
    .max_flat_workgroup_size: 1024
    .name:           _ZN2at6native12_GLOBAL__N_119CatArrayBatchedCopyINS1_10OpaqueTypeILj16EEEjLi1ELi64ELi64EEEvPT_NS1_25CatArrInputTensorMetadataIS5_T0_XT2_EXT3_EEENS1_16TensorSizeStrideIS8_Lj4EEEiS8_
    .private_segment_fixed_size: 0
    .sgpr_count:     25
    .sgpr_spill_count: 0
    .symbol:         _ZN2at6native12_GLOBAL__N_119CatArrayBatchedCopyINS1_10OpaqueTypeILj16EEEjLi1ELi64ELi64EEEvPT_NS1_25CatArrInputTensorMetadataIS5_T0_XT2_EXT3_EEENS1_16TensorSizeStrideIS8_Lj4EEEiS8_.kd
    .uniform_work_group_size: 1
    .uses_dynamic_stack: false
    .vgpr_count:     12
    .vgpr_spill_count: 0
    .wavefront_size: 64
  - .agpr_count:     0
    .args:
      - .address_space:  global
        .offset:         0
        .size:           8
        .value_kind:     global_buffer
      - .offset:         8
        .size:           3392
        .value_kind:     by_value
      - .offset:         3400
        .size:           32
        .value_kind:     by_value
      - .offset:         3432
        .size:           4
        .value_kind:     by_value
      - .offset:         3436
        .size:           4
        .value_kind:     by_value
      - .offset:         3440
        .size:           4
        .value_kind:     hidden_block_count_x
      - .offset:         3444
        .size:           4
        .value_kind:     hidden_block_count_y
      - .offset:         3448
        .size:           4
        .value_kind:     hidden_block_count_z
      - .offset:         3452
        .size:           2
        .value_kind:     hidden_group_size_x
      - .offset:         3454
        .size:           2
        .value_kind:     hidden_group_size_y
      - .offset:         3456
        .size:           2
        .value_kind:     hidden_group_size_z
      - .offset:         3458
        .size:           2
        .value_kind:     hidden_remainder_x
      - .offset:         3460
        .size:           2
        .value_kind:     hidden_remainder_y
      - .offset:         3462
        .size:           2
        .value_kind:     hidden_remainder_z
      - .offset:         3480
        .size:           8
        .value_kind:     hidden_global_offset_x
      - .offset:         3488
        .size:           8
        .value_kind:     hidden_global_offset_y
      - .offset:         3496
        .size:           8
        .value_kind:     hidden_global_offset_z
      - .offset:         3504
        .size:           2
        .value_kind:     hidden_grid_dims
    .group_segment_fixed_size: 0
    .kernarg_segment_align: 8
    .kernarg_segment_size: 3696
    .language:       OpenCL C
    .language_version:
      - 2
      - 0
    .max_flat_workgroup_size: 1024
    .name:           _ZN2at6native12_GLOBAL__N_130CatArrayBatchedCopy_vectorizedINS1_10OpaqueTypeILj16EEEjLi2ELi64ELi64ELi16ELi1EEEvPcNS1_25CatArrInputTensorMetadataIT_T0_XT2_EXT3_EEENS1_16TensorSizeStrideIS8_Lj4EEEiS8_
    .private_segment_fixed_size: 0
    .sgpr_count:     25
    .sgpr_spill_count: 0
    .symbol:         _ZN2at6native12_GLOBAL__N_130CatArrayBatchedCopy_vectorizedINS1_10OpaqueTypeILj16EEEjLi2ELi64ELi64ELi16ELi1EEEvPcNS1_25CatArrInputTensorMetadataIT_T0_XT2_EXT3_EEENS1_16TensorSizeStrideIS8_Lj4EEEiS8_.kd
    .uniform_work_group_size: 1
    .uses_dynamic_stack: false
    .vgpr_count:     12
    .vgpr_spill_count: 0
    .wavefront_size: 64
  - .agpr_count:     0
    .args:
      - .address_space:  global
        .offset:         0
        .size:           8
        .value_kind:     global_buffer
      - .offset:         8
        .size:           3392
        .value_kind:     by_value
      - .offset:         3400
        .size:           32
        .value_kind:     by_value
      - .offset:         3432
        .size:           4
        .value_kind:     by_value
      - .offset:         3436
        .size:           4
        .value_kind:     by_value
      - .offset:         3440
        .size:           4
        .value_kind:     hidden_block_count_x
      - .offset:         3444
        .size:           4
        .value_kind:     hidden_block_count_y
      - .offset:         3448
        .size:           4
        .value_kind:     hidden_block_count_z
      - .offset:         3452
        .size:           2
        .value_kind:     hidden_group_size_x
      - .offset:         3454
        .size:           2
        .value_kind:     hidden_group_size_y
      - .offset:         3456
        .size:           2
        .value_kind:     hidden_group_size_z
      - .offset:         3458
        .size:           2
        .value_kind:     hidden_remainder_x
      - .offset:         3460
        .size:           2
        .value_kind:     hidden_remainder_y
      - .offset:         3462
        .size:           2
        .value_kind:     hidden_remainder_z
      - .offset:         3480
        .size:           8
        .value_kind:     hidden_global_offset_x
      - .offset:         3488
        .size:           8
        .value_kind:     hidden_global_offset_y
      - .offset:         3496
        .size:           8
        .value_kind:     hidden_global_offset_z
      - .offset:         3504
        .size:           2
        .value_kind:     hidden_grid_dims
    .group_segment_fixed_size: 0
    .kernarg_segment_align: 8
    .kernarg_segment_size: 3696
    .language:       OpenCL C
    .language_version:
      - 2
      - 0
    .max_flat_workgroup_size: 1024
    .name:           _ZN2at6native12_GLOBAL__N_135CatArrayBatchedCopy_alignedK_contigINS1_10OpaqueTypeILj16EEEjLi2ELi64ELi64ELi16EEEvPT_NS1_25CatArrInputTensorMetadataIS5_T0_XT2_EXT3_EEENS1_16TensorSizeStrideIS8_Lj4EEEiS8_
    .private_segment_fixed_size: 0
    .sgpr_count:     26
    .sgpr_spill_count: 0
    .symbol:         _ZN2at6native12_GLOBAL__N_135CatArrayBatchedCopy_alignedK_contigINS1_10OpaqueTypeILj16EEEjLi2ELi64ELi64ELi16EEEvPT_NS1_25CatArrInputTensorMetadataIS5_T0_XT2_EXT3_EEENS1_16TensorSizeStrideIS8_Lj4EEEiS8_.kd
    .uniform_work_group_size: 1
    .uses_dynamic_stack: false
    .vgpr_count:     17
    .vgpr_spill_count: 0
    .wavefront_size: 64
  - .agpr_count:     0
    .args:
      - .address_space:  global
        .offset:         0
        .size:           8
        .value_kind:     global_buffer
      - .offset:         8
        .size:           3392
        .value_kind:     by_value
      - .offset:         3400
        .size:           32
        .value_kind:     by_value
      - .offset:         3432
        .size:           4
        .value_kind:     by_value
      - .offset:         3436
        .size:           4
        .value_kind:     by_value
      - .offset:         3440
        .size:           4
        .value_kind:     hidden_block_count_x
      - .offset:         3444
        .size:           4
        .value_kind:     hidden_block_count_y
      - .offset:         3448
        .size:           4
        .value_kind:     hidden_block_count_z
      - .offset:         3452
        .size:           2
        .value_kind:     hidden_group_size_x
      - .offset:         3454
        .size:           2
        .value_kind:     hidden_group_size_y
      - .offset:         3456
        .size:           2
        .value_kind:     hidden_group_size_z
      - .offset:         3458
        .size:           2
        .value_kind:     hidden_remainder_x
      - .offset:         3460
        .size:           2
        .value_kind:     hidden_remainder_y
      - .offset:         3462
        .size:           2
        .value_kind:     hidden_remainder_z
      - .offset:         3480
        .size:           8
        .value_kind:     hidden_global_offset_x
      - .offset:         3488
        .size:           8
        .value_kind:     hidden_global_offset_y
      - .offset:         3496
        .size:           8
        .value_kind:     hidden_global_offset_z
      - .offset:         3504
        .size:           2
        .value_kind:     hidden_grid_dims
    .group_segment_fixed_size: 0
    .kernarg_segment_align: 8
    .kernarg_segment_size: 3696
    .language:       OpenCL C
    .language_version:
      - 2
      - 0
    .max_flat_workgroup_size: 1024
    .name:           _ZN2at6native12_GLOBAL__N_135CatArrayBatchedCopy_alignedK_contigINS1_10OpaqueTypeILj16EEEjLi2ELi64ELi64ELi8EEEvPT_NS1_25CatArrInputTensorMetadataIS5_T0_XT2_EXT3_EEENS1_16TensorSizeStrideIS8_Lj4EEEiS8_
    .private_segment_fixed_size: 0
    .sgpr_count:     26
    .sgpr_spill_count: 0
    .symbol:         _ZN2at6native12_GLOBAL__N_135CatArrayBatchedCopy_alignedK_contigINS1_10OpaqueTypeILj16EEEjLi2ELi64ELi64ELi8EEEvPT_NS1_25CatArrInputTensorMetadataIS5_T0_XT2_EXT3_EEENS1_16TensorSizeStrideIS8_Lj4EEEiS8_.kd
    .uniform_work_group_size: 1
    .uses_dynamic_stack: false
    .vgpr_count:     17
    .vgpr_spill_count: 0
    .wavefront_size: 64
  - .agpr_count:     0
    .args:
      - .address_space:  global
        .offset:         0
        .size:           8
        .value_kind:     global_buffer
      - .offset:         8
        .size:           3392
        .value_kind:     by_value
      - .offset:         3400
        .size:           32
        .value_kind:     by_value
      - .offset:         3432
        .size:           4
        .value_kind:     by_value
      - .offset:         3436
        .size:           4
        .value_kind:     by_value
      - .offset:         3440
        .size:           4
        .value_kind:     hidden_block_count_x
      - .offset:         3444
        .size:           4
        .value_kind:     hidden_block_count_y
      - .offset:         3448
        .size:           4
        .value_kind:     hidden_block_count_z
      - .offset:         3452
        .size:           2
        .value_kind:     hidden_group_size_x
      - .offset:         3454
        .size:           2
        .value_kind:     hidden_group_size_y
      - .offset:         3456
        .size:           2
        .value_kind:     hidden_group_size_z
      - .offset:         3458
        .size:           2
        .value_kind:     hidden_remainder_x
      - .offset:         3460
        .size:           2
        .value_kind:     hidden_remainder_y
      - .offset:         3462
        .size:           2
        .value_kind:     hidden_remainder_z
      - .offset:         3480
        .size:           8
        .value_kind:     hidden_global_offset_x
      - .offset:         3488
        .size:           8
        .value_kind:     hidden_global_offset_y
      - .offset:         3496
        .size:           8
        .value_kind:     hidden_global_offset_z
      - .offset:         3504
        .size:           2
        .value_kind:     hidden_grid_dims
    .group_segment_fixed_size: 0
    .kernarg_segment_align: 8
    .kernarg_segment_size: 3696
    .language:       OpenCL C
    .language_version:
      - 2
      - 0
    .max_flat_workgroup_size: 1024
    .name:           _ZN2at6native12_GLOBAL__N_126CatArrayBatchedCopy_contigINS1_10OpaqueTypeILj16EEEjLi2ELi64ELi64EEEvPT_NS1_25CatArrInputTensorMetadataIS5_T0_XT2_EXT3_EEENS1_16TensorSizeStrideIS8_Lj4EEEiS8_
    .private_segment_fixed_size: 0
    .sgpr_count:     24
    .sgpr_spill_count: 0
    .symbol:         _ZN2at6native12_GLOBAL__N_126CatArrayBatchedCopy_contigINS1_10OpaqueTypeILj16EEEjLi2ELi64ELi64EEEvPT_NS1_25CatArrInputTensorMetadataIS5_T0_XT2_EXT3_EEENS1_16TensorSizeStrideIS8_Lj4EEEiS8_.kd
    .uniform_work_group_size: 1
    .uses_dynamic_stack: false
    .vgpr_count:     13
    .vgpr_spill_count: 0
    .wavefront_size: 64
  - .agpr_count:     0
    .args:
      - .address_space:  global
        .offset:         0
        .size:           8
        .value_kind:     global_buffer
      - .offset:         8
        .size:           3392
        .value_kind:     by_value
      - .offset:         3400
        .size:           32
        .value_kind:     by_value
      - .offset:         3432
        .size:           4
        .value_kind:     by_value
      - .offset:         3436
        .size:           4
        .value_kind:     by_value
      - .offset:         3440
        .size:           4
        .value_kind:     hidden_block_count_x
      - .offset:         3444
        .size:           4
        .value_kind:     hidden_block_count_y
      - .offset:         3448
        .size:           4
        .value_kind:     hidden_block_count_z
      - .offset:         3452
        .size:           2
        .value_kind:     hidden_group_size_x
      - .offset:         3454
        .size:           2
        .value_kind:     hidden_group_size_y
      - .offset:         3456
        .size:           2
        .value_kind:     hidden_group_size_z
      - .offset:         3458
        .size:           2
        .value_kind:     hidden_remainder_x
      - .offset:         3460
        .size:           2
        .value_kind:     hidden_remainder_y
      - .offset:         3462
        .size:           2
        .value_kind:     hidden_remainder_z
      - .offset:         3480
        .size:           8
        .value_kind:     hidden_global_offset_x
      - .offset:         3488
        .size:           8
        .value_kind:     hidden_global_offset_y
      - .offset:         3496
        .size:           8
        .value_kind:     hidden_global_offset_z
      - .offset:         3504
        .size:           2
        .value_kind:     hidden_grid_dims
    .group_segment_fixed_size: 0
    .kernarg_segment_align: 8
    .kernarg_segment_size: 3696
    .language:       OpenCL C
    .language_version:
      - 2
      - 0
    .max_flat_workgroup_size: 1024
    .name:           _ZN2at6native12_GLOBAL__N_119CatArrayBatchedCopyINS1_10OpaqueTypeILj16EEEjLi2ELi64ELi64EEEvPT_NS1_25CatArrInputTensorMetadataIS5_T0_XT2_EXT3_EEENS1_16TensorSizeStrideIS8_Lj4EEEiS8_
    .private_segment_fixed_size: 0
    .sgpr_count:     31
    .sgpr_spill_count: 0
    .symbol:         _ZN2at6native12_GLOBAL__N_119CatArrayBatchedCopyINS1_10OpaqueTypeILj16EEEjLi2ELi64ELi64EEEvPT_NS1_25CatArrInputTensorMetadataIS5_T0_XT2_EXT3_EEENS1_16TensorSizeStrideIS8_Lj4EEEiS8_.kd
    .uniform_work_group_size: 1
    .uses_dynamic_stack: false
    .vgpr_count:     12
    .vgpr_spill_count: 0
    .wavefront_size: 64
  - .agpr_count:     0
    .args:
      - .address_space:  global
        .offset:         0
        .size:           8
        .value_kind:     global_buffer
      - .offset:         8
        .size:           3392
        .value_kind:     by_value
      - .offset:         3400
        .size:           32
        .value_kind:     by_value
      - .offset:         3432
        .size:           4
        .value_kind:     by_value
      - .offset:         3436
        .size:           4
        .value_kind:     by_value
      - .offset:         3440
        .size:           4
        .value_kind:     hidden_block_count_x
      - .offset:         3444
        .size:           4
        .value_kind:     hidden_block_count_y
      - .offset:         3448
        .size:           4
        .value_kind:     hidden_block_count_z
      - .offset:         3452
        .size:           2
        .value_kind:     hidden_group_size_x
      - .offset:         3454
        .size:           2
        .value_kind:     hidden_group_size_y
      - .offset:         3456
        .size:           2
        .value_kind:     hidden_group_size_z
      - .offset:         3458
        .size:           2
        .value_kind:     hidden_remainder_x
      - .offset:         3460
        .size:           2
        .value_kind:     hidden_remainder_y
      - .offset:         3462
        .size:           2
        .value_kind:     hidden_remainder_z
      - .offset:         3480
        .size:           8
        .value_kind:     hidden_global_offset_x
      - .offset:         3488
        .size:           8
        .value_kind:     hidden_global_offset_y
      - .offset:         3496
        .size:           8
        .value_kind:     hidden_global_offset_z
      - .offset:         3504
        .size:           2
        .value_kind:     hidden_grid_dims
    .group_segment_fixed_size: 0
    .kernarg_segment_align: 8
    .kernarg_segment_size: 3696
    .language:       OpenCL C
    .language_version:
      - 2
      - 0
    .max_flat_workgroup_size: 1024
    .name:           _ZN2at6native12_GLOBAL__N_130CatArrayBatchedCopy_vectorizedINS1_10OpaqueTypeILj16EEEjLi3ELi64ELi64ELi16ELi1EEEvPcNS1_25CatArrInputTensorMetadataIT_T0_XT2_EXT3_EEENS1_16TensorSizeStrideIS8_Lj4EEEiS8_
    .private_segment_fixed_size: 0
    .sgpr_count:     32
    .sgpr_spill_count: 0
    .symbol:         _ZN2at6native12_GLOBAL__N_130CatArrayBatchedCopy_vectorizedINS1_10OpaqueTypeILj16EEEjLi3ELi64ELi64ELi16ELi1EEEvPcNS1_25CatArrInputTensorMetadataIT_T0_XT2_EXT3_EEENS1_16TensorSizeStrideIS8_Lj4EEEiS8_.kd
    .uniform_work_group_size: 1
    .uses_dynamic_stack: false
    .vgpr_count:     14
    .vgpr_spill_count: 0
    .wavefront_size: 64
  - .agpr_count:     0
    .args:
      - .address_space:  global
        .offset:         0
        .size:           8
        .value_kind:     global_buffer
      - .offset:         8
        .size:           3392
        .value_kind:     by_value
      - .offset:         3400
        .size:           32
        .value_kind:     by_value
      - .offset:         3432
        .size:           4
        .value_kind:     by_value
      - .offset:         3436
        .size:           4
        .value_kind:     by_value
      - .offset:         3440
        .size:           4
        .value_kind:     hidden_block_count_x
      - .offset:         3444
        .size:           4
        .value_kind:     hidden_block_count_y
      - .offset:         3448
        .size:           4
        .value_kind:     hidden_block_count_z
      - .offset:         3452
        .size:           2
        .value_kind:     hidden_group_size_x
      - .offset:         3454
        .size:           2
        .value_kind:     hidden_group_size_y
      - .offset:         3456
        .size:           2
        .value_kind:     hidden_group_size_z
      - .offset:         3458
        .size:           2
        .value_kind:     hidden_remainder_x
      - .offset:         3460
        .size:           2
        .value_kind:     hidden_remainder_y
      - .offset:         3462
        .size:           2
        .value_kind:     hidden_remainder_z
      - .offset:         3480
        .size:           8
        .value_kind:     hidden_global_offset_x
      - .offset:         3488
        .size:           8
        .value_kind:     hidden_global_offset_y
      - .offset:         3496
        .size:           8
        .value_kind:     hidden_global_offset_z
      - .offset:         3504
        .size:           2
        .value_kind:     hidden_grid_dims
    .group_segment_fixed_size: 0
    .kernarg_segment_align: 8
    .kernarg_segment_size: 3696
    .language:       OpenCL C
    .language_version:
      - 2
      - 0
    .max_flat_workgroup_size: 1024
    .name:           _ZN2at6native12_GLOBAL__N_135CatArrayBatchedCopy_alignedK_contigINS1_10OpaqueTypeILj16EEEjLi3ELi64ELi64ELi16EEEvPT_NS1_25CatArrInputTensorMetadataIS5_T0_XT2_EXT3_EEENS1_16TensorSizeStrideIS8_Lj4EEEiS8_
    .private_segment_fixed_size: 0
    .sgpr_count:     30
    .sgpr_spill_count: 0
    .symbol:         _ZN2at6native12_GLOBAL__N_135CatArrayBatchedCopy_alignedK_contigINS1_10OpaqueTypeILj16EEEjLi3ELi64ELi64ELi16EEEvPT_NS1_25CatArrInputTensorMetadataIS5_T0_XT2_EXT3_EEENS1_16TensorSizeStrideIS8_Lj4EEEiS8_.kd
    .uniform_work_group_size: 1
    .uses_dynamic_stack: false
    .vgpr_count:     18
    .vgpr_spill_count: 0
    .wavefront_size: 64
  - .agpr_count:     0
    .args:
      - .address_space:  global
        .offset:         0
        .size:           8
        .value_kind:     global_buffer
      - .offset:         8
        .size:           3392
        .value_kind:     by_value
      - .offset:         3400
        .size:           32
        .value_kind:     by_value
      - .offset:         3432
        .size:           4
        .value_kind:     by_value
      - .offset:         3436
        .size:           4
        .value_kind:     by_value
      - .offset:         3440
        .size:           4
        .value_kind:     hidden_block_count_x
      - .offset:         3444
        .size:           4
        .value_kind:     hidden_block_count_y
      - .offset:         3448
        .size:           4
        .value_kind:     hidden_block_count_z
      - .offset:         3452
        .size:           2
        .value_kind:     hidden_group_size_x
      - .offset:         3454
        .size:           2
        .value_kind:     hidden_group_size_y
      - .offset:         3456
        .size:           2
        .value_kind:     hidden_group_size_z
      - .offset:         3458
        .size:           2
        .value_kind:     hidden_remainder_x
      - .offset:         3460
        .size:           2
        .value_kind:     hidden_remainder_y
      - .offset:         3462
        .size:           2
        .value_kind:     hidden_remainder_z
      - .offset:         3480
        .size:           8
        .value_kind:     hidden_global_offset_x
      - .offset:         3488
        .size:           8
        .value_kind:     hidden_global_offset_y
      - .offset:         3496
        .size:           8
        .value_kind:     hidden_global_offset_z
      - .offset:         3504
        .size:           2
        .value_kind:     hidden_grid_dims
    .group_segment_fixed_size: 0
    .kernarg_segment_align: 8
    .kernarg_segment_size: 3696
    .language:       OpenCL C
    .language_version:
      - 2
      - 0
    .max_flat_workgroup_size: 1024
    .name:           _ZN2at6native12_GLOBAL__N_135CatArrayBatchedCopy_alignedK_contigINS1_10OpaqueTypeILj16EEEjLi3ELi64ELi64ELi8EEEvPT_NS1_25CatArrInputTensorMetadataIS5_T0_XT2_EXT3_EEENS1_16TensorSizeStrideIS8_Lj4EEEiS8_
    .private_segment_fixed_size: 0
    .sgpr_count:     30
    .sgpr_spill_count: 0
    .symbol:         _ZN2at6native12_GLOBAL__N_135CatArrayBatchedCopy_alignedK_contigINS1_10OpaqueTypeILj16EEEjLi3ELi64ELi64ELi8EEEvPT_NS1_25CatArrInputTensorMetadataIS5_T0_XT2_EXT3_EEENS1_16TensorSizeStrideIS8_Lj4EEEiS8_.kd
    .uniform_work_group_size: 1
    .uses_dynamic_stack: false
    .vgpr_count:     18
    .vgpr_spill_count: 0
    .wavefront_size: 64
  - .agpr_count:     0
    .args:
      - .address_space:  global
        .offset:         0
        .size:           8
        .value_kind:     global_buffer
      - .offset:         8
        .size:           3392
        .value_kind:     by_value
      - .offset:         3400
        .size:           32
        .value_kind:     by_value
      - .offset:         3432
        .size:           4
        .value_kind:     by_value
      - .offset:         3436
        .size:           4
        .value_kind:     by_value
      - .offset:         3440
        .size:           4
        .value_kind:     hidden_block_count_x
      - .offset:         3444
        .size:           4
        .value_kind:     hidden_block_count_y
      - .offset:         3448
        .size:           4
        .value_kind:     hidden_block_count_z
      - .offset:         3452
        .size:           2
        .value_kind:     hidden_group_size_x
      - .offset:         3454
        .size:           2
        .value_kind:     hidden_group_size_y
      - .offset:         3456
        .size:           2
        .value_kind:     hidden_group_size_z
      - .offset:         3458
        .size:           2
        .value_kind:     hidden_remainder_x
      - .offset:         3460
        .size:           2
        .value_kind:     hidden_remainder_y
      - .offset:         3462
        .size:           2
        .value_kind:     hidden_remainder_z
      - .offset:         3480
        .size:           8
        .value_kind:     hidden_global_offset_x
      - .offset:         3488
        .size:           8
        .value_kind:     hidden_global_offset_y
      - .offset:         3496
        .size:           8
        .value_kind:     hidden_global_offset_z
      - .offset:         3504
        .size:           2
        .value_kind:     hidden_grid_dims
    .group_segment_fixed_size: 0
    .kernarg_segment_align: 8
    .kernarg_segment_size: 3696
    .language:       OpenCL C
    .language_version:
      - 2
      - 0
    .max_flat_workgroup_size: 1024
    .name:           _ZN2at6native12_GLOBAL__N_126CatArrayBatchedCopy_contigINS1_10OpaqueTypeILj16EEEjLi3ELi64ELi64EEEvPT_NS1_25CatArrInputTensorMetadataIS5_T0_XT2_EXT3_EEENS1_16TensorSizeStrideIS8_Lj4EEEiS8_
    .private_segment_fixed_size: 0
    .sgpr_count:     30
    .sgpr_spill_count: 0
    .symbol:         _ZN2at6native12_GLOBAL__N_126CatArrayBatchedCopy_contigINS1_10OpaqueTypeILj16EEEjLi3ELi64ELi64EEEvPT_NS1_25CatArrInputTensorMetadataIS5_T0_XT2_EXT3_EEENS1_16TensorSizeStrideIS8_Lj4EEEiS8_.kd
    .uniform_work_group_size: 1
    .uses_dynamic_stack: false
    .vgpr_count:     14
    .vgpr_spill_count: 0
    .wavefront_size: 64
  - .agpr_count:     0
    .args:
      - .address_space:  global
        .offset:         0
        .size:           8
        .value_kind:     global_buffer
      - .offset:         8
        .size:           3392
        .value_kind:     by_value
      - .offset:         3400
        .size:           32
        .value_kind:     by_value
      - .offset:         3432
        .size:           4
        .value_kind:     by_value
      - .offset:         3436
        .size:           4
        .value_kind:     by_value
      - .offset:         3440
        .size:           4
        .value_kind:     hidden_block_count_x
      - .offset:         3444
        .size:           4
        .value_kind:     hidden_block_count_y
      - .offset:         3448
        .size:           4
        .value_kind:     hidden_block_count_z
      - .offset:         3452
        .size:           2
        .value_kind:     hidden_group_size_x
      - .offset:         3454
        .size:           2
        .value_kind:     hidden_group_size_y
      - .offset:         3456
        .size:           2
        .value_kind:     hidden_group_size_z
      - .offset:         3458
        .size:           2
        .value_kind:     hidden_remainder_x
      - .offset:         3460
        .size:           2
        .value_kind:     hidden_remainder_y
      - .offset:         3462
        .size:           2
        .value_kind:     hidden_remainder_z
      - .offset:         3480
        .size:           8
        .value_kind:     hidden_global_offset_x
      - .offset:         3488
        .size:           8
        .value_kind:     hidden_global_offset_y
      - .offset:         3496
        .size:           8
        .value_kind:     hidden_global_offset_z
      - .offset:         3504
        .size:           2
        .value_kind:     hidden_grid_dims
    .group_segment_fixed_size: 0
    .kernarg_segment_align: 8
    .kernarg_segment_size: 3696
    .language:       OpenCL C
    .language_version:
      - 2
      - 0
    .max_flat_workgroup_size: 1024
    .name:           _ZN2at6native12_GLOBAL__N_119CatArrayBatchedCopyINS1_10OpaqueTypeILj16EEEjLi3ELi64ELi64EEEvPT_NS1_25CatArrInputTensorMetadataIS5_T0_XT2_EXT3_EEENS1_16TensorSizeStrideIS8_Lj4EEEiS8_
    .private_segment_fixed_size: 0
    .sgpr_count:     35
    .sgpr_spill_count: 0
    .symbol:         _ZN2at6native12_GLOBAL__N_119CatArrayBatchedCopyINS1_10OpaqueTypeILj16EEEjLi3ELi64ELi64EEEvPT_NS1_25CatArrInputTensorMetadataIS5_T0_XT2_EXT3_EEENS1_16TensorSizeStrideIS8_Lj4EEEiS8_.kd
    .uniform_work_group_size: 1
    .uses_dynamic_stack: false
    .vgpr_count:     15
    .vgpr_spill_count: 0
    .wavefront_size: 64
  - .agpr_count:     0
    .args:
      - .address_space:  global
        .offset:         0
        .size:           8
        .value_kind:     global_buffer
      - .offset:         8
        .size:           3392
        .value_kind:     by_value
      - .offset:         3400
        .size:           32
        .value_kind:     by_value
      - .offset:         3432
        .size:           4
        .value_kind:     by_value
      - .offset:         3436
        .size:           4
        .value_kind:     by_value
      - .offset:         3440
        .size:           4
        .value_kind:     hidden_block_count_x
      - .offset:         3444
        .size:           4
        .value_kind:     hidden_block_count_y
      - .offset:         3448
        .size:           4
        .value_kind:     hidden_block_count_z
      - .offset:         3452
        .size:           2
        .value_kind:     hidden_group_size_x
      - .offset:         3454
        .size:           2
        .value_kind:     hidden_group_size_y
      - .offset:         3456
        .size:           2
        .value_kind:     hidden_group_size_z
      - .offset:         3458
        .size:           2
        .value_kind:     hidden_remainder_x
      - .offset:         3460
        .size:           2
        .value_kind:     hidden_remainder_y
      - .offset:         3462
        .size:           2
        .value_kind:     hidden_remainder_z
      - .offset:         3480
        .size:           8
        .value_kind:     hidden_global_offset_x
      - .offset:         3488
        .size:           8
        .value_kind:     hidden_global_offset_y
      - .offset:         3496
        .size:           8
        .value_kind:     hidden_global_offset_z
      - .offset:         3504
        .size:           2
        .value_kind:     hidden_grid_dims
    .group_segment_fixed_size: 0
    .kernarg_segment_align: 8
    .kernarg_segment_size: 3696
    .language:       OpenCL C
    .language_version:
      - 2
      - 0
    .max_flat_workgroup_size: 1024
    .name:           _ZN2at6native12_GLOBAL__N_130CatArrayBatchedCopy_vectorizedINS1_10OpaqueTypeILj16EEEjLi4ELi64ELi64ELi16ELi1EEEvPcNS1_25CatArrInputTensorMetadataIT_T0_XT2_EXT3_EEENS1_16TensorSizeStrideIS8_Lj4EEEiS8_
    .private_segment_fixed_size: 0
    .sgpr_count:     33
    .sgpr_spill_count: 0
    .symbol:         _ZN2at6native12_GLOBAL__N_130CatArrayBatchedCopy_vectorizedINS1_10OpaqueTypeILj16EEEjLi4ELi64ELi64ELi16ELi1EEEvPcNS1_25CatArrInputTensorMetadataIT_T0_XT2_EXT3_EEENS1_16TensorSizeStrideIS8_Lj4EEEiS8_.kd
    .uniform_work_group_size: 1
    .uses_dynamic_stack: false
    .vgpr_count:     16
    .vgpr_spill_count: 0
    .wavefront_size: 64
  - .agpr_count:     0
    .args:
      - .address_space:  global
        .offset:         0
        .size:           8
        .value_kind:     global_buffer
      - .offset:         8
        .size:           3392
        .value_kind:     by_value
      - .offset:         3400
        .size:           32
        .value_kind:     by_value
      - .offset:         3432
        .size:           4
        .value_kind:     by_value
      - .offset:         3436
        .size:           4
        .value_kind:     by_value
      - .offset:         3440
        .size:           4
        .value_kind:     hidden_block_count_x
      - .offset:         3444
        .size:           4
        .value_kind:     hidden_block_count_y
      - .offset:         3448
        .size:           4
        .value_kind:     hidden_block_count_z
      - .offset:         3452
        .size:           2
        .value_kind:     hidden_group_size_x
      - .offset:         3454
        .size:           2
        .value_kind:     hidden_group_size_y
      - .offset:         3456
        .size:           2
        .value_kind:     hidden_group_size_z
      - .offset:         3458
        .size:           2
        .value_kind:     hidden_remainder_x
      - .offset:         3460
        .size:           2
        .value_kind:     hidden_remainder_y
      - .offset:         3462
        .size:           2
        .value_kind:     hidden_remainder_z
      - .offset:         3480
        .size:           8
        .value_kind:     hidden_global_offset_x
      - .offset:         3488
        .size:           8
        .value_kind:     hidden_global_offset_y
      - .offset:         3496
        .size:           8
        .value_kind:     hidden_global_offset_z
      - .offset:         3504
        .size:           2
        .value_kind:     hidden_grid_dims
    .group_segment_fixed_size: 0
    .kernarg_segment_align: 8
    .kernarg_segment_size: 3696
    .language:       OpenCL C
    .language_version:
      - 2
      - 0
    .max_flat_workgroup_size: 1024
    .name:           _ZN2at6native12_GLOBAL__N_135CatArrayBatchedCopy_alignedK_contigINS1_10OpaqueTypeILj16EEEjLi4ELi64ELi64ELi16EEEvPT_NS1_25CatArrInputTensorMetadataIS5_T0_XT2_EXT3_EEENS1_16TensorSizeStrideIS8_Lj4EEEiS8_
    .private_segment_fixed_size: 0
    .sgpr_count:     32
    .sgpr_spill_count: 0
    .symbol:         _ZN2at6native12_GLOBAL__N_135CatArrayBatchedCopy_alignedK_contigINS1_10OpaqueTypeILj16EEEjLi4ELi64ELi64ELi16EEEvPT_NS1_25CatArrInputTensorMetadataIS5_T0_XT2_EXT3_EEENS1_16TensorSizeStrideIS8_Lj4EEEiS8_.kd
    .uniform_work_group_size: 1
    .uses_dynamic_stack: false
    .vgpr_count:     21
    .vgpr_spill_count: 0
    .wavefront_size: 64
  - .agpr_count:     0
    .args:
      - .address_space:  global
        .offset:         0
        .size:           8
        .value_kind:     global_buffer
      - .offset:         8
        .size:           3392
        .value_kind:     by_value
      - .offset:         3400
        .size:           32
        .value_kind:     by_value
      - .offset:         3432
        .size:           4
        .value_kind:     by_value
      - .offset:         3436
        .size:           4
        .value_kind:     by_value
      - .offset:         3440
        .size:           4
        .value_kind:     hidden_block_count_x
      - .offset:         3444
        .size:           4
        .value_kind:     hidden_block_count_y
      - .offset:         3448
        .size:           4
        .value_kind:     hidden_block_count_z
      - .offset:         3452
        .size:           2
        .value_kind:     hidden_group_size_x
      - .offset:         3454
        .size:           2
        .value_kind:     hidden_group_size_y
      - .offset:         3456
        .size:           2
        .value_kind:     hidden_group_size_z
      - .offset:         3458
        .size:           2
        .value_kind:     hidden_remainder_x
      - .offset:         3460
        .size:           2
        .value_kind:     hidden_remainder_y
      - .offset:         3462
        .size:           2
        .value_kind:     hidden_remainder_z
      - .offset:         3480
        .size:           8
        .value_kind:     hidden_global_offset_x
      - .offset:         3488
        .size:           8
        .value_kind:     hidden_global_offset_y
      - .offset:         3496
        .size:           8
        .value_kind:     hidden_global_offset_z
      - .offset:         3504
        .size:           2
        .value_kind:     hidden_grid_dims
    .group_segment_fixed_size: 0
    .kernarg_segment_align: 8
    .kernarg_segment_size: 3696
    .language:       OpenCL C
    .language_version:
      - 2
      - 0
    .max_flat_workgroup_size: 1024
    .name:           _ZN2at6native12_GLOBAL__N_135CatArrayBatchedCopy_alignedK_contigINS1_10OpaqueTypeILj16EEEjLi4ELi64ELi64ELi8EEEvPT_NS1_25CatArrInputTensorMetadataIS5_T0_XT2_EXT3_EEENS1_16TensorSizeStrideIS8_Lj4EEEiS8_
    .private_segment_fixed_size: 0
    .sgpr_count:     32
    .sgpr_spill_count: 0
    .symbol:         _ZN2at6native12_GLOBAL__N_135CatArrayBatchedCopy_alignedK_contigINS1_10OpaqueTypeILj16EEEjLi4ELi64ELi64ELi8EEEvPT_NS1_25CatArrInputTensorMetadataIS5_T0_XT2_EXT3_EEENS1_16TensorSizeStrideIS8_Lj4EEEiS8_.kd
    .uniform_work_group_size: 1
    .uses_dynamic_stack: false
    .vgpr_count:     21
    .vgpr_spill_count: 0
    .wavefront_size: 64
  - .agpr_count:     0
    .args:
      - .address_space:  global
        .offset:         0
        .size:           8
        .value_kind:     global_buffer
      - .offset:         8
        .size:           3392
        .value_kind:     by_value
      - .offset:         3400
        .size:           32
        .value_kind:     by_value
      - .offset:         3432
        .size:           4
        .value_kind:     by_value
      - .offset:         3436
        .size:           4
        .value_kind:     by_value
      - .offset:         3440
        .size:           4
        .value_kind:     hidden_block_count_x
      - .offset:         3444
        .size:           4
        .value_kind:     hidden_block_count_y
      - .offset:         3448
        .size:           4
        .value_kind:     hidden_block_count_z
      - .offset:         3452
        .size:           2
        .value_kind:     hidden_group_size_x
      - .offset:         3454
        .size:           2
        .value_kind:     hidden_group_size_y
      - .offset:         3456
        .size:           2
        .value_kind:     hidden_group_size_z
      - .offset:         3458
        .size:           2
        .value_kind:     hidden_remainder_x
      - .offset:         3460
        .size:           2
        .value_kind:     hidden_remainder_y
      - .offset:         3462
        .size:           2
        .value_kind:     hidden_remainder_z
      - .offset:         3480
        .size:           8
        .value_kind:     hidden_global_offset_x
      - .offset:         3488
        .size:           8
        .value_kind:     hidden_global_offset_y
      - .offset:         3496
        .size:           8
        .value_kind:     hidden_global_offset_z
      - .offset:         3504
        .size:           2
        .value_kind:     hidden_grid_dims
    .group_segment_fixed_size: 0
    .kernarg_segment_align: 8
    .kernarg_segment_size: 3696
    .language:       OpenCL C
    .language_version:
      - 2
      - 0
    .max_flat_workgroup_size: 1024
    .name:           _ZN2at6native12_GLOBAL__N_126CatArrayBatchedCopy_contigINS1_10OpaqueTypeILj16EEEjLi4ELi64ELi64EEEvPT_NS1_25CatArrInputTensorMetadataIS5_T0_XT2_EXT3_EEENS1_16TensorSizeStrideIS8_Lj4EEEiS8_
    .private_segment_fixed_size: 0
    .sgpr_count:     33
    .sgpr_spill_count: 0
    .symbol:         _ZN2at6native12_GLOBAL__N_126CatArrayBatchedCopy_contigINS1_10OpaqueTypeILj16EEEjLi4ELi64ELi64EEEvPT_NS1_25CatArrInputTensorMetadataIS5_T0_XT2_EXT3_EEENS1_16TensorSizeStrideIS8_Lj4EEEiS8_.kd
    .uniform_work_group_size: 1
    .uses_dynamic_stack: false
    .vgpr_count:     17
    .vgpr_spill_count: 0
    .wavefront_size: 64
  - .agpr_count:     0
    .args:
      - .address_space:  global
        .offset:         0
        .size:           8
        .value_kind:     global_buffer
      - .offset:         8
        .size:           3392
        .value_kind:     by_value
      - .offset:         3400
        .size:           32
        .value_kind:     by_value
      - .offset:         3432
        .size:           4
        .value_kind:     by_value
      - .offset:         3436
        .size:           4
        .value_kind:     by_value
      - .offset:         3440
        .size:           4
        .value_kind:     hidden_block_count_x
      - .offset:         3444
        .size:           4
        .value_kind:     hidden_block_count_y
      - .offset:         3448
        .size:           4
        .value_kind:     hidden_block_count_z
      - .offset:         3452
        .size:           2
        .value_kind:     hidden_group_size_x
      - .offset:         3454
        .size:           2
        .value_kind:     hidden_group_size_y
      - .offset:         3456
        .size:           2
        .value_kind:     hidden_group_size_z
      - .offset:         3458
        .size:           2
        .value_kind:     hidden_remainder_x
      - .offset:         3460
        .size:           2
        .value_kind:     hidden_remainder_y
      - .offset:         3462
        .size:           2
        .value_kind:     hidden_remainder_z
      - .offset:         3480
        .size:           8
        .value_kind:     hidden_global_offset_x
      - .offset:         3488
        .size:           8
        .value_kind:     hidden_global_offset_y
      - .offset:         3496
        .size:           8
        .value_kind:     hidden_global_offset_z
      - .offset:         3504
        .size:           2
        .value_kind:     hidden_grid_dims
    .group_segment_fixed_size: 0
    .kernarg_segment_align: 8
    .kernarg_segment_size: 3696
    .language:       OpenCL C
    .language_version:
      - 2
      - 0
    .max_flat_workgroup_size: 1024
    .name:           _ZN2at6native12_GLOBAL__N_119CatArrayBatchedCopyINS1_10OpaqueTypeILj16EEEjLi4ELi64ELi64EEEvPT_NS1_25CatArrInputTensorMetadataIS5_T0_XT2_EXT3_EEENS1_16TensorSizeStrideIS8_Lj4EEEiS8_
    .private_segment_fixed_size: 0
    .sgpr_count:     38
    .sgpr_spill_count: 0
    .symbol:         _ZN2at6native12_GLOBAL__N_119CatArrayBatchedCopyINS1_10OpaqueTypeILj16EEEjLi4ELi64ELi64EEEvPT_NS1_25CatArrInputTensorMetadataIS5_T0_XT2_EXT3_EEENS1_16TensorSizeStrideIS8_Lj4EEEiS8_.kd
    .uniform_work_group_size: 1
    .uses_dynamic_stack: false
    .vgpr_count:     18
    .vgpr_spill_count: 0
    .wavefront_size: 64
amdhsa.target:   amdgcn-amd-amdhsa--gfx950
amdhsa.version:
  - 1
  - 2
...

	.end_amdgpu_metadata
